;; amdgpu-corpus repo=pytorch/pytorch kind=compiled arch=gfx950 opt=O3
	.amdgcn_target "amdgcn-amd-amdhsa--gfx950"
	.amdhsa_code_object_version 6
	.section	.text._ZN2at6native12_GLOBAL__N_125multi_tensor_apply_kernelINS1_18TensorListMetadataILi1EEENS0_12LpMaxFunctorIhLi1ELi1ELi0EEEJPhiEEEvT_T0_DpT1_,"axG",@progbits,_ZN2at6native12_GLOBAL__N_125multi_tensor_apply_kernelINS1_18TensorListMetadataILi1EEENS0_12LpMaxFunctorIhLi1ELi1ELi0EEEJPhiEEEvT_T0_DpT1_,comdat
	.globl	_ZN2at6native12_GLOBAL__N_125multi_tensor_apply_kernelINS1_18TensorListMetadataILi1EEENS0_12LpMaxFunctorIhLi1ELi1ELi0EEEJPhiEEEvT_T0_DpT1_ ; -- Begin function _ZN2at6native12_GLOBAL__N_125multi_tensor_apply_kernelINS1_18TensorListMetadataILi1EEENS0_12LpMaxFunctorIhLi1ELi1ELi0EEEJPhiEEEvT_T0_DpT1_
	.p2align	8
	.type	_ZN2at6native12_GLOBAL__N_125multi_tensor_apply_kernelINS1_18TensorListMetadataILi1EEENS0_12LpMaxFunctorIhLi1ELi1ELi0EEEJPhiEEEvT_T0_DpT1_,@function
_ZN2at6native12_GLOBAL__N_125multi_tensor_apply_kernelINS1_18TensorListMetadataILi1EEENS0_12LpMaxFunctorIhLi1ELi1ELi0EEEJPhiEEEvT_T0_DpT1_: ; @_ZN2at6native12_GLOBAL__N_125multi_tensor_apply_kernelINS1_18TensorListMetadataILi1EEENS0_12LpMaxFunctorIhLi1ELi1ELi0EEEJPhiEEEvT_T0_DpT1_
; %bb.0:
	v_mov_b32_e32 v1, s2
	global_load_ubyte v1, v1, s[0:1] offset:1760
	s_add_u32 s3, s0, s2
	s_mul_hi_u32 s4, s2, 3
	s_mul_i32 s2, s2, 3
	s_addc_u32 s5, s1, 0
	s_add_u32 s2, s3, s2
	s_addc_u32 s3, s5, s4
	s_load_dword s4, s[2:3], 0x820
	s_waitcnt vmcnt(0)
	v_readfirstlane_b32 s2, v1
	s_and_b32 s18, s2, 0xff
	s_lshl_b32 s5, s18, 3
	s_load_dwordx2 s[6:7], s[0:1], s5 offset:0x0
	s_load_dwordx2 s[2:3], s[0:1], s5 offset:0x370
	s_waitcnt lgkmcnt(0)
	s_ashr_i32 s5, s4, 31
	s_lshl_b64 s[8:9], s[4:5], 16
	s_add_u32 s12, s6, s8
	s_addc_u32 s13, s7, s9
	s_sub_u32 s10, s2, s8
	s_subb_u32 s11, s3, s9
	s_or_b32 s2, s2, s12
	s_and_b32 s2, s2, 3
	s_cmp_eq_u32 s2, 0
	s_cbranch_scc1 .LBB0_12
; %bb.1:
	v_cmp_lt_i64_e64 s[2:3], s[10:11], 1
	s_and_b64 vcc, exec, s[2:3]
	s_cbranch_vccnz .LBB0_13
; %bb.2:
	s_load_dword s14, s[0:1], 0xd4c
	v_mov_b64_e32 v[2:3], 0x10000
	v_cmp_lt_i64_e32 vcc, s[10:11], v[2:3]
	s_and_b64 s[2:3], vcc, exec
	s_cselect_b32 s3, s11, 0
	s_cselect_b32 s2, s10, 0x10000
	s_waitcnt lgkmcnt(0)
	s_and_b32 s19, s14, 0xffff
	v_mad_u64_u32 v[6:7], s[14:15], s19, 3, v[0:1]
	s_mov_b32 s5, 0x10000
	v_mov_b32_e32 v5, 0
	s_mov_b32 s16, 0xffff
	s_lshl_b32 s17, s19, 2
	v_lshl_add_u32 v2, s19, 1, v0
	v_add_u32_e32 v8, s19, v0
	s_mov_b64 s[14:15], 0
	s_movk_i32 s19, 0xff
	s_movk_i32 s20, 0xff00
	s_mov_b32 s21, 0xffff0000
	v_mov_b64_e32 v[10:11], s[2:3]
	v_mov_b32_e32 v3, 0
	s_branch .LBB0_4
.LBB0_3:                                ;   in Loop: Header=BB0_4 Depth=1
	s_or_b64 exec, exec, s[2:3]
	s_add_u32 s14, s14, s17
	s_addc_u32 s15, s15, 0
	v_cmp_lt_i64_e32 vcc, s[14:15], v[10:11]
	s_cbranch_vccz .LBB0_14
.LBB0_4:                                ; =>This Inner Loop Header: Depth=1
	v_add_u32_e32 v4, s14, v0
	v_cmp_gt_i64_e32 vcc, s[10:11], v[4:5]
	v_cmp_gt_u32_e64 s[2:3], s5, v4
	s_and_b64 s[22:23], s[2:3], vcc
	s_and_saveexec_b64 s[2:3], s[22:23]
	s_cbranch_execz .LBB0_6
; %bb.5:                                ;   in Loop: Header=BB0_4 Depth=1
	v_lshl_add_u64 v[12:13], s[12:13], 0, v[4:5]
	global_load_ubyte v1, v[12:13], off
	s_waitcnt vmcnt(0)
	v_max_u16_sdwa v1, v3, v1 dst_sel:DWORD dst_unused:UNUSED_PAD src0_sel:BYTE_0 src1_sel:DWORD
	v_bitop3_b16 v1, v1, v3, s20 bitop3:0xf8
	v_and_b32_e32 v1, 0xffff, v1
	v_and_or_b32 v3, v3, s21, v1
.LBB0_6:                                ;   in Loop: Header=BB0_4 Depth=1
	s_or_b64 exec, exec, s[2:3]
	v_add_u32_e32 v4, s14, v8
	v_cmp_gt_i64_e32 vcc, s[10:11], v[4:5]
	v_cmp_gt_u32_e64 s[2:3], s5, v4
	s_and_b64 s[22:23], s[2:3], vcc
	s_and_saveexec_b64 s[2:3], s[22:23]
	s_cbranch_execz .LBB0_8
; %bb.7:                                ;   in Loop: Header=BB0_4 Depth=1
	v_lshl_add_u64 v[12:13], s[12:13], 0, v[4:5]
	global_load_ubyte v1, v[12:13], off
	v_lshrrev_b32_e32 v4, 8, v3
	s_waitcnt vmcnt(0)
	v_max_u16_sdwa v1, v4, v1 dst_sel:BYTE_1 dst_unused:UNUSED_PAD src0_sel:BYTE_0 src1_sel:DWORD
	s_nop 0
	v_bitop3_b16 v1, v3, v1, s19 bitop3:0xec
	v_and_b32_e32 v1, 0xffff, v1
	v_and_or_b32 v3, v3, s21, v1
.LBB0_8:                                ;   in Loop: Header=BB0_4 Depth=1
	s_or_b64 exec, exec, s[2:3]
	v_add_u32_e32 v4, s14, v2
	v_cmp_gt_i64_e32 vcc, s[10:11], v[4:5]
	v_cmp_gt_u32_e64 s[2:3], s5, v4
	s_and_b64 s[22:23], s[2:3], vcc
	s_and_saveexec_b64 s[2:3], s[22:23]
	s_cbranch_execz .LBB0_10
; %bb.9:                                ;   in Loop: Header=BB0_4 Depth=1
	v_lshl_add_u64 v[12:13], s[12:13], 0, v[4:5]
	global_load_ubyte v1, v[12:13], off
	v_lshrrev_b32_e32 v4, 16, v3
	s_waitcnt vmcnt(0)
	v_max_u16_sdwa v1, v4, v1 dst_sel:DWORD dst_unused:UNUSED_PAD src0_sel:BYTE_0 src1_sel:DWORD
	v_bitop3_b16 v1, v1, v4, s20 bitop3:0xf8
	v_lshlrev_b32_e32 v1, 16, v1
	v_and_or_b32 v3, v3, s16, v1
.LBB0_10:                               ;   in Loop: Header=BB0_4 Depth=1
	s_or_b64 exec, exec, s[2:3]
	v_add_u32_e32 v4, s14, v6
	v_cmp_gt_i64_e32 vcc, s[10:11], v[4:5]
	v_cmp_gt_u32_e64 s[2:3], s5, v4
	s_and_b64 s[22:23], s[2:3], vcc
	s_and_saveexec_b64 s[2:3], s[22:23]
	s_cbranch_execz .LBB0_3
; %bb.11:                               ;   in Loop: Header=BB0_4 Depth=1
	v_lshl_add_u64 v[12:13], s[12:13], 0, v[4:5]
	global_load_ubyte v1, v[12:13], off
	v_lshrrev_b32_e32 v4, 16, v3
	s_waitcnt vmcnt(0)
	v_max_u16_sdwa v1, v3, v1 dst_sel:BYTE_1 dst_unused:UNUSED_PAD src0_sel:BYTE_3 src1_sel:DWORD
	s_nop 0
	v_bitop3_b16 v1, v4, v1, s19 bitop3:0xec
	v_lshlrev_b32_e32 v1, 16, v1
	v_and_or_b32 v3, v3, s16, v1
	s_branch .LBB0_3
.LBB0_12:
                                        ; implicit-def: $vgpr3
	s_branch .LBB0_15
.LBB0_13:
	v_mov_b32_e32 v3, 0
.LBB0_14:
	s_cbranch_execnz .LBB0_20
.LBB0_15:
	v_mov_b64_e32 v[4:5], 0x10000
	v_cmp_lt_i64_e32 vcc, s[10:11], v[4:5]
	s_and_b64 s[12:13], vcc, exec
	v_mov_b32_e32 v3, 0
	s_cselect_b32 s11, s11, 0
	s_cselect_b32 s10, s10, 0x10000
	v_lshlrev_b32_e32 v2, 2, v0
	s_mov_b32 s3, 0
	v_cmp_gt_i64_e32 vcc, s[10:11], v[2:3]
	s_and_saveexec_b64 s[12:13], vcc
	s_cbranch_execz .LBB0_19
; %bb.16:
	s_load_dword s2, s[0:1], 0xd4c
	v_mov_b32_e32 v1, v3
	s_mov_b32 s17, s3
	s_mov_b64 s[14:15], 0
	s_movk_i32 s5, 0xff
	s_waitcnt lgkmcnt(0)
	s_and_b32 s2, s2, 0xffff
	s_add_u32 s6, s6, s8
	s_addc_u32 s7, s7, s9
	s_lshl_b32 s16, s2, 2
	v_lshl_add_u64 v[4:5], s[6:7], 0, v[2:3]
	v_mov_b64_e32 v[6:7], v[0:1]
.LBB0_17:                               ; =>This Inner Loop Header: Depth=1
	global_load_dword v1, v[4:5], off
	v_lshl_add_u64 v[6:7], v[6:7], 0, s[2:3]
	v_lshlrev_b64 v[8:9], 2, v[6:7]
	v_and_b32_sdwa v2, v3, s5 dst_sel:DWORD dst_unused:UNUSED_PAD src0_sel:WORD_1 src1_sel:DWORD
	v_cmp_le_i64_e32 vcc, s[10:11], v[8:9]
	v_lshl_add_u64 v[4:5], v[4:5], 0, s[16:17]
	s_or_b64 s[14:15], vcc, s[14:15]
	s_waitcnt vmcnt(0)
	v_and_b32_sdwa v8, v1, s5 dst_sel:DWORD dst_unused:UNUSED_PAD src0_sel:WORD_1 src1_sel:DWORD
	v_max_u16_sdwa v9, v3, v1 dst_sel:DWORD dst_unused:UNUSED_PAD src0_sel:BYTE_0 src1_sel:BYTE_0
	v_max_u16_sdwa v10, v3, v1 dst_sel:BYTE_1 dst_unused:UNUSED_PAD src0_sel:BYTE_1 src1_sel:BYTE_1
	v_max_u16_sdwa v1, v3, v1 dst_sel:BYTE_1 dst_unused:UNUSED_PAD src0_sel:BYTE_3 src1_sel:BYTE_3
	v_max_u16_e32 v2, v2, v8
	v_or_b32_e32 v3, v9, v10
	v_or_b32_sdwa v1, v2, v1 dst_sel:WORD_1 dst_unused:UNUSED_PAD src0_sel:DWORD src1_sel:DWORD
	s_nop 0
	v_or_b32_sdwa v3, v3, v1 dst_sel:DWORD dst_unused:UNUSED_PAD src0_sel:WORD_0 src1_sel:DWORD
	s_andn2_b64 exec, exec, s[14:15]
	s_cbranch_execnz .LBB0_17
; %bb.18:
	s_or_b64 exec, exec, s[14:15]
.LBB0_19:
	s_or_b64 exec, exec, s[12:13]
.LBB0_20:
	s_movk_i32 s2, 0xff
	v_lshrrev_b32_e32 v1, 8, v3
	v_max_u16_sdwa v1, v3, v1 dst_sel:DWORD dst_unused:UNUSED_PAD src0_sel:BYTE_0 src1_sel:BYTE_0
	v_and_b32_sdwa v2, v3, s2 dst_sel:DWORD dst_unused:UNUSED_PAD src0_sel:WORD_1 src1_sel:DWORD
	v_lshrrev_b32_e32 v3, 24, v3
	v_max3_u16 v2, v1, v2, v3
	v_mbcnt_lo_u32_b32 v1, -1, 0
	v_mbcnt_hi_u32_b32 v6, -1, v1
	v_mov_b32_e32 v1, 0x80
	v_and_b32_e32 v3, 0xffff, v2
	v_lshl_or_b32 v1, v6, 2, v1
	ds_bpermute_b32 v3, v1, v3
	v_and_b32_e32 v9, 63, v6
	v_cmp_gt_u32_e32 vcc, 48, v9
	v_and_b32_e32 v8, 63, v0
	s_waitcnt lgkmcnt(0)
	v_max_u16_sdwa v3, v2, v3 dst_sel:DWORD dst_unused:UNUSED_PAD src0_sel:DWORD src1_sel:BYTE_0
	v_cndmask_b32_e64 v2, 0, 16, vcc
	v_add_lshl_u32 v2, v2, v6, 2
	ds_bpermute_b32 v4, v2, v3
	v_cmp_gt_u32_e32 vcc, 56, v9
	s_barrier
	s_waitcnt lgkmcnt(0)
	v_max_u16_sdwa v4, v3, v4 dst_sel:DWORD dst_unused:UNUSED_PAD src0_sel:DWORD src1_sel:BYTE_0
	v_cndmask_b32_e64 v3, 0, 8, vcc
	v_add_lshl_u32 v3, v3, v6, 2
	ds_bpermute_b32 v5, v3, v4
	v_cmp_gt_u32_e32 vcc, 60, v9
	s_waitcnt lgkmcnt(0)
	v_max_u16_sdwa v5, v4, v5 dst_sel:DWORD dst_unused:UNUSED_PAD src0_sel:DWORD src1_sel:BYTE_0
	v_cndmask_b32_e64 v4, 0, 4, vcc
	v_add_lshl_u32 v4, v4, v6, 2
	ds_bpermute_b32 v7, v4, v5
	v_cmp_gt_u32_e32 vcc, 62, v9
	s_waitcnt lgkmcnt(0)
	v_max_u16_sdwa v7, v5, v7 dst_sel:DWORD dst_unused:UNUSED_PAD src0_sel:DWORD src1_sel:BYTE_0
	v_cndmask_b32_e64 v5, 0, 2, vcc
	v_add_lshl_u32 v5, v5, v6, 2
	ds_bpermute_b32 v10, v5, v7
	v_cmp_ne_u32_e32 vcc, 63, v9
	s_waitcnt lgkmcnt(0)
	v_max_u16_sdwa v7, v7, v10 dst_sel:DWORD dst_unused:UNUSED_PAD src0_sel:DWORD src1_sel:BYTE_0
	v_addc_co_u32_e32 v6, vcc, 0, v6, vcc
	v_lshlrev_b32_e32 v6, 2, v6
	ds_bpermute_b32 v9, v6, v7
	v_cmp_eq_u32_e32 vcc, 0, v8
	s_and_saveexec_b64 s[2:3], vcc
	s_cbranch_execz .LBB0_22
; %bb.21:
	v_lshrrev_b32_e32 v10, 6, v0
	s_waitcnt lgkmcnt(0)
	v_max_u16_sdwa v7, v7, v9 dst_sel:DWORD dst_unused:UNUSED_PAD src0_sel:BYTE_0 src1_sel:BYTE_0
	ds_write_b8 v10, v7
.LBB0_22:
	s_or_b64 exec, exec, s[2:3]
	s_waitcnt lgkmcnt(0)
	s_barrier
	s_load_dword s2, s[0:1], 0xd4c
	v_mov_b32_e32 v7, 0
	s_waitcnt lgkmcnt(0)
	s_bfe_u32 s2, s2, 0xa0006
	v_cmp_gt_u32_e32 vcc, s2, v0
	s_and_saveexec_b64 s[2:3], vcc
	s_cbranch_execnz .LBB0_26
; %bb.23:
	s_or_b64 exec, exec, s[2:3]
	v_cmp_gt_u32_e32 vcc, 64, v0
	s_and_saveexec_b64 s[2:3], vcc
	s_cbranch_execnz .LBB0_27
.LBB0_24:
	s_or_b64 exec, exec, s[2:3]
	v_cmp_eq_u32_e32 vcc, 0, v0
	s_and_saveexec_b64 s[2:3], vcc
	s_cbranch_execnz .LBB0_28
.LBB0_25:
	s_endpgm
.LBB0_26:
	ds_read_u8 v7, v8
	s_or_b64 exec, exec, s[2:3]
	v_cmp_gt_u32_e32 vcc, 64, v0
	s_and_saveexec_b64 s[2:3], vcc
	s_cbranch_execz .LBB0_24
.LBB0_27:
	s_waitcnt lgkmcnt(0)
	v_and_b32_e32 v7, 0xff, v7
	ds_bpermute_b32 v1, v1, v7
	s_waitcnt lgkmcnt(0)
	v_max_u16_sdwa v1, v7, v1 dst_sel:DWORD dst_unused:UNUSED_PAD src0_sel:DWORD src1_sel:BYTE_0
	ds_bpermute_b32 v2, v2, v1
	s_waitcnt lgkmcnt(0)
	v_max_u16_sdwa v1, v1, v2 dst_sel:DWORD dst_unused:UNUSED_PAD src0_sel:DWORD src1_sel:BYTE_0
	;; [unrolled: 3-line block ×6, first 2 shown]
	s_or_b64 exec, exec, s[2:3]
	v_cmp_eq_u32_e32 vcc, 0, v0
	s_and_saveexec_b64 s[2:3], vcc
	s_cbranch_execz .LBB0_25
.LBB0_28:
	s_load_dword s5, s[0:1], 0xd20
	s_load_dword s6, s[0:1], 0xd38
	s_load_dwordx2 s[2:3], s[0:1], 0xd30
	v_mov_b32_e32 v0, 0
	s_waitcnt lgkmcnt(0)
	s_add_i32 s0, s5, s18
	s_mul_i32 s0, s0, s6
	s_add_i32 s0, s0, s4
	s_ashr_i32 s1, s0, 31
	s_add_u32 s0, s2, s0
	s_addc_u32 s1, s3, s1
	global_store_byte v0, v7, s[0:1]
	s_endpgm
	.section	.rodata,"a",@progbits
	.p2align	6, 0x0
	.amdhsa_kernel _ZN2at6native12_GLOBAL__N_125multi_tensor_apply_kernelINS1_18TensorListMetadataILi1EEENS0_12LpMaxFunctorIhLi1ELi1ELi0EEEJPhiEEEvT_T0_DpT1_
		.amdhsa_group_segment_fixed_size 512
		.amdhsa_private_segment_fixed_size 0
		.amdhsa_kernarg_size 3648
		.amdhsa_user_sgpr_count 2
		.amdhsa_user_sgpr_dispatch_ptr 0
		.amdhsa_user_sgpr_queue_ptr 0
		.amdhsa_user_sgpr_kernarg_segment_ptr 1
		.amdhsa_user_sgpr_dispatch_id 0
		.amdhsa_user_sgpr_kernarg_preload_length 0
		.amdhsa_user_sgpr_kernarg_preload_offset 0
		.amdhsa_user_sgpr_private_segment_size 0
		.amdhsa_uses_dynamic_stack 0
		.amdhsa_enable_private_segment 0
		.amdhsa_system_sgpr_workgroup_id_x 1
		.amdhsa_system_sgpr_workgroup_id_y 0
		.amdhsa_system_sgpr_workgroup_id_z 0
		.amdhsa_system_sgpr_workgroup_info 0
		.amdhsa_system_vgpr_workitem_id 0
		.amdhsa_next_free_vgpr 14
		.amdhsa_next_free_sgpr 24
		.amdhsa_accum_offset 16
		.amdhsa_reserve_vcc 1
		.amdhsa_float_round_mode_32 0
		.amdhsa_float_round_mode_16_64 0
		.amdhsa_float_denorm_mode_32 3
		.amdhsa_float_denorm_mode_16_64 3
		.amdhsa_dx10_clamp 1
		.amdhsa_ieee_mode 1
		.amdhsa_fp16_overflow 0
		.amdhsa_tg_split 0
		.amdhsa_exception_fp_ieee_invalid_op 0
		.amdhsa_exception_fp_denorm_src 0
		.amdhsa_exception_fp_ieee_div_zero 0
		.amdhsa_exception_fp_ieee_overflow 0
		.amdhsa_exception_fp_ieee_underflow 0
		.amdhsa_exception_fp_ieee_inexact 0
		.amdhsa_exception_int_div_zero 0
	.end_amdhsa_kernel
	.section	.text._ZN2at6native12_GLOBAL__N_125multi_tensor_apply_kernelINS1_18TensorListMetadataILi1EEENS0_12LpMaxFunctorIhLi1ELi1ELi0EEEJPhiEEEvT_T0_DpT1_,"axG",@progbits,_ZN2at6native12_GLOBAL__N_125multi_tensor_apply_kernelINS1_18TensorListMetadataILi1EEENS0_12LpMaxFunctorIhLi1ELi1ELi0EEEJPhiEEEvT_T0_DpT1_,comdat
.Lfunc_end0:
	.size	_ZN2at6native12_GLOBAL__N_125multi_tensor_apply_kernelINS1_18TensorListMetadataILi1EEENS0_12LpMaxFunctorIhLi1ELi1ELi0EEEJPhiEEEvT_T0_DpT1_, .Lfunc_end0-_ZN2at6native12_GLOBAL__N_125multi_tensor_apply_kernelINS1_18TensorListMetadataILi1EEENS0_12LpMaxFunctorIhLi1ELi1ELi0EEEJPhiEEEvT_T0_DpT1_
                                        ; -- End function
	.set _ZN2at6native12_GLOBAL__N_125multi_tensor_apply_kernelINS1_18TensorListMetadataILi1EEENS0_12LpMaxFunctorIhLi1ELi1ELi0EEEJPhiEEEvT_T0_DpT1_.num_vgpr, 14
	.set _ZN2at6native12_GLOBAL__N_125multi_tensor_apply_kernelINS1_18TensorListMetadataILi1EEENS0_12LpMaxFunctorIhLi1ELi1ELi0EEEJPhiEEEvT_T0_DpT1_.num_agpr, 0
	.set _ZN2at6native12_GLOBAL__N_125multi_tensor_apply_kernelINS1_18TensorListMetadataILi1EEENS0_12LpMaxFunctorIhLi1ELi1ELi0EEEJPhiEEEvT_T0_DpT1_.numbered_sgpr, 24
	.set _ZN2at6native12_GLOBAL__N_125multi_tensor_apply_kernelINS1_18TensorListMetadataILi1EEENS0_12LpMaxFunctorIhLi1ELi1ELi0EEEJPhiEEEvT_T0_DpT1_.num_named_barrier, 0
	.set _ZN2at6native12_GLOBAL__N_125multi_tensor_apply_kernelINS1_18TensorListMetadataILi1EEENS0_12LpMaxFunctorIhLi1ELi1ELi0EEEJPhiEEEvT_T0_DpT1_.private_seg_size, 0
	.set _ZN2at6native12_GLOBAL__N_125multi_tensor_apply_kernelINS1_18TensorListMetadataILi1EEENS0_12LpMaxFunctorIhLi1ELi1ELi0EEEJPhiEEEvT_T0_DpT1_.uses_vcc, 1
	.set _ZN2at6native12_GLOBAL__N_125multi_tensor_apply_kernelINS1_18TensorListMetadataILi1EEENS0_12LpMaxFunctorIhLi1ELi1ELi0EEEJPhiEEEvT_T0_DpT1_.uses_flat_scratch, 0
	.set _ZN2at6native12_GLOBAL__N_125multi_tensor_apply_kernelINS1_18TensorListMetadataILi1EEENS0_12LpMaxFunctorIhLi1ELi1ELi0EEEJPhiEEEvT_T0_DpT1_.has_dyn_sized_stack, 0
	.set _ZN2at6native12_GLOBAL__N_125multi_tensor_apply_kernelINS1_18TensorListMetadataILi1EEENS0_12LpMaxFunctorIhLi1ELi1ELi0EEEJPhiEEEvT_T0_DpT1_.has_recursion, 0
	.set _ZN2at6native12_GLOBAL__N_125multi_tensor_apply_kernelINS1_18TensorListMetadataILi1EEENS0_12LpMaxFunctorIhLi1ELi1ELi0EEEJPhiEEEvT_T0_DpT1_.has_indirect_call, 0
	.section	.AMDGPU.csdata,"",@progbits
; Kernel info:
; codeLenInByte = 1532
; TotalNumSgprs: 30
; NumVgprs: 14
; NumAgprs: 0
; TotalNumVgprs: 14
; ScratchSize: 0
; MemoryBound: 0
; FloatMode: 240
; IeeeMode: 1
; LDSByteSize: 512 bytes/workgroup (compile time only)
; SGPRBlocks: 3
; VGPRBlocks: 1
; NumSGPRsForWavesPerEU: 30
; NumVGPRsForWavesPerEU: 14
; AccumOffset: 16
; Occupancy: 8
; WaveLimiterHint : 0
; COMPUTE_PGM_RSRC2:SCRATCH_EN: 0
; COMPUTE_PGM_RSRC2:USER_SGPR: 2
; COMPUTE_PGM_RSRC2:TRAP_HANDLER: 0
; COMPUTE_PGM_RSRC2:TGID_X_EN: 1
; COMPUTE_PGM_RSRC2:TGID_Y_EN: 0
; COMPUTE_PGM_RSRC2:TGID_Z_EN: 0
; COMPUTE_PGM_RSRC2:TIDIG_COMP_CNT: 0
; COMPUTE_PGM_RSRC3_GFX90A:ACCUM_OFFSET: 3
; COMPUTE_PGM_RSRC3_GFX90A:TG_SPLIT: 0
	.section	.text._ZN2at6native13lpmax_cleanupIhEEvPKT_NS0_19TensorListAddressesEi,"axG",@progbits,_ZN2at6native13lpmax_cleanupIhEEvPKT_NS0_19TensorListAddressesEi,comdat
	.protected	_ZN2at6native13lpmax_cleanupIhEEvPKT_NS0_19TensorListAddressesEi ; -- Begin function _ZN2at6native13lpmax_cleanupIhEEvPKT_NS0_19TensorListAddressesEi
	.globl	_ZN2at6native13lpmax_cleanupIhEEvPKT_NS0_19TensorListAddressesEi
	.p2align	8
	.type	_ZN2at6native13lpmax_cleanupIhEEvPKT_NS0_19TensorListAddressesEi,@function
_ZN2at6native13lpmax_cleanupIhEEvPKT_NS0_19TensorListAddressesEi: ; @_ZN2at6native13lpmax_cleanupIhEEvPKT_NS0_19TensorListAddressesEi
; %bb.0:
	s_load_dword s6, s[0:1], 0xc88
	v_mov_b32_e32 v1, 0
	s_waitcnt lgkmcnt(0)
	v_cmp_gt_u32_e32 vcc, s6, v0
	s_and_saveexec_b64 s[4:5], vcc
	s_cbranch_execz .LBB1_4
; %bb.1:
	s_load_dwordx2 s[10:11], s[0:1], 0x0
	s_load_dword s8, s[0:1], 0xc9c
	s_mul_i32 s3, s6, s2
	v_mov_b32_e32 v1, 0
	s_mov_b32 s9, 0
	s_waitcnt lgkmcnt(0)
	s_add_u32 s10, s10, s3
	s_addc_u32 s11, s11, 0
	s_ashr_i32 s7, s6, 31
	s_and_b32 s8, s8, 0xffff
	s_mov_b64 s[12:13], 0
	v_mov_b64_e32 v[2:3], v[0:1]
.LBB1_2:                                ; =>This Inner Loop Header: Depth=1
	v_lshl_add_u64 v[4:5], s[10:11], 0, v[2:3]
	global_load_ubyte v4, v[4:5], off
	v_lshl_add_u64 v[2:3], v[2:3], 0, s[8:9]
	v_cmp_le_u64_e32 vcc, s[6:7], v[2:3]
	s_or_b64 s[12:13], vcc, s[12:13]
	s_waitcnt vmcnt(0)
	v_max_u16_sdwa v1, v1, v4 dst_sel:DWORD dst_unused:UNUSED_PAD src0_sel:BYTE_0 src1_sel:DWORD
	s_andn2_b64 exec, exec, s[12:13]
	s_cbranch_execnz .LBB1_2
; %bb.3:
	s_or_b64 exec, exec, s[12:13]
.LBB1_4:
	s_or_b64 exec, exec, s[4:5]
	v_mbcnt_lo_u32_b32 v2, -1, 0
	v_mbcnt_hi_u32_b32 v6, -1, v2
	v_mov_b32_e32 v2, 0x80
	v_and_b32_e32 v3, 0xffff, v1
	v_lshl_or_b32 v2, v6, 2, v2
	ds_bpermute_b32 v3, v2, v3
	v_and_b32_e32 v7, 63, v6
	v_cmp_gt_u32_e32 vcc, 48, v7
	s_waitcnt lgkmcnt(0)
	s_barrier
	v_max_u16_sdwa v3, v1, v3 dst_sel:DWORD dst_unused:UNUSED_PAD src0_sel:DWORD src1_sel:BYTE_0
	v_cndmask_b32_e64 v1, 0, 16, vcc
	v_add_lshl_u32 v1, v1, v6, 2
	ds_bpermute_b32 v4, v1, v3
	v_cmp_gt_u32_e32 vcc, 56, v7
	s_waitcnt lgkmcnt(0)
	v_max_u16_sdwa v8, v3, v4 dst_sel:DWORD dst_unused:UNUSED_PAD src0_sel:DWORD src1_sel:BYTE_0
	v_cndmask_b32_e64 v5, 0, 8, vcc
	v_add_lshl_u32 v3, v5, v6, 2
	ds_bpermute_b32 v5, v3, v8
	v_cmp_gt_u32_e32 vcc, 60, v7
	s_waitcnt lgkmcnt(0)
	;; [unrolled: 6-line block ×3, first 2 shown]
	v_max_u16_sdwa v9, v8, v9 dst_sel:DWORD dst_unused:UNUSED_PAD src0_sel:DWORD src1_sel:BYTE_0
	v_cndmask_b32_e64 v5, 0, 2, vcc
	v_add_lshl_u32 v5, v5, v6, 2
	ds_bpermute_b32 v10, v5, v9
	v_cmp_ne_u32_e32 vcc, 63, v7
	v_and_b32_e32 v8, 63, v0
	s_waitcnt lgkmcnt(0)
	v_max_u16_sdwa v7, v9, v10 dst_sel:DWORD dst_unused:UNUSED_PAD src0_sel:DWORD src1_sel:BYTE_0
	v_addc_co_u32_e32 v6, vcc, 0, v6, vcc
	v_lshlrev_b32_e32 v6, 2, v6
	ds_bpermute_b32 v9, v6, v7
	v_cmp_eq_u32_e32 vcc, 0, v8
	s_and_saveexec_b64 s[4:5], vcc
	s_cbranch_execz .LBB1_6
; %bb.5:
	s_waitcnt lgkmcnt(0)
	v_max_u16_sdwa v7, v7, v9 dst_sel:DWORD dst_unused:UNUSED_PAD src0_sel:DWORD src1_sel:BYTE_0
	v_lshrrev_b32_e32 v9, 6, v0
	ds_write_b8 v9, v7
.LBB1_6:
	s_or_b64 exec, exec, s[4:5]
	s_waitcnt lgkmcnt(0)
	s_barrier
	s_load_dword s3, s[0:1], 0xc9c
	v_mov_b32_e32 v7, 0
	s_waitcnt lgkmcnt(0)
	s_bfe_u32 s3, s3, 0xa0006
	v_cmp_gt_u32_e32 vcc, s3, v0
	s_and_saveexec_b64 s[4:5], vcc
; %bb.7:
	ds_read_u8 v7, v8
; %bb.8:
	s_or_b64 exec, exec, s[4:5]
	v_cmp_gt_u32_e32 vcc, 64, v0
	s_and_saveexec_b64 s[4:5], vcc
	s_cbranch_execz .LBB1_10
; %bb.9:
	s_waitcnt lgkmcnt(0)
	v_and_b32_e32 v7, 0xff, v7
	ds_bpermute_b32 v2, v2, v7
	s_waitcnt lgkmcnt(0)
	v_max_u16_sdwa v2, v7, v2 dst_sel:DWORD dst_unused:UNUSED_PAD src0_sel:DWORD src1_sel:BYTE_0
	ds_bpermute_b32 v1, v1, v2
	s_waitcnt lgkmcnt(0)
	v_max_u16_sdwa v1, v2, v1 dst_sel:DWORD dst_unused:UNUSED_PAD src0_sel:DWORD src1_sel:BYTE_0
	;; [unrolled: 3-line block ×6, first 2 shown]
.LBB1_10:
	s_or_b64 exec, exec, s[4:5]
	s_mov_b32 s3, 0
	v_cmp_eq_u32_e32 vcc, 0, v0
	s_and_saveexec_b64 s[4:5], vcc
	s_cbranch_execz .LBB1_12
; %bb.11:
	s_lshl_b64 s[2:3], s[2:3], 3
	s_add_u32 s0, s0, s2
	s_addc_u32 s1, s1, s3
	s_load_dwordx2 s[0:1], s[0:1], 0x8
	v_mov_b32_e32 v0, 0
	s_waitcnt lgkmcnt(0)
	global_store_byte v0, v7, s[0:1]
.LBB1_12:
	s_endpgm
	.section	.rodata,"a",@progbits
	.p2align	6, 0x0
	.amdhsa_kernel _ZN2at6native13lpmax_cleanupIhEEvPKT_NS0_19TensorListAddressesEi
		.amdhsa_group_segment_fixed_size 512
		.amdhsa_private_segment_fixed_size 0
		.amdhsa_kernarg_size 3472
		.amdhsa_user_sgpr_count 2
		.amdhsa_user_sgpr_dispatch_ptr 0
		.amdhsa_user_sgpr_queue_ptr 0
		.amdhsa_user_sgpr_kernarg_segment_ptr 1
		.amdhsa_user_sgpr_dispatch_id 0
		.amdhsa_user_sgpr_kernarg_preload_length 0
		.amdhsa_user_sgpr_kernarg_preload_offset 0
		.amdhsa_user_sgpr_private_segment_size 0
		.amdhsa_uses_dynamic_stack 0
		.amdhsa_enable_private_segment 0
		.amdhsa_system_sgpr_workgroup_id_x 1
		.amdhsa_system_sgpr_workgroup_id_y 0
		.amdhsa_system_sgpr_workgroup_id_z 0
		.amdhsa_system_sgpr_workgroup_info 0
		.amdhsa_system_vgpr_workitem_id 0
		.amdhsa_next_free_vgpr 11
		.amdhsa_next_free_sgpr 14
		.amdhsa_accum_offset 12
		.amdhsa_reserve_vcc 1
		.amdhsa_float_round_mode_32 0
		.amdhsa_float_round_mode_16_64 0
		.amdhsa_float_denorm_mode_32 3
		.amdhsa_float_denorm_mode_16_64 3
		.amdhsa_dx10_clamp 1
		.amdhsa_ieee_mode 1
		.amdhsa_fp16_overflow 0
		.amdhsa_tg_split 0
		.amdhsa_exception_fp_ieee_invalid_op 0
		.amdhsa_exception_fp_denorm_src 0
		.amdhsa_exception_fp_ieee_div_zero 0
		.amdhsa_exception_fp_ieee_overflow 0
		.amdhsa_exception_fp_ieee_underflow 0
		.amdhsa_exception_fp_ieee_inexact 0
		.amdhsa_exception_int_div_zero 0
	.end_amdhsa_kernel
	.section	.text._ZN2at6native13lpmax_cleanupIhEEvPKT_NS0_19TensorListAddressesEi,"axG",@progbits,_ZN2at6native13lpmax_cleanupIhEEvPKT_NS0_19TensorListAddressesEi,comdat
.Lfunc_end1:
	.size	_ZN2at6native13lpmax_cleanupIhEEvPKT_NS0_19TensorListAddressesEi, .Lfunc_end1-_ZN2at6native13lpmax_cleanupIhEEvPKT_NS0_19TensorListAddressesEi
                                        ; -- End function
	.set _ZN2at6native13lpmax_cleanupIhEEvPKT_NS0_19TensorListAddressesEi.num_vgpr, 11
	.set _ZN2at6native13lpmax_cleanupIhEEvPKT_NS0_19TensorListAddressesEi.num_agpr, 0
	.set _ZN2at6native13lpmax_cleanupIhEEvPKT_NS0_19TensorListAddressesEi.numbered_sgpr, 14
	.set _ZN2at6native13lpmax_cleanupIhEEvPKT_NS0_19TensorListAddressesEi.num_named_barrier, 0
	.set _ZN2at6native13lpmax_cleanupIhEEvPKT_NS0_19TensorListAddressesEi.private_seg_size, 0
	.set _ZN2at6native13lpmax_cleanupIhEEvPKT_NS0_19TensorListAddressesEi.uses_vcc, 1
	.set _ZN2at6native13lpmax_cleanupIhEEvPKT_NS0_19TensorListAddressesEi.uses_flat_scratch, 0
	.set _ZN2at6native13lpmax_cleanupIhEEvPKT_NS0_19TensorListAddressesEi.has_dyn_sized_stack, 0
	.set _ZN2at6native13lpmax_cleanupIhEEvPKT_NS0_19TensorListAddressesEi.has_recursion, 0
	.set _ZN2at6native13lpmax_cleanupIhEEvPKT_NS0_19TensorListAddressesEi.has_indirect_call, 0
	.section	.AMDGPU.csdata,"",@progbits
; Kernel info:
; codeLenInByte = 696
; TotalNumSgprs: 20
; NumVgprs: 11
; NumAgprs: 0
; TotalNumVgprs: 11
; ScratchSize: 0
; MemoryBound: 0
; FloatMode: 240
; IeeeMode: 1
; LDSByteSize: 512 bytes/workgroup (compile time only)
; SGPRBlocks: 2
; VGPRBlocks: 1
; NumSGPRsForWavesPerEU: 20
; NumVGPRsForWavesPerEU: 11
; AccumOffset: 12
; Occupancy: 8
; WaveLimiterHint : 0
; COMPUTE_PGM_RSRC2:SCRATCH_EN: 0
; COMPUTE_PGM_RSRC2:USER_SGPR: 2
; COMPUTE_PGM_RSRC2:TRAP_HANDLER: 0
; COMPUTE_PGM_RSRC2:TGID_X_EN: 1
; COMPUTE_PGM_RSRC2:TGID_Y_EN: 0
; COMPUTE_PGM_RSRC2:TGID_Z_EN: 0
; COMPUTE_PGM_RSRC2:TIDIG_COMP_CNT: 0
; COMPUTE_PGM_RSRC3_GFX90A:ACCUM_OFFSET: 2
; COMPUTE_PGM_RSRC3_GFX90A:TG_SPLIT: 0
	.section	.text._ZN2at6native12_GLOBAL__N_125multi_tensor_apply_kernelINS1_18TensorListMetadataILi1EEENS0_12LpMaxFunctorIaLi1ELi1ELi0EEEJPaiEEEvT_T0_DpT1_,"axG",@progbits,_ZN2at6native12_GLOBAL__N_125multi_tensor_apply_kernelINS1_18TensorListMetadataILi1EEENS0_12LpMaxFunctorIaLi1ELi1ELi0EEEJPaiEEEvT_T0_DpT1_,comdat
	.globl	_ZN2at6native12_GLOBAL__N_125multi_tensor_apply_kernelINS1_18TensorListMetadataILi1EEENS0_12LpMaxFunctorIaLi1ELi1ELi0EEEJPaiEEEvT_T0_DpT1_ ; -- Begin function _ZN2at6native12_GLOBAL__N_125multi_tensor_apply_kernelINS1_18TensorListMetadataILi1EEENS0_12LpMaxFunctorIaLi1ELi1ELi0EEEJPaiEEEvT_T0_DpT1_
	.p2align	8
	.type	_ZN2at6native12_GLOBAL__N_125multi_tensor_apply_kernelINS1_18TensorListMetadataILi1EEENS0_12LpMaxFunctorIaLi1ELi1ELi0EEEJPaiEEEvT_T0_DpT1_,@function
_ZN2at6native12_GLOBAL__N_125multi_tensor_apply_kernelINS1_18TensorListMetadataILi1EEENS0_12LpMaxFunctorIaLi1ELi1ELi0EEEJPaiEEEvT_T0_DpT1_: ; @_ZN2at6native12_GLOBAL__N_125multi_tensor_apply_kernelINS1_18TensorListMetadataILi1EEENS0_12LpMaxFunctorIaLi1ELi1ELi0EEEJPaiEEEvT_T0_DpT1_
; %bb.0:
	v_mov_b32_e32 v1, s2
	global_load_ubyte v1, v1, s[0:1] offset:1760
	s_add_u32 s3, s0, s2
	s_mul_hi_u32 s4, s2, 3
	s_mul_i32 s2, s2, 3
	s_addc_u32 s5, s1, 0
	s_add_u32 s2, s3, s2
	s_addc_u32 s3, s5, s4
	s_load_dword s4, s[2:3], 0x820
	s_waitcnt vmcnt(0)
	v_readfirstlane_b32 s2, v1
	s_and_b32 s16, s2, 0xff
	s_lshl_b32 s5, s16, 3
	s_load_dwordx2 s[6:7], s[0:1], s5 offset:0x0
	s_load_dwordx2 s[2:3], s[0:1], s5 offset:0x370
	s_waitcnt lgkmcnt(0)
	s_ashr_i32 s5, s4, 31
	s_lshl_b64 s[8:9], s[4:5], 16
	s_add_u32 s12, s6, s8
	s_addc_u32 s13, s7, s9
	s_sub_u32 s10, s2, s8
	s_subb_u32 s11, s3, s9
	s_or_b32 s2, s2, s12
	s_and_b32 s2, s2, 3
	s_cmp_eq_u32 s2, 0
	s_cbranch_scc1 .LBB2_12
; %bb.1:
	v_cmp_lt_i64_e64 s[2:3], s[10:11], 1
	s_and_b64 vcc, exec, s[2:3]
	s_cbranch_vccnz .LBB2_13
; %bb.2:
	s_load_dword s14, s[0:1], 0xd4c
	v_mov_b64_e32 v[2:3], 0x10000
	v_cmp_lt_i64_e32 vcc, s[10:11], v[2:3]
	s_and_b64 s[2:3], vcc, exec
	s_cselect_b32 s3, s11, 0
	s_cselect_b32 s2, s10, 0x10000
	s_waitcnt lgkmcnt(0)
	s_and_b32 s18, s14, 0xffff
	v_mad_u64_u32 v[6:7], s[14:15], s18, 3, v[0:1]
	s_mov_b32 s5, 0x10000
	v_mov_b32_e32 v3, 0
	s_lshl_b32 s17, s18, 2
	v_lshl_add_u32 v4, s18, 1, v0
	v_add_u32_e32 v8, s18, v0
	v_mov_b32_e32 v7, 0x80
	v_mov_b32_e32 v9, 0x80
	s_mov_b64 s[14:15], 0
	v_mov_b64_e32 v[10:11], s[2:3]
	v_mov_b32_e32 v1, 0x80
	v_mov_b32_e32 v12, 0x80
	s_branch .LBB2_4
.LBB2_3:                                ;   in Loop: Header=BB2_4 Depth=1
	s_or_b64 exec, exec, s[2:3]
	s_add_u32 s14, s14, s17
	s_addc_u32 s15, s15, 0
	v_cmp_lt_i64_e32 vcc, s[14:15], v[10:11]
	s_cbranch_vccz .LBB2_14
.LBB2_4:                                ; =>This Inner Loop Header: Depth=1
	v_add_u32_e32 v2, s14, v0
	v_cmp_gt_i64_e32 vcc, s[10:11], v[2:3]
	v_cmp_gt_u32_e64 s[2:3], s5, v2
	s_and_b64 s[18:19], s[2:3], vcc
	s_and_saveexec_b64 s[2:3], s[18:19]
	s_cbranch_execz .LBB2_6
; %bb.5:                                ;   in Loop: Header=BB2_4 Depth=1
	v_lshl_add_u64 v[14:15], s[12:13], 0, v[2:3]
	global_load_sbyte v2, v[14:15], off
	s_waitcnt vmcnt(0)
	v_max_i16_sdwa v9, sext(v9), v2 dst_sel:DWORD dst_unused:UNUSED_PAD src0_sel:BYTE_0 src1_sel:DWORD
.LBB2_6:                                ;   in Loop: Header=BB2_4 Depth=1
	s_or_b64 exec, exec, s[2:3]
	v_add_u32_e32 v2, s14, v8
	v_cmp_gt_i64_e32 vcc, s[10:11], v[2:3]
	v_cmp_gt_u32_e64 s[2:3], s5, v2
	s_and_b64 s[18:19], s[2:3], vcc
	s_and_saveexec_b64 s[2:3], s[18:19]
	s_cbranch_execz .LBB2_8
; %bb.7:                                ;   in Loop: Header=BB2_4 Depth=1
	v_lshl_add_u64 v[14:15], s[12:13], 0, v[2:3]
	global_load_sbyte v2, v[14:15], off
	s_waitcnt vmcnt(0)
	v_max_i16_sdwa v1, sext(v1), v2 dst_sel:DWORD dst_unused:UNUSED_PAD src0_sel:BYTE_0 src1_sel:DWORD
.LBB2_8:                                ;   in Loop: Header=BB2_4 Depth=1
	s_or_b64 exec, exec, s[2:3]
	v_add_u32_e32 v2, s14, v4
	v_cmp_gt_i64_e32 vcc, s[10:11], v[2:3]
	v_cmp_gt_u32_e64 s[2:3], s5, v2
	s_and_b64 s[18:19], s[2:3], vcc
	s_and_saveexec_b64 s[2:3], s[18:19]
	s_cbranch_execz .LBB2_10
; %bb.9:                                ;   in Loop: Header=BB2_4 Depth=1
	v_lshl_add_u64 v[14:15], s[12:13], 0, v[2:3]
	global_load_sbyte v2, v[14:15], off
	s_waitcnt vmcnt(0)
	v_max_i16_sdwa v12, sext(v12), v2 dst_sel:DWORD dst_unused:UNUSED_PAD src0_sel:BYTE_0 src1_sel:DWORD
.LBB2_10:                               ;   in Loop: Header=BB2_4 Depth=1
	s_or_b64 exec, exec, s[2:3]
	v_add_u32_e32 v2, s14, v6
	v_cmp_gt_i64_e32 vcc, s[10:11], v[2:3]
	v_cmp_gt_u32_e64 s[2:3], s5, v2
	s_and_b64 s[18:19], s[2:3], vcc
	s_and_saveexec_b64 s[2:3], s[18:19]
	s_cbranch_execz .LBB2_3
; %bb.11:                               ;   in Loop: Header=BB2_4 Depth=1
	v_lshl_add_u64 v[14:15], s[12:13], 0, v[2:3]
	global_load_sbyte v2, v[14:15], off
	s_waitcnt vmcnt(0)
	v_max_i16_sdwa v7, sext(v7), v2 dst_sel:DWORD dst_unused:UNUSED_PAD src0_sel:BYTE_0 src1_sel:DWORD
	s_branch .LBB2_3
.LBB2_12:
                                        ; implicit-def: $vgpr9
                                        ; implicit-def: $vgpr1
                                        ; implicit-def: $vgpr12
                                        ; implicit-def: $vgpr7
	s_branch .LBB2_15
.LBB2_13:
	v_mov_b32_e32 v7, 0x80
	v_mov_b32_e32 v9, 0x80
	;; [unrolled: 1-line block ×4, first 2 shown]
.LBB2_14:
	s_cbranch_execnz .LBB2_20
.LBB2_15:
	v_mov_b64_e32 v[4:5], 0x10000
	v_cmp_lt_i64_e32 vcc, s[10:11], v[4:5]
	s_and_b64 s[12:13], vcc, exec
	v_mov_b32_e32 v3, 0
	s_cselect_b32 s11, s11, 0
	s_cselect_b32 s10, s10, 0x10000
	v_lshlrev_b32_e32 v2, 2, v0
	s_mov_b32 s3, 0
	v_cmp_gt_i64_e32 vcc, s[10:11], v[2:3]
	v_mov_b32_e32 v7, 0x80
	v_mov_b32_e32 v9, 0x80
	;; [unrolled: 1-line block ×4, first 2 shown]
	s_and_saveexec_b64 s[12:13], vcc
	s_cbranch_execz .LBB2_19
; %bb.16:
	s_load_dword s2, s[0:1], 0xd4c
	v_mov_b32_e32 v1, v3
	s_mov_b32 s15, s3
	v_mov_b32_e32 v7, 0x80
	v_mov_b32_e32 v9, 0x80
	s_waitcnt lgkmcnt(0)
	s_and_b32 s2, s2, 0xffff
	s_add_u32 s6, s6, s8
	s_addc_u32 s7, s7, s9
	s_lshl_b32 s14, s2, 2
	v_lshl_add_u64 v[2:3], s[6:7], 0, v[2:3]
	s_mov_b64 s[6:7], 0
	s_movk_i32 s5, 0xff
	v_mov_b64_e32 v[4:5], v[0:1]
	v_mov_b32_e32 v1, 0x80
	v_mov_b32_e32 v12, 0x80
.LBB2_17:                               ; =>This Inner Loop Header: Depth=1
	global_load_dword v6, v[2:3], off
	v_lshl_add_u64 v[4:5], v[4:5], 0, s[2:3]
	v_lshlrev_b64 v[10:11], 2, v[4:5]
	v_cmp_le_i64_e32 vcc, s[10:11], v[10:11]
	v_lshl_add_u64 v[2:3], v[2:3], 0, s[14:15]
	s_or_b64 s[6:7], vcc, s[6:7]
	s_waitcnt vmcnt(0)
	v_lshrrev_b32_e32 v8, 16, v6
	v_max_i16_sdwa v9, sext(v9), sext(v6) dst_sel:DWORD dst_unused:UNUSED_PAD src0_sel:BYTE_0 src1_sel:BYTE_0
	v_max_i16_sdwa v1, sext(v1), sext(v6) dst_sel:BYTE_1 dst_unused:UNUSED_PAD src0_sel:BYTE_0 src1_sel:BYTE_1
	v_max_i16_sdwa v6, sext(v7), sext(v6) dst_sel:BYTE_1 dst_unused:UNUSED_PAD src0_sel:BYTE_0 src1_sel:BYTE_3
	v_max_i16_sdwa v7, sext(v12), sext(v8) dst_sel:DWORD dst_unused:UNUSED_PAD src0_sel:BYTE_0 src1_sel:BYTE_0
	v_bitop3_b16 v12, v7, v6, s5 bitop3:0xec
	v_lshlrev_b32_e32 v6, 16, v12
	v_bitop3_b16 v9, v9, v1, s5 bitop3:0xec
	v_or_b32_e32 v1, v1, v6
	v_lshrrev_b32_e32 v7, 24, v6
	v_lshrrev_b32_e32 v1, 8, v1
	s_andn2_b64 exec, exec, s[6:7]
	s_cbranch_execnz .LBB2_17
; %bb.18:
	s_or_b64 exec, exec, s[6:7]
.LBB2_19:
	s_or_b64 exec, exec, s[12:13]
.LBB2_20:
	v_bfe_i32 v2, v12, 0, 8
	v_bfe_i32 v3, v7, 0, 8
	v_max_i16_sdwa v1, sext(v9), sext(v1) dst_sel:DWORD dst_unused:UNUSED_PAD src0_sel:BYTE_0 src1_sel:BYTE_0
	v_max3_i16 v3, v1, v2, v3
	v_mbcnt_lo_u32_b32 v1, -1, 0
	v_mbcnt_hi_u32_b32 v7, -1, v1
	v_mov_b32_e32 v1, 0x80
	v_bfe_i32 v4, v3, 0, 16
	v_lshl_or_b32 v2, v7, 2, v1
	ds_bpermute_b32 v4, v2, v4
	v_and_b32_e32 v10, 63, v7
	v_cmp_gt_u32_e32 vcc, 48, v10
	s_waitcnt lgkmcnt(0)
	s_barrier
	v_max_i16_sdwa v4, v3, sext(v4) dst_sel:DWORD dst_unused:UNUSED_PAD src0_sel:DWORD src1_sel:BYTE_0
	v_cndmask_b32_e64 v3, 0, 16, vcc
	v_bfe_i32 v5, v4, 0, 16
	v_add_lshl_u32 v3, v3, v7, 2
	ds_bpermute_b32 v5, v3, v5
	v_cmp_gt_u32_e32 vcc, 56, v10
	s_waitcnt lgkmcnt(0)
	v_max_i16_sdwa v5, v4, sext(v5) dst_sel:DWORD dst_unused:UNUSED_PAD src0_sel:DWORD src1_sel:BYTE_0
	v_cndmask_b32_e64 v4, 0, 8, vcc
	v_bfe_i32 v6, v5, 0, 16
	v_add_lshl_u32 v4, v4, v7, 2
	ds_bpermute_b32 v6, v4, v6
	v_cmp_gt_u32_e32 vcc, 60, v10
	s_waitcnt lgkmcnt(0)
	;; [unrolled: 7-line block ×3, first 2 shown]
	v_max_i16_sdwa v9, v6, sext(v8) dst_sel:DWORD dst_unused:UNUSED_PAD src0_sel:DWORD src1_sel:BYTE_0
	v_cndmask_b32_e64 v6, 0, 2, vcc
	v_bfe_i32 v8, v9, 0, 16
	v_add_lshl_u32 v6, v6, v7, 2
	ds_bpermute_b32 v11, v6, v8
	v_cmp_ne_u32_e32 vcc, 63, v10
	v_and_b32_e32 v8, 63, v0
	s_waitcnt lgkmcnt(0)
	v_max_i16_sdwa v9, v9, sext(v11) dst_sel:DWORD dst_unused:UNUSED_PAD src0_sel:DWORD src1_sel:BYTE_0
	v_addc_co_u32_e32 v7, vcc, 0, v7, vcc
	v_bfe_i32 v11, v9, 0, 16
	v_lshlrev_b32_e32 v7, 2, v7
	ds_bpermute_b32 v10, v7, v11
	v_cmp_eq_u32_e32 vcc, 0, v8
	s_and_saveexec_b64 s[2:3], vcc
	s_cbranch_execz .LBB2_22
; %bb.21:
	v_lshrrev_b32_e32 v11, 6, v0
	s_waitcnt lgkmcnt(0)
	v_max_i16_sdwa v9, sext(v9), sext(v10) dst_sel:DWORD dst_unused:UNUSED_PAD src0_sel:BYTE_0 src1_sel:BYTE_0
	ds_write_b8 v11, v9
.LBB2_22:
	s_or_b64 exec, exec, s[2:3]
	s_waitcnt lgkmcnt(0)
	s_barrier
	s_load_dword s2, s[0:1], 0xd4c
	s_waitcnt lgkmcnt(0)
	s_bfe_u32 s2, s2, 0xa0006
	v_cmp_gt_u32_e32 vcc, s2, v0
	s_and_saveexec_b64 s[2:3], vcc
	s_cbranch_execnz .LBB2_26
; %bb.23:
	s_or_b64 exec, exec, s[2:3]
	v_cmp_gt_u32_e32 vcc, 64, v0
	s_and_saveexec_b64 s[2:3], vcc
	s_cbranch_execnz .LBB2_27
.LBB2_24:
	s_or_b64 exec, exec, s[2:3]
	v_cmp_eq_u32_e32 vcc, 0, v0
	s_and_saveexec_b64 s[2:3], vcc
	s_cbranch_execnz .LBB2_28
.LBB2_25:
	s_endpgm
.LBB2_26:
	ds_read_u8 v1, v8
	s_or_b64 exec, exec, s[2:3]
	v_cmp_gt_u32_e32 vcc, 64, v0
	s_and_saveexec_b64 s[2:3], vcc
	s_cbranch_execz .LBB2_24
.LBB2_27:
	s_waitcnt lgkmcnt(0)
	v_bfe_i32 v1, v1, 0, 8
	ds_bpermute_b32 v2, v2, v1
	s_waitcnt lgkmcnt(0)
	v_max_i16_sdwa v1, v1, sext(v2) dst_sel:DWORD dst_unused:UNUSED_PAD src0_sel:DWORD src1_sel:BYTE_0
	v_bfe_i32 v2, v1, 0, 16
	ds_bpermute_b32 v2, v3, v2
	s_waitcnt lgkmcnt(0)
	v_max_i16_sdwa v1, v1, sext(v2) dst_sel:DWORD dst_unused:UNUSED_PAD src0_sel:DWORD src1_sel:BYTE_0
	;; [unrolled: 4-line block ×6, first 2 shown]
	s_or_b64 exec, exec, s[2:3]
	v_cmp_eq_u32_e32 vcc, 0, v0
	s_and_saveexec_b64 s[2:3], vcc
	s_cbranch_execz .LBB2_25
.LBB2_28:
	s_load_dword s5, s[0:1], 0xd20
	s_load_dword s6, s[0:1], 0xd38
	s_load_dwordx2 s[2:3], s[0:1], 0xd30
	v_mov_b32_e32 v0, 0
	s_waitcnt lgkmcnt(0)
	s_add_i32 s0, s5, s16
	s_mul_i32 s0, s0, s6
	s_add_i32 s0, s0, s4
	s_ashr_i32 s1, s0, 31
	s_add_u32 s0, s2, s0
	s_addc_u32 s1, s3, s1
	global_store_byte v0, v1, s[0:1]
	s_endpgm
	.section	.rodata,"a",@progbits
	.p2align	6, 0x0
	.amdhsa_kernel _ZN2at6native12_GLOBAL__N_125multi_tensor_apply_kernelINS1_18TensorListMetadataILi1EEENS0_12LpMaxFunctorIaLi1ELi1ELi0EEEJPaiEEEvT_T0_DpT1_
		.amdhsa_group_segment_fixed_size 512
		.amdhsa_private_segment_fixed_size 0
		.amdhsa_kernarg_size 3648
		.amdhsa_user_sgpr_count 2
		.amdhsa_user_sgpr_dispatch_ptr 0
		.amdhsa_user_sgpr_queue_ptr 0
		.amdhsa_user_sgpr_kernarg_segment_ptr 1
		.amdhsa_user_sgpr_dispatch_id 0
		.amdhsa_user_sgpr_kernarg_preload_length 0
		.amdhsa_user_sgpr_kernarg_preload_offset 0
		.amdhsa_user_sgpr_private_segment_size 0
		.amdhsa_uses_dynamic_stack 0
		.amdhsa_enable_private_segment 0
		.amdhsa_system_sgpr_workgroup_id_x 1
		.amdhsa_system_sgpr_workgroup_id_y 0
		.amdhsa_system_sgpr_workgroup_id_z 0
		.amdhsa_system_sgpr_workgroup_info 0
		.amdhsa_system_vgpr_workitem_id 0
		.amdhsa_next_free_vgpr 16
		.amdhsa_next_free_sgpr 20
		.amdhsa_accum_offset 16
		.amdhsa_reserve_vcc 1
		.amdhsa_float_round_mode_32 0
		.amdhsa_float_round_mode_16_64 0
		.amdhsa_float_denorm_mode_32 3
		.amdhsa_float_denorm_mode_16_64 3
		.amdhsa_dx10_clamp 1
		.amdhsa_ieee_mode 1
		.amdhsa_fp16_overflow 0
		.amdhsa_tg_split 0
		.amdhsa_exception_fp_ieee_invalid_op 0
		.amdhsa_exception_fp_denorm_src 0
		.amdhsa_exception_fp_ieee_div_zero 0
		.amdhsa_exception_fp_ieee_overflow 0
		.amdhsa_exception_fp_ieee_underflow 0
		.amdhsa_exception_fp_ieee_inexact 0
		.amdhsa_exception_int_div_zero 0
	.end_amdhsa_kernel
	.section	.text._ZN2at6native12_GLOBAL__N_125multi_tensor_apply_kernelINS1_18TensorListMetadataILi1EEENS0_12LpMaxFunctorIaLi1ELi1ELi0EEEJPaiEEEvT_T0_DpT1_,"axG",@progbits,_ZN2at6native12_GLOBAL__N_125multi_tensor_apply_kernelINS1_18TensorListMetadataILi1EEENS0_12LpMaxFunctorIaLi1ELi1ELi0EEEJPaiEEEvT_T0_DpT1_,comdat
.Lfunc_end2:
	.size	_ZN2at6native12_GLOBAL__N_125multi_tensor_apply_kernelINS1_18TensorListMetadataILi1EEENS0_12LpMaxFunctorIaLi1ELi1ELi0EEEJPaiEEEvT_T0_DpT1_, .Lfunc_end2-_ZN2at6native12_GLOBAL__N_125multi_tensor_apply_kernelINS1_18TensorListMetadataILi1EEENS0_12LpMaxFunctorIaLi1ELi1ELi0EEEJPaiEEEvT_T0_DpT1_
                                        ; -- End function
	.set _ZN2at6native12_GLOBAL__N_125multi_tensor_apply_kernelINS1_18TensorListMetadataILi1EEENS0_12LpMaxFunctorIaLi1ELi1ELi0EEEJPaiEEEvT_T0_DpT1_.num_vgpr, 16
	.set _ZN2at6native12_GLOBAL__N_125multi_tensor_apply_kernelINS1_18TensorListMetadataILi1EEENS0_12LpMaxFunctorIaLi1ELi1ELi0EEEJPaiEEEvT_T0_DpT1_.num_agpr, 0
	.set _ZN2at6native12_GLOBAL__N_125multi_tensor_apply_kernelINS1_18TensorListMetadataILi1EEENS0_12LpMaxFunctorIaLi1ELi1ELi0EEEJPaiEEEvT_T0_DpT1_.numbered_sgpr, 20
	.set _ZN2at6native12_GLOBAL__N_125multi_tensor_apply_kernelINS1_18TensorListMetadataILi1EEENS0_12LpMaxFunctorIaLi1ELi1ELi0EEEJPaiEEEvT_T0_DpT1_.num_named_barrier, 0
	.set _ZN2at6native12_GLOBAL__N_125multi_tensor_apply_kernelINS1_18TensorListMetadataILi1EEENS0_12LpMaxFunctorIaLi1ELi1ELi0EEEJPaiEEEvT_T0_DpT1_.private_seg_size, 0
	.set _ZN2at6native12_GLOBAL__N_125multi_tensor_apply_kernelINS1_18TensorListMetadataILi1EEENS0_12LpMaxFunctorIaLi1ELi1ELi0EEEJPaiEEEvT_T0_DpT1_.uses_vcc, 1
	.set _ZN2at6native12_GLOBAL__N_125multi_tensor_apply_kernelINS1_18TensorListMetadataILi1EEENS0_12LpMaxFunctorIaLi1ELi1ELi0EEEJPaiEEEvT_T0_DpT1_.uses_flat_scratch, 0
	.set _ZN2at6native12_GLOBAL__N_125multi_tensor_apply_kernelINS1_18TensorListMetadataILi1EEENS0_12LpMaxFunctorIaLi1ELi1ELi0EEEJPaiEEEvT_T0_DpT1_.has_dyn_sized_stack, 0
	.set _ZN2at6native12_GLOBAL__N_125multi_tensor_apply_kernelINS1_18TensorListMetadataILi1EEENS0_12LpMaxFunctorIaLi1ELi1ELi0EEEJPaiEEEvT_T0_DpT1_.has_recursion, 0
	.set _ZN2at6native12_GLOBAL__N_125multi_tensor_apply_kernelINS1_18TensorListMetadataILi1EEENS0_12LpMaxFunctorIaLi1ELi1ELi0EEEJPaiEEEvT_T0_DpT1_.has_indirect_call, 0
	.section	.AMDGPU.csdata,"",@progbits
; Kernel info:
; codeLenInByte = 1592
; TotalNumSgprs: 26
; NumVgprs: 16
; NumAgprs: 0
; TotalNumVgprs: 16
; ScratchSize: 0
; MemoryBound: 0
; FloatMode: 240
; IeeeMode: 1
; LDSByteSize: 512 bytes/workgroup (compile time only)
; SGPRBlocks: 3
; VGPRBlocks: 1
; NumSGPRsForWavesPerEU: 26
; NumVGPRsForWavesPerEU: 16
; AccumOffset: 16
; Occupancy: 8
; WaveLimiterHint : 0
; COMPUTE_PGM_RSRC2:SCRATCH_EN: 0
; COMPUTE_PGM_RSRC2:USER_SGPR: 2
; COMPUTE_PGM_RSRC2:TRAP_HANDLER: 0
; COMPUTE_PGM_RSRC2:TGID_X_EN: 1
; COMPUTE_PGM_RSRC2:TGID_Y_EN: 0
; COMPUTE_PGM_RSRC2:TGID_Z_EN: 0
; COMPUTE_PGM_RSRC2:TIDIG_COMP_CNT: 0
; COMPUTE_PGM_RSRC3_GFX90A:ACCUM_OFFSET: 3
; COMPUTE_PGM_RSRC3_GFX90A:TG_SPLIT: 0
	.section	.text._ZN2at6native13lpmax_cleanupIaEEvPKT_NS0_19TensorListAddressesEi,"axG",@progbits,_ZN2at6native13lpmax_cleanupIaEEvPKT_NS0_19TensorListAddressesEi,comdat
	.protected	_ZN2at6native13lpmax_cleanupIaEEvPKT_NS0_19TensorListAddressesEi ; -- Begin function _ZN2at6native13lpmax_cleanupIaEEvPKT_NS0_19TensorListAddressesEi
	.globl	_ZN2at6native13lpmax_cleanupIaEEvPKT_NS0_19TensorListAddressesEi
	.p2align	8
	.type	_ZN2at6native13lpmax_cleanupIaEEvPKT_NS0_19TensorListAddressesEi,@function
_ZN2at6native13lpmax_cleanupIaEEvPKT_NS0_19TensorListAddressesEi: ; @_ZN2at6native13lpmax_cleanupIaEEvPKT_NS0_19TensorListAddressesEi
; %bb.0:
	s_load_dword s6, s[0:1], 0xc88
	v_mov_b32_e32 v4, 0x80
	s_waitcnt lgkmcnt(0)
	v_cmp_gt_u32_e32 vcc, s6, v0
	s_and_saveexec_b64 s[4:5], vcc
	s_cbranch_execz .LBB3_4
; %bb.1:
	s_load_dwordx2 s[10:11], s[0:1], 0x0
	s_load_dword s8, s[0:1], 0xc9c
	s_mul_i32 s3, s6, s2
	v_mov_b32_e32 v1, 0
	s_mov_b32 s9, 0
	s_waitcnt lgkmcnt(0)
	s_add_u32 s10, s10, s3
	s_addc_u32 s11, s11, 0
	s_ashr_i32 s7, s6, 31
	s_and_b32 s8, s8, 0xffff
	v_mov_b32_e32 v4, 0x80
	s_mov_b64 s[12:13], 0
	v_mov_b64_e32 v[2:3], v[0:1]
.LBB3_2:                                ; =>This Inner Loop Header: Depth=1
	v_lshl_add_u64 v[6:7], s[10:11], 0, v[2:3]
	global_load_sbyte v1, v[6:7], off
	v_lshl_add_u64 v[2:3], v[2:3], 0, s[8:9]
	v_cmp_le_u64_e32 vcc, s[6:7], v[2:3]
	s_or_b64 s[12:13], vcc, s[12:13]
	s_waitcnt vmcnt(0)
	v_max_i16_sdwa v4, sext(v4), v1 dst_sel:DWORD dst_unused:UNUSED_PAD src0_sel:BYTE_0 src1_sel:DWORD
	s_andn2_b64 exec, exec, s[12:13]
	s_cbranch_execnz .LBB3_2
; %bb.3:
	s_or_b64 exec, exec, s[12:13]
.LBB3_4:
	s_or_b64 exec, exec, s[4:5]
	v_mbcnt_lo_u32_b32 v1, -1, 0
	v_mbcnt_hi_u32_b32 v7, -1, v1
	v_mov_b32_e32 v1, 0x80
	v_bfe_i32 v3, v4, 0, 8
	v_lshl_or_b32 v2, v7, 2, v1
	ds_bpermute_b32 v4, v2, v3
	v_and_b32_e32 v9, 63, v7
	v_cmp_gt_u32_e32 vcc, 48, v9
	s_waitcnt lgkmcnt(0)
	s_barrier
	v_max_i16_sdwa v4, v3, sext(v4) dst_sel:DWORD dst_unused:UNUSED_PAD src0_sel:DWORD src1_sel:BYTE_0
	v_cndmask_b32_e64 v3, 0, 16, vcc
	v_bfe_i32 v5, v4, 0, 16
	v_add_lshl_u32 v3, v3, v7, 2
	ds_bpermute_b32 v5, v3, v5
	v_cmp_gt_u32_e32 vcc, 56, v9
	s_waitcnt lgkmcnt(0)
	v_max_i16_sdwa v8, v4, sext(v5) dst_sel:DWORD dst_unused:UNUSED_PAD src0_sel:DWORD src1_sel:BYTE_0
	v_cndmask_b32_e64 v6, 0, 8, vcc
	v_bfe_i32 v5, v8, 0, 16
	v_add_lshl_u32 v4, v6, v7, 2
	ds_bpermute_b32 v6, v4, v5
	v_cmp_gt_u32_e32 vcc, 60, v9
	s_waitcnt lgkmcnt(0)
	v_max_i16_sdwa v8, v8, sext(v6) dst_sel:DWORD dst_unused:UNUSED_PAD src0_sel:DWORD src1_sel:BYTE_0
	v_cndmask_b32_e64 v5, 0, 4, vcc
	v_add_lshl_u32 v5, v5, v7, 2
	v_bfe_i32 v6, v8, 0, 16
	ds_bpermute_b32 v10, v5, v6
	v_cmp_gt_u32_e32 vcc, 62, v9
	s_waitcnt lgkmcnt(0)
	v_max_i16_sdwa v10, v8, sext(v10) dst_sel:DWORD dst_unused:UNUSED_PAD src0_sel:DWORD src1_sel:BYTE_0
	v_cndmask_b32_e64 v6, 0, 2, vcc
	v_add_lshl_u32 v6, v6, v7, 2
	v_bfe_i32 v8, v10, 0, 16
	ds_bpermute_b32 v11, v6, v8
	v_cmp_ne_u32_e32 vcc, 63, v9
	v_and_b32_e32 v8, 63, v0
	s_waitcnt lgkmcnt(0)
	v_max_i16_sdwa v9, v10, sext(v11) dst_sel:DWORD dst_unused:UNUSED_PAD src0_sel:DWORD src1_sel:BYTE_0
	v_addc_co_u32_e32 v7, vcc, 0, v7, vcc
	v_bfe_i32 v10, v9, 0, 16
	v_lshlrev_b32_e32 v7, 2, v7
	ds_bpermute_b32 v10, v7, v10
	v_cmp_eq_u32_e32 vcc, 0, v8
	s_and_saveexec_b64 s[4:5], vcc
	s_cbranch_execz .LBB3_6
; %bb.5:
	s_waitcnt lgkmcnt(0)
	v_max_i16_sdwa v9, v9, sext(v10) dst_sel:DWORD dst_unused:UNUSED_PAD src0_sel:DWORD src1_sel:BYTE_0
	v_lshrrev_b32_e32 v10, 6, v0
	ds_write_b8 v10, v9
.LBB3_6:
	s_or_b64 exec, exec, s[4:5]
	s_waitcnt lgkmcnt(0)
	s_barrier
	s_load_dword s3, s[0:1], 0xc9c
	s_waitcnt lgkmcnt(0)
	s_bfe_u32 s3, s3, 0xa0006
	v_cmp_gt_u32_e32 vcc, s3, v0
	s_and_saveexec_b64 s[4:5], vcc
; %bb.7:
	ds_read_u8 v1, v8
; %bb.8:
	s_or_b64 exec, exec, s[4:5]
	v_cmp_gt_u32_e32 vcc, 64, v0
	s_and_saveexec_b64 s[4:5], vcc
	s_cbranch_execz .LBB3_10
; %bb.9:
	s_waitcnt lgkmcnt(0)
	v_bfe_i32 v1, v1, 0, 8
	ds_bpermute_b32 v2, v2, v1
	s_waitcnt lgkmcnt(0)
	v_max_i16_sdwa v1, v1, sext(v2) dst_sel:DWORD dst_unused:UNUSED_PAD src0_sel:DWORD src1_sel:BYTE_0
	v_bfe_i32 v2, v1, 0, 16
	ds_bpermute_b32 v2, v3, v2
	s_waitcnt lgkmcnt(0)
	v_max_i16_sdwa v1, v1, sext(v2) dst_sel:DWORD dst_unused:UNUSED_PAD src0_sel:DWORD src1_sel:BYTE_0
	;; [unrolled: 4-line block ×6, first 2 shown]
.LBB3_10:
	s_or_b64 exec, exec, s[4:5]
	s_mov_b32 s3, 0
	v_cmp_eq_u32_e32 vcc, 0, v0
	s_and_saveexec_b64 s[4:5], vcc
	s_cbranch_execz .LBB3_12
; %bb.11:
	s_lshl_b64 s[2:3], s[2:3], 3
	s_add_u32 s0, s0, s2
	s_addc_u32 s1, s1, s3
	s_load_dwordx2 s[0:1], s[0:1], 0x8
	v_mov_b32_e32 v0, 0
	s_waitcnt lgkmcnt(0)
	global_store_byte v0, v1, s[0:1]
.LBB3_12:
	s_endpgm
	.section	.rodata,"a",@progbits
	.p2align	6, 0x0
	.amdhsa_kernel _ZN2at6native13lpmax_cleanupIaEEvPKT_NS0_19TensorListAddressesEi
		.amdhsa_group_segment_fixed_size 512
		.amdhsa_private_segment_fixed_size 0
		.amdhsa_kernarg_size 3472
		.amdhsa_user_sgpr_count 2
		.amdhsa_user_sgpr_dispatch_ptr 0
		.amdhsa_user_sgpr_queue_ptr 0
		.amdhsa_user_sgpr_kernarg_segment_ptr 1
		.amdhsa_user_sgpr_dispatch_id 0
		.amdhsa_user_sgpr_kernarg_preload_length 0
		.amdhsa_user_sgpr_kernarg_preload_offset 0
		.amdhsa_user_sgpr_private_segment_size 0
		.amdhsa_uses_dynamic_stack 0
		.amdhsa_enable_private_segment 0
		.amdhsa_system_sgpr_workgroup_id_x 1
		.amdhsa_system_sgpr_workgroup_id_y 0
		.amdhsa_system_sgpr_workgroup_id_z 0
		.amdhsa_system_sgpr_workgroup_info 0
		.amdhsa_system_vgpr_workitem_id 0
		.amdhsa_next_free_vgpr 12
		.amdhsa_next_free_sgpr 14
		.amdhsa_accum_offset 12
		.amdhsa_reserve_vcc 1
		.amdhsa_float_round_mode_32 0
		.amdhsa_float_round_mode_16_64 0
		.amdhsa_float_denorm_mode_32 3
		.amdhsa_float_denorm_mode_16_64 3
		.amdhsa_dx10_clamp 1
		.amdhsa_ieee_mode 1
		.amdhsa_fp16_overflow 0
		.amdhsa_tg_split 0
		.amdhsa_exception_fp_ieee_invalid_op 0
		.amdhsa_exception_fp_denorm_src 0
		.amdhsa_exception_fp_ieee_div_zero 0
		.amdhsa_exception_fp_ieee_overflow 0
		.amdhsa_exception_fp_ieee_underflow 0
		.amdhsa_exception_fp_ieee_inexact 0
		.amdhsa_exception_int_div_zero 0
	.end_amdhsa_kernel
	.section	.text._ZN2at6native13lpmax_cleanupIaEEvPKT_NS0_19TensorListAddressesEi,"axG",@progbits,_ZN2at6native13lpmax_cleanupIaEEvPKT_NS0_19TensorListAddressesEi,comdat
.Lfunc_end3:
	.size	_ZN2at6native13lpmax_cleanupIaEEvPKT_NS0_19TensorListAddressesEi, .Lfunc_end3-_ZN2at6native13lpmax_cleanupIaEEvPKT_NS0_19TensorListAddressesEi
                                        ; -- End function
	.set _ZN2at6native13lpmax_cleanupIaEEvPKT_NS0_19TensorListAddressesEi.num_vgpr, 12
	.set _ZN2at6native13lpmax_cleanupIaEEvPKT_NS0_19TensorListAddressesEi.num_agpr, 0
	.set _ZN2at6native13lpmax_cleanupIaEEvPKT_NS0_19TensorListAddressesEi.numbered_sgpr, 14
	.set _ZN2at6native13lpmax_cleanupIaEEvPKT_NS0_19TensorListAddressesEi.num_named_barrier, 0
	.set _ZN2at6native13lpmax_cleanupIaEEvPKT_NS0_19TensorListAddressesEi.private_seg_size, 0
	.set _ZN2at6native13lpmax_cleanupIaEEvPKT_NS0_19TensorListAddressesEi.uses_vcc, 1
	.set _ZN2at6native13lpmax_cleanupIaEEvPKT_NS0_19TensorListAddressesEi.uses_flat_scratch, 0
	.set _ZN2at6native13lpmax_cleanupIaEEvPKT_NS0_19TensorListAddressesEi.has_dyn_sized_stack, 0
	.set _ZN2at6native13lpmax_cleanupIaEEvPKT_NS0_19TensorListAddressesEi.has_recursion, 0
	.set _ZN2at6native13lpmax_cleanupIaEEvPKT_NS0_19TensorListAddressesEi.has_indirect_call, 0
	.section	.AMDGPU.csdata,"",@progbits
; Kernel info:
; codeLenInByte = 784
; TotalNumSgprs: 20
; NumVgprs: 12
; NumAgprs: 0
; TotalNumVgprs: 12
; ScratchSize: 0
; MemoryBound: 0
; FloatMode: 240
; IeeeMode: 1
; LDSByteSize: 512 bytes/workgroup (compile time only)
; SGPRBlocks: 2
; VGPRBlocks: 1
; NumSGPRsForWavesPerEU: 20
; NumVGPRsForWavesPerEU: 12
; AccumOffset: 12
; Occupancy: 8
; WaveLimiterHint : 0
; COMPUTE_PGM_RSRC2:SCRATCH_EN: 0
; COMPUTE_PGM_RSRC2:USER_SGPR: 2
; COMPUTE_PGM_RSRC2:TRAP_HANDLER: 0
; COMPUTE_PGM_RSRC2:TGID_X_EN: 1
; COMPUTE_PGM_RSRC2:TGID_Y_EN: 0
; COMPUTE_PGM_RSRC2:TGID_Z_EN: 0
; COMPUTE_PGM_RSRC2:TIDIG_COMP_CNT: 0
; COMPUTE_PGM_RSRC3_GFX90A:ACCUM_OFFSET: 2
; COMPUTE_PGM_RSRC3_GFX90A:TG_SPLIT: 0
	.section	.text._ZN2at6native12_GLOBAL__N_125multi_tensor_apply_kernelINS1_18TensorListMetadataILi1EEENS0_12LpMaxFunctorIiLi1ELi1ELi0EEEJPiiEEEvT_T0_DpT1_,"axG",@progbits,_ZN2at6native12_GLOBAL__N_125multi_tensor_apply_kernelINS1_18TensorListMetadataILi1EEENS0_12LpMaxFunctorIiLi1ELi1ELi0EEEJPiiEEEvT_T0_DpT1_,comdat
	.globl	_ZN2at6native12_GLOBAL__N_125multi_tensor_apply_kernelINS1_18TensorListMetadataILi1EEENS0_12LpMaxFunctorIiLi1ELi1ELi0EEEJPiiEEEvT_T0_DpT1_ ; -- Begin function _ZN2at6native12_GLOBAL__N_125multi_tensor_apply_kernelINS1_18TensorListMetadataILi1EEENS0_12LpMaxFunctorIiLi1ELi1ELi0EEEJPiiEEEvT_T0_DpT1_
	.p2align	8
	.type	_ZN2at6native12_GLOBAL__N_125multi_tensor_apply_kernelINS1_18TensorListMetadataILi1EEENS0_12LpMaxFunctorIiLi1ELi1ELi0EEEJPiiEEEvT_T0_DpT1_,@function
_ZN2at6native12_GLOBAL__N_125multi_tensor_apply_kernelINS1_18TensorListMetadataILi1EEENS0_12LpMaxFunctorIiLi1ELi1ELi0EEEJPiiEEEvT_T0_DpT1_: ; @_ZN2at6native12_GLOBAL__N_125multi_tensor_apply_kernelINS1_18TensorListMetadataILi1EEENS0_12LpMaxFunctorIiLi1ELi1ELi0EEEJPiiEEEvT_T0_DpT1_
; %bb.0:
	v_mov_b32_e32 v1, s2
	global_load_ubyte v1, v1, s[0:1] offset:1760
	s_add_u32 s3, s0, s2
	s_mul_hi_u32 s4, s2, 3
	s_mul_i32 s2, s2, 3
	s_addc_u32 s5, s1, 0
	s_add_u32 s2, s3, s2
	s_addc_u32 s3, s5, s4
	s_load_dword s4, s[2:3], 0x820
	s_mov_b32 s15, 0
	s_waitcnt vmcnt(0)
	v_readfirstlane_b32 s2, v1
	s_and_b32 s16, s2, 0xff
	s_lshl_b32 s5, s16, 3
	s_load_dwordx2 s[2:3], s[0:1], s5 offset:0x370
	s_load_dwordx2 s[6:7], s[0:1], s5 offset:0x0
	s_waitcnt lgkmcnt(0)
	s_ashr_i32 s5, s4, 31
	s_lshl_b64 s[10:11], s[4:5], 16
	s_lshl_b64 s[8:9], s[4:5], 18
	s_add_u32 s12, s6, s8
	s_addc_u32 s13, s7, s9
	s_sub_u32 s10, s2, s10
	s_subb_u32 s11, s3, s11
	s_and_b32 s14, s2, 3
	s_and_b32 s2, s12, 15
	s_mov_b32 s3, s15
	s_or_b64 s[2:3], s[14:15], s[2:3]
	s_cmp_eq_u64 s[2:3], 0
	s_cbranch_scc1 .LBB4_12
; %bb.1:
	v_cmp_lt_i64_e64 s[2:3], s[10:11], 1
	s_and_b64 vcc, exec, s[2:3]
	s_cbranch_vccnz .LBB4_13
; %bb.2:
	s_load_dword s14, s[0:1], 0xd4c
	v_mov_b64_e32 v[2:3], 0x10000
	v_cmp_lt_i64_e32 vcc, s[10:11], v[2:3]
	s_and_b64 s[2:3], vcc, exec
	s_cselect_b32 s3, s11, 0
	s_cselect_b32 s2, s10, 0x10000
	s_waitcnt lgkmcnt(0)
	s_and_b32 s18, s14, 0xffff
	v_mad_u64_u32 v[10:11], s[14:15], s18, 3, v[0:1]
	v_bfrev_b32_e32 v2, 1
	s_mov_b32 s5, 0x10000
	v_mov_b32_e32 v7, 0
	s_lshl_b32 s17, s18, 2
	v_lshl_add_u32 v8, s18, 1, v0
	v_add_u32_e32 v12, s18, v0
	v_mov_b32_e32 v3, v2
	v_mov_b32_e32 v4, v2
	;; [unrolled: 1-line block ×3, first 2 shown]
	s_mov_b64 s[14:15], 0
	v_mov_b64_e32 v[14:15], s[2:3]
	s_branch .LBB4_4
.LBB4_3:                                ;   in Loop: Header=BB4_4 Depth=1
	s_or_b64 exec, exec, s[2:3]
	s_add_u32 s14, s14, s17
	s_addc_u32 s15, s15, 0
	v_cmp_lt_i64_e32 vcc, s[14:15], v[14:15]
	s_cbranch_vccz .LBB4_14
.LBB4_4:                                ; =>This Inner Loop Header: Depth=1
	v_add_u32_e32 v6, s14, v0
	v_cmp_gt_i64_e32 vcc, s[10:11], v[6:7]
	v_cmp_gt_u32_e64 s[2:3], s5, v6
	s_and_b64 s[18:19], s[2:3], vcc
	s_and_saveexec_b64 s[2:3], s[18:19]
	s_cbranch_execz .LBB4_6
; %bb.5:                                ;   in Loop: Header=BB4_4 Depth=1
	v_lshl_add_u64 v[16:17], v[6:7], 2, s[12:13]
	global_load_dword v1, v[16:17], off
	s_waitcnt vmcnt(0)
	v_max_i32_e32 v2, v2, v1
.LBB4_6:                                ;   in Loop: Header=BB4_4 Depth=1
	s_or_b64 exec, exec, s[2:3]
	v_add_u32_e32 v6, s14, v12
	v_cmp_gt_i64_e32 vcc, s[10:11], v[6:7]
	v_cmp_gt_u32_e64 s[2:3], s5, v6
	s_and_b64 s[18:19], s[2:3], vcc
	s_and_saveexec_b64 s[2:3], s[18:19]
	s_cbranch_execz .LBB4_8
; %bb.7:                                ;   in Loop: Header=BB4_4 Depth=1
	v_lshl_add_u64 v[16:17], v[6:7], 2, s[12:13]
	global_load_dword v1, v[16:17], off
	s_waitcnt vmcnt(0)
	v_max_i32_e32 v3, v3, v1
.LBB4_8:                                ;   in Loop: Header=BB4_4 Depth=1
	s_or_b64 exec, exec, s[2:3]
	v_add_u32_e32 v6, s14, v8
	v_cmp_gt_i64_e32 vcc, s[10:11], v[6:7]
	v_cmp_gt_u32_e64 s[2:3], s5, v6
	s_and_b64 s[18:19], s[2:3], vcc
	s_and_saveexec_b64 s[2:3], s[18:19]
	s_cbranch_execz .LBB4_10
; %bb.9:                                ;   in Loop: Header=BB4_4 Depth=1
	v_lshl_add_u64 v[16:17], v[6:7], 2, s[12:13]
	global_load_dword v1, v[16:17], off
	s_waitcnt vmcnt(0)
	v_max_i32_e32 v4, v4, v1
.LBB4_10:                               ;   in Loop: Header=BB4_4 Depth=1
	s_or_b64 exec, exec, s[2:3]
	v_add_u32_e32 v6, s14, v10
	v_cmp_gt_i64_e32 vcc, s[10:11], v[6:7]
	v_cmp_gt_u32_e64 s[2:3], s5, v6
	s_and_b64 s[18:19], s[2:3], vcc
	s_and_saveexec_b64 s[2:3], s[18:19]
	s_cbranch_execz .LBB4_3
; %bb.11:                               ;   in Loop: Header=BB4_4 Depth=1
	v_lshl_add_u64 v[16:17], v[6:7], 2, s[12:13]
	global_load_dword v1, v[16:17], off
	s_waitcnt vmcnt(0)
	v_max_i32_e32 v5, v5, v1
	s_branch .LBB4_3
.LBB4_12:
                                        ; implicit-def: $vgpr2_vgpr3_vgpr4_vgpr5
	s_branch .LBB4_15
.LBB4_13:
	v_bfrev_b32_e32 v2, 1
	v_mov_b32_e32 v3, v2
	v_mov_b32_e32 v4, v2
	;; [unrolled: 1-line block ×3, first 2 shown]
.LBB4_14:
	s_cbranch_execnz .LBB4_20
.LBB4_15:
	v_mov_b64_e32 v[2:3], 0x10000
	v_cmp_lt_i64_e32 vcc, s[10:11], v[2:3]
	s_and_b64 s[12:13], vcc, exec
	v_mov_b32_e32 v7, 0
	s_cselect_b32 s11, s11, 0
	s_cselect_b32 s10, s10, 0x10000
	v_lshlrev_b32_e32 v6, 2, v0
	v_bfrev_b32_e32 v2, 1
	s_mov_b32 s3, 0
	v_cmp_gt_i64_e32 vcc, s[10:11], v[6:7]
	v_mov_b32_e32 v3, v2
	v_mov_b32_e32 v4, v2
	;; [unrolled: 1-line block ×3, first 2 shown]
	s_and_saveexec_b64 s[12:13], vcc
	s_cbranch_execz .LBB4_19
; %bb.16:
	s_load_dword s2, s[0:1], 0xd4c
	v_lshlrev_b32_e32 v6, 4, v0
	v_mov_b32_e32 v1, v7
	s_mov_b32 s15, s3
	v_mov_b64_e32 v[8:9], v[0:1]
	s_waitcnt lgkmcnt(0)
	s_and_b32 s2, s2, 0xffff
	s_add_u32 s6, s6, s8
	s_addc_u32 s7, s7, s9
	v_lshl_add_u64 v[4:5], s[6:7], 0, v[6:7]
	s_lshl_b32 s14, s2, 4
	v_lshl_add_u64 v[6:7], v[4:5], 0, 8
	s_mov_b64 s[6:7], 0
	v_bfrev_b32_e32 v3, 1
	v_bfrev_b32_e32 v4, 1
	;; [unrolled: 1-line block ×3, first 2 shown]
.LBB4_17:                               ; =>This Inner Loop Header: Depth=1
	global_load_dwordx4 v[10:13], v[6:7], off offset:-8
	v_lshl_add_u64 v[8:9], v[8:9], 0, s[2:3]
	v_lshlrev_b64 v[14:15], 2, v[8:9]
	v_cmp_le_i64_e32 vcc, s[10:11], v[14:15]
	v_lshl_add_u64 v[6:7], v[6:7], 0, s[14:15]
	s_or_b64 s[6:7], vcc, s[6:7]
	s_waitcnt vmcnt(0)
	v_max_i32_e32 v2, v2, v10
	v_max_i32_e32 v3, v3, v11
	;; [unrolled: 1-line block ×4, first 2 shown]
	s_andn2_b64 exec, exec, s[6:7]
	s_cbranch_execnz .LBB4_17
; %bb.18:
	s_or_b64 exec, exec, s[6:7]
.LBB4_19:
	s_or_b64 exec, exec, s[12:13]
.LBB4_20:
	v_max_i32_e32 v1, v2, v3
	v_max3_i32 v2, v1, v4, v5
	v_mbcnt_lo_u32_b32 v1, -1, 0
	v_mbcnt_hi_u32_b32 v6, -1, v1
	v_mov_b32_e32 v1, 0x80
	v_lshl_or_b32 v1, v6, 2, v1
	ds_bpermute_b32 v3, v1, v2
	v_and_b32_e32 v7, 63, v6
	v_cmp_gt_u32_e32 vcc, 48, v7
	s_waitcnt lgkmcnt(0)
	s_barrier
	v_max_i32_e32 v3, v2, v3
	v_cndmask_b32_e64 v2, 0, 16, vcc
	v_add_lshl_u32 v2, v2, v6, 2
	ds_bpermute_b32 v4, v2, v3
	v_cmp_gt_u32_e32 vcc, 56, v7
	s_waitcnt lgkmcnt(0)
	v_max_i32_e32 v4, v3, v4
	v_cndmask_b32_e64 v3, 0, 8, vcc
	v_add_lshl_u32 v3, v3, v6, 2
	ds_bpermute_b32 v5, v3, v4
	v_cmp_gt_u32_e32 vcc, 60, v7
	s_waitcnt lgkmcnt(0)
	;; [unrolled: 6-line block ×3, first 2 shown]
	v_max_i32_e32 v9, v9, v8
	v_cndmask_b32_e64 v5, 0, 2, vcc
	v_add_lshl_u32 v5, v5, v6, 2
	ds_bpermute_b32 v10, v5, v9
	v_cmp_ne_u32_e32 vcc, 63, v7
	v_and_b32_e32 v8, 63, v0
	s_waitcnt lgkmcnt(0)
	v_max_i32_e32 v7, v9, v10
	v_addc_co_u32_e32 v6, vcc, 0, v6, vcc
	v_lshlrev_b32_e32 v6, 2, v6
	ds_bpermute_b32 v9, v6, v7
	v_cmp_eq_u32_e32 vcc, 0, v8
	s_and_saveexec_b64 s[2:3], vcc
	s_cbranch_execz .LBB4_22
; %bb.21:
	v_lshrrev_b32_e32 v10, 4, v0
	s_waitcnt lgkmcnt(0)
	v_max_i32_e32 v7, v7, v9
	ds_write_b32 v10, v7
.LBB4_22:
	s_or_b64 exec, exec, s[2:3]
	s_waitcnt lgkmcnt(0)
	s_barrier
	s_load_dword s2, s[0:1], 0xd4c
	v_bfrev_b32_e32 v7, 1
	s_waitcnt lgkmcnt(0)
	s_bfe_u32 s2, s2, 0xa0006
	v_cmp_gt_u32_e32 vcc, s2, v0
	s_and_saveexec_b64 s[2:3], vcc
	s_cbranch_execnz .LBB4_26
; %bb.23:
	s_or_b64 exec, exec, s[2:3]
	v_cmp_gt_u32_e32 vcc, 64, v0
	s_and_saveexec_b64 s[2:3], vcc
	s_cbranch_execnz .LBB4_27
.LBB4_24:
	s_or_b64 exec, exec, s[2:3]
	v_cmp_eq_u32_e32 vcc, 0, v0
	s_and_saveexec_b64 s[2:3], vcc
	s_cbranch_execnz .LBB4_28
.LBB4_25:
	s_endpgm
.LBB4_26:
	v_lshlrev_b32_e32 v7, 2, v8
	ds_read_b32 v7, v7
	s_or_b64 exec, exec, s[2:3]
	v_cmp_gt_u32_e32 vcc, 64, v0
	s_and_saveexec_b64 s[2:3], vcc
	s_cbranch_execz .LBB4_24
.LBB4_27:
	s_waitcnt lgkmcnt(0)
	ds_bpermute_b32 v1, v1, v7
	s_waitcnt lgkmcnt(0)
	v_max_i32_e32 v1, v7, v1
	ds_bpermute_b32 v2, v2, v1
	s_waitcnt lgkmcnt(0)
	v_max_i32_e32 v1, v1, v2
	;; [unrolled: 3-line block ×6, first 2 shown]
	s_or_b64 exec, exec, s[2:3]
	v_cmp_eq_u32_e32 vcc, 0, v0
	s_and_saveexec_b64 s[2:3], vcc
	s_cbranch_execz .LBB4_25
.LBB4_28:
	s_load_dword s5, s[0:1], 0xd20
	s_load_dword s6, s[0:1], 0xd38
	s_load_dwordx2 s[2:3], s[0:1], 0xd30
	v_mov_b32_e32 v0, 0
	s_waitcnt lgkmcnt(0)
	s_add_i32 s0, s5, s16
	s_mul_i32 s0, s0, s6
	s_add_i32 s0, s0, s4
	s_ashr_i32 s1, s0, 31
	s_lshl_b64 s[0:1], s[0:1], 2
	s_add_u32 s0, s2, s0
	s_addc_u32 s1, s3, s1
	global_store_dword v0, v7, s[0:1]
	s_endpgm
	.section	.rodata,"a",@progbits
	.p2align	6, 0x0
	.amdhsa_kernel _ZN2at6native12_GLOBAL__N_125multi_tensor_apply_kernelINS1_18TensorListMetadataILi1EEENS0_12LpMaxFunctorIiLi1ELi1ELi0EEEJPiiEEEvT_T0_DpT1_
		.amdhsa_group_segment_fixed_size 2048
		.amdhsa_private_segment_fixed_size 0
		.amdhsa_kernarg_size 3648
		.amdhsa_user_sgpr_count 2
		.amdhsa_user_sgpr_dispatch_ptr 0
		.amdhsa_user_sgpr_queue_ptr 0
		.amdhsa_user_sgpr_kernarg_segment_ptr 1
		.amdhsa_user_sgpr_dispatch_id 0
		.amdhsa_user_sgpr_kernarg_preload_length 0
		.amdhsa_user_sgpr_kernarg_preload_offset 0
		.amdhsa_user_sgpr_private_segment_size 0
		.amdhsa_uses_dynamic_stack 0
		.amdhsa_enable_private_segment 0
		.amdhsa_system_sgpr_workgroup_id_x 1
		.amdhsa_system_sgpr_workgroup_id_y 0
		.amdhsa_system_sgpr_workgroup_id_z 0
		.amdhsa_system_sgpr_workgroup_info 0
		.amdhsa_system_vgpr_workitem_id 0
		.amdhsa_next_free_vgpr 18
		.amdhsa_next_free_sgpr 20
		.amdhsa_accum_offset 20
		.amdhsa_reserve_vcc 1
		.amdhsa_float_round_mode_32 0
		.amdhsa_float_round_mode_16_64 0
		.amdhsa_float_denorm_mode_32 3
		.amdhsa_float_denorm_mode_16_64 3
		.amdhsa_dx10_clamp 1
		.amdhsa_ieee_mode 1
		.amdhsa_fp16_overflow 0
		.amdhsa_tg_split 0
		.amdhsa_exception_fp_ieee_invalid_op 0
		.amdhsa_exception_fp_denorm_src 0
		.amdhsa_exception_fp_ieee_div_zero 0
		.amdhsa_exception_fp_ieee_overflow 0
		.amdhsa_exception_fp_ieee_underflow 0
		.amdhsa_exception_fp_ieee_inexact 0
		.amdhsa_exception_int_div_zero 0
	.end_amdhsa_kernel
	.section	.text._ZN2at6native12_GLOBAL__N_125multi_tensor_apply_kernelINS1_18TensorListMetadataILi1EEENS0_12LpMaxFunctorIiLi1ELi1ELi0EEEJPiiEEEvT_T0_DpT1_,"axG",@progbits,_ZN2at6native12_GLOBAL__N_125multi_tensor_apply_kernelINS1_18TensorListMetadataILi1EEENS0_12LpMaxFunctorIiLi1ELi1ELi0EEEJPiiEEEvT_T0_DpT1_,comdat
.Lfunc_end4:
	.size	_ZN2at6native12_GLOBAL__N_125multi_tensor_apply_kernelINS1_18TensorListMetadataILi1EEENS0_12LpMaxFunctorIiLi1ELi1ELi0EEEJPiiEEEvT_T0_DpT1_, .Lfunc_end4-_ZN2at6native12_GLOBAL__N_125multi_tensor_apply_kernelINS1_18TensorListMetadataILi1EEENS0_12LpMaxFunctorIiLi1ELi1ELi0EEEJPiiEEEvT_T0_DpT1_
                                        ; -- End function
	.set _ZN2at6native12_GLOBAL__N_125multi_tensor_apply_kernelINS1_18TensorListMetadataILi1EEENS0_12LpMaxFunctorIiLi1ELi1ELi0EEEJPiiEEEvT_T0_DpT1_.num_vgpr, 18
	.set _ZN2at6native12_GLOBAL__N_125multi_tensor_apply_kernelINS1_18TensorListMetadataILi1EEENS0_12LpMaxFunctorIiLi1ELi1ELi0EEEJPiiEEEvT_T0_DpT1_.num_agpr, 0
	.set _ZN2at6native12_GLOBAL__N_125multi_tensor_apply_kernelINS1_18TensorListMetadataILi1EEENS0_12LpMaxFunctorIiLi1ELi1ELi0EEEJPiiEEEvT_T0_DpT1_.numbered_sgpr, 20
	.set _ZN2at6native12_GLOBAL__N_125multi_tensor_apply_kernelINS1_18TensorListMetadataILi1EEENS0_12LpMaxFunctorIiLi1ELi1ELi0EEEJPiiEEEvT_T0_DpT1_.num_named_barrier, 0
	.set _ZN2at6native12_GLOBAL__N_125multi_tensor_apply_kernelINS1_18TensorListMetadataILi1EEENS0_12LpMaxFunctorIiLi1ELi1ELi0EEEJPiiEEEvT_T0_DpT1_.private_seg_size, 0
	.set _ZN2at6native12_GLOBAL__N_125multi_tensor_apply_kernelINS1_18TensorListMetadataILi1EEENS0_12LpMaxFunctorIiLi1ELi1ELi0EEEJPiiEEEvT_T0_DpT1_.uses_vcc, 1
	.set _ZN2at6native12_GLOBAL__N_125multi_tensor_apply_kernelINS1_18TensorListMetadataILi1EEENS0_12LpMaxFunctorIiLi1ELi1ELi0EEEJPiiEEEvT_T0_DpT1_.uses_flat_scratch, 0
	.set _ZN2at6native12_GLOBAL__N_125multi_tensor_apply_kernelINS1_18TensorListMetadataILi1EEENS0_12LpMaxFunctorIiLi1ELi1ELi0EEEJPiiEEEvT_T0_DpT1_.has_dyn_sized_stack, 0
	.set _ZN2at6native12_GLOBAL__N_125multi_tensor_apply_kernelINS1_18TensorListMetadataILi1EEENS0_12LpMaxFunctorIiLi1ELi1ELi0EEEJPiiEEEvT_T0_DpT1_.has_recursion, 0
	.set _ZN2at6native12_GLOBAL__N_125multi_tensor_apply_kernelINS1_18TensorListMetadataILi1EEENS0_12LpMaxFunctorIiLi1ELi1ELi0EEEJPiiEEEvT_T0_DpT1_.has_indirect_call, 0
	.section	.AMDGPU.csdata,"",@progbits
; Kernel info:
; codeLenInByte = 1328
; TotalNumSgprs: 26
; NumVgprs: 18
; NumAgprs: 0
; TotalNumVgprs: 18
; ScratchSize: 0
; MemoryBound: 0
; FloatMode: 240
; IeeeMode: 1
; LDSByteSize: 2048 bytes/workgroup (compile time only)
; SGPRBlocks: 3
; VGPRBlocks: 2
; NumSGPRsForWavesPerEU: 26
; NumVGPRsForWavesPerEU: 18
; AccumOffset: 20
; Occupancy: 8
; WaveLimiterHint : 0
; COMPUTE_PGM_RSRC2:SCRATCH_EN: 0
; COMPUTE_PGM_RSRC2:USER_SGPR: 2
; COMPUTE_PGM_RSRC2:TRAP_HANDLER: 0
; COMPUTE_PGM_RSRC2:TGID_X_EN: 1
; COMPUTE_PGM_RSRC2:TGID_Y_EN: 0
; COMPUTE_PGM_RSRC2:TGID_Z_EN: 0
; COMPUTE_PGM_RSRC2:TIDIG_COMP_CNT: 0
; COMPUTE_PGM_RSRC3_GFX90A:ACCUM_OFFSET: 4
; COMPUTE_PGM_RSRC3_GFX90A:TG_SPLIT: 0
	.section	.text._ZN2at6native13lpmax_cleanupIiEEvPKT_NS0_19TensorListAddressesEi,"axG",@progbits,_ZN2at6native13lpmax_cleanupIiEEvPKT_NS0_19TensorListAddressesEi,comdat
	.protected	_ZN2at6native13lpmax_cleanupIiEEvPKT_NS0_19TensorListAddressesEi ; -- Begin function _ZN2at6native13lpmax_cleanupIiEEvPKT_NS0_19TensorListAddressesEi
	.globl	_ZN2at6native13lpmax_cleanupIiEEvPKT_NS0_19TensorListAddressesEi
	.p2align	8
	.type	_ZN2at6native13lpmax_cleanupIiEEvPKT_NS0_19TensorListAddressesEi,@function
_ZN2at6native13lpmax_cleanupIiEEvPKT_NS0_19TensorListAddressesEi: ; @_ZN2at6native13lpmax_cleanupIiEEvPKT_NS0_19TensorListAddressesEi
; %bb.0:
	s_load_dword s6, s[0:1], 0xc88
	v_bfrev_b32_e32 v6, 1
	s_waitcnt lgkmcnt(0)
	v_cmp_gt_u32_e32 vcc, s6, v0
	s_and_saveexec_b64 s[4:5], vcc
	s_cbranch_execz .LBB5_4
; %bb.1:
	s_load_dwordx2 s[12:13], s[0:1], 0x0
	s_load_dword s3, s[0:1], 0xc9c
	s_mul_i32 s8, s6, s2
	s_mov_b32 s9, 0
	s_ashr_i32 s7, s6, 31
	s_lshl_b64 s[14:15], s[8:9], 2
	s_waitcnt lgkmcnt(0)
	s_and_b32 s10, s3, 0xffff
	v_mov_b32_e32 v1, 0
	s_add_u32 s12, s12, s14
	v_lshlrev_b32_e32 v2, 2, v0
	v_mov_b32_e32 v3, v1
	s_addc_u32 s13, s13, s15
	s_mov_b32 s11, s9
	v_lshl_add_u64 v[2:3], s[12:13], 0, v[2:3]
	s_lshl_b32 s8, s10, 2
	v_bfrev_b32_e32 v6, 1
	s_mov_b64 s[12:13], 0
	v_mov_b64_e32 v[4:5], v[0:1]
.LBB5_2:                                ; =>This Inner Loop Header: Depth=1
	global_load_dword v1, v[2:3], off
	v_lshl_add_u64 v[4:5], v[4:5], 0, s[10:11]
	v_cmp_le_u64_e32 vcc, s[6:7], v[4:5]
	v_lshl_add_u64 v[2:3], v[2:3], 0, s[8:9]
	s_or_b64 s[12:13], vcc, s[12:13]
	s_waitcnt vmcnt(0)
	v_max_i32_e32 v6, v6, v1
	s_andn2_b64 exec, exec, s[12:13]
	s_cbranch_execnz .LBB5_2
; %bb.3:
	s_or_b64 exec, exec, s[12:13]
.LBB5_4:
	s_or_b64 exec, exec, s[4:5]
	v_mbcnt_lo_u32_b32 v1, -1, 0
	v_mbcnt_hi_u32_b32 v7, -1, v1
	v_mov_b32_e32 v1, 0x80
	v_lshl_or_b32 v1, v7, 2, v1
	ds_bpermute_b32 v2, v1, v6
	v_and_b32_e32 v9, 63, v7
	v_cmp_gt_u32_e32 vcc, 48, v9
	s_waitcnt lgkmcnt(0)
	s_barrier
	v_cndmask_b32_e64 v3, 0, 16, vcc
	v_max_i32_e32 v4, v6, v2
	v_add_lshl_u32 v2, v3, v7, 2
	ds_bpermute_b32 v5, v2, v4
	v_cmp_gt_u32_e32 vcc, 56, v9
	s_waitcnt lgkmcnt(0)
	v_max_i32_e32 v5, v4, v5
	v_cndmask_b32_e64 v3, 0, 8, vcc
	v_add_lshl_u32 v3, v3, v7, 2
	ds_bpermute_b32 v6, v3, v5
	v_cmp_gt_u32_e32 vcc, 60, v9
	s_waitcnt lgkmcnt(0)
	v_max_i32_e32 v6, v5, v6
	v_cndmask_b32_e64 v4, 0, 4, vcc
	;; [unrolled: 6-line block ×3, first 2 shown]
	v_add_lshl_u32 v5, v5, v7, 2
	ds_bpermute_b32 v10, v5, v6
	v_cmp_ne_u32_e32 vcc, 63, v9
	v_and_b32_e32 v8, 63, v0
	s_nop 0
	v_addc_co_u32_e32 v9, vcc, 0, v7, vcc
	s_waitcnt lgkmcnt(0)
	v_max_i32_e32 v7, v6, v10
	v_lshlrev_b32_e32 v6, 2, v9
	ds_bpermute_b32 v9, v6, v7
	v_cmp_eq_u32_e32 vcc, 0, v8
	s_and_saveexec_b64 s[4:5], vcc
	s_cbranch_execz .LBB5_6
; %bb.5:
	s_waitcnt lgkmcnt(0)
	v_max_i32_e32 v7, v7, v9
	v_lshrrev_b32_e32 v9, 4, v0
	ds_write_b32 v9, v7
.LBB5_6:
	s_or_b64 exec, exec, s[4:5]
	s_waitcnt lgkmcnt(0)
	s_barrier
	s_load_dword s3, s[0:1], 0xc9c
	v_bfrev_b32_e32 v7, 1
	s_waitcnt lgkmcnt(0)
	s_bfe_u32 s3, s3, 0xa0006
	v_cmp_gt_u32_e32 vcc, s3, v0
	s_and_saveexec_b64 s[4:5], vcc
; %bb.7:
	v_lshlrev_b32_e32 v7, 2, v8
	ds_read_b32 v7, v7
; %bb.8:
	s_or_b64 exec, exec, s[4:5]
	v_cmp_gt_u32_e32 vcc, 64, v0
	s_and_saveexec_b64 s[4:5], vcc
	s_cbranch_execz .LBB5_10
; %bb.9:
	s_waitcnt lgkmcnt(0)
	ds_bpermute_b32 v1, v1, v7
	s_waitcnt lgkmcnt(0)
	v_max_i32_e32 v1, v7, v1
	ds_bpermute_b32 v2, v2, v1
	s_waitcnt lgkmcnt(0)
	v_max_i32_e32 v1, v1, v2
	;; [unrolled: 3-line block ×6, first 2 shown]
.LBB5_10:
	s_or_b64 exec, exec, s[4:5]
	s_mov_b32 s3, 0
	v_cmp_eq_u32_e32 vcc, 0, v0
	s_and_saveexec_b64 s[4:5], vcc
	s_cbranch_execz .LBB5_12
; %bb.11:
	s_lshl_b64 s[2:3], s[2:3], 3
	s_add_u32 s0, s0, s2
	s_addc_u32 s1, s1, s3
	s_load_dwordx2 s[0:1], s[0:1], 0x8
	v_mov_b32_e32 v0, 0
	s_waitcnt lgkmcnt(0)
	global_store_dword v0, v7, s[0:1]
.LBB5_12:
	s_endpgm
	.section	.rodata,"a",@progbits
	.p2align	6, 0x0
	.amdhsa_kernel _ZN2at6native13lpmax_cleanupIiEEvPKT_NS0_19TensorListAddressesEi
		.amdhsa_group_segment_fixed_size 2048
		.amdhsa_private_segment_fixed_size 0
		.amdhsa_kernarg_size 3472
		.amdhsa_user_sgpr_count 2
		.amdhsa_user_sgpr_dispatch_ptr 0
		.amdhsa_user_sgpr_queue_ptr 0
		.amdhsa_user_sgpr_kernarg_segment_ptr 1
		.amdhsa_user_sgpr_dispatch_id 0
		.amdhsa_user_sgpr_kernarg_preload_length 0
		.amdhsa_user_sgpr_kernarg_preload_offset 0
		.amdhsa_user_sgpr_private_segment_size 0
		.amdhsa_uses_dynamic_stack 0
		.amdhsa_enable_private_segment 0
		.amdhsa_system_sgpr_workgroup_id_x 1
		.amdhsa_system_sgpr_workgroup_id_y 0
		.amdhsa_system_sgpr_workgroup_id_z 0
		.amdhsa_system_sgpr_workgroup_info 0
		.amdhsa_system_vgpr_workitem_id 0
		.amdhsa_next_free_vgpr 11
		.amdhsa_next_free_sgpr 16
		.amdhsa_accum_offset 12
		.amdhsa_reserve_vcc 1
		.amdhsa_float_round_mode_32 0
		.amdhsa_float_round_mode_16_64 0
		.amdhsa_float_denorm_mode_32 3
		.amdhsa_float_denorm_mode_16_64 3
		.amdhsa_dx10_clamp 1
		.amdhsa_ieee_mode 1
		.amdhsa_fp16_overflow 0
		.amdhsa_tg_split 0
		.amdhsa_exception_fp_ieee_invalid_op 0
		.amdhsa_exception_fp_denorm_src 0
		.amdhsa_exception_fp_ieee_div_zero 0
		.amdhsa_exception_fp_ieee_overflow 0
		.amdhsa_exception_fp_ieee_underflow 0
		.amdhsa_exception_fp_ieee_inexact 0
		.amdhsa_exception_int_div_zero 0
	.end_amdhsa_kernel
	.section	.text._ZN2at6native13lpmax_cleanupIiEEvPKT_NS0_19TensorListAddressesEi,"axG",@progbits,_ZN2at6native13lpmax_cleanupIiEEvPKT_NS0_19TensorListAddressesEi,comdat
.Lfunc_end5:
	.size	_ZN2at6native13lpmax_cleanupIiEEvPKT_NS0_19TensorListAddressesEi, .Lfunc_end5-_ZN2at6native13lpmax_cleanupIiEEvPKT_NS0_19TensorListAddressesEi
                                        ; -- End function
	.set _ZN2at6native13lpmax_cleanupIiEEvPKT_NS0_19TensorListAddressesEi.num_vgpr, 11
	.set _ZN2at6native13lpmax_cleanupIiEEvPKT_NS0_19TensorListAddressesEi.num_agpr, 0
	.set _ZN2at6native13lpmax_cleanupIiEEvPKT_NS0_19TensorListAddressesEi.numbered_sgpr, 16
	.set _ZN2at6native13lpmax_cleanupIiEEvPKT_NS0_19TensorListAddressesEi.num_named_barrier, 0
	.set _ZN2at6native13lpmax_cleanupIiEEvPKT_NS0_19TensorListAddressesEi.private_seg_size, 0
	.set _ZN2at6native13lpmax_cleanupIiEEvPKT_NS0_19TensorListAddressesEi.uses_vcc, 1
	.set _ZN2at6native13lpmax_cleanupIiEEvPKT_NS0_19TensorListAddressesEi.uses_flat_scratch, 0
	.set _ZN2at6native13lpmax_cleanupIiEEvPKT_NS0_19TensorListAddressesEi.has_dyn_sized_stack, 0
	.set _ZN2at6native13lpmax_cleanupIiEEvPKT_NS0_19TensorListAddressesEi.has_recursion, 0
	.set _ZN2at6native13lpmax_cleanupIiEEvPKT_NS0_19TensorListAddressesEi.has_indirect_call, 0
	.section	.AMDGPU.csdata,"",@progbits
; Kernel info:
; codeLenInByte = 668
; TotalNumSgprs: 22
; NumVgprs: 11
; NumAgprs: 0
; TotalNumVgprs: 11
; ScratchSize: 0
; MemoryBound: 0
; FloatMode: 240
; IeeeMode: 1
; LDSByteSize: 2048 bytes/workgroup (compile time only)
; SGPRBlocks: 2
; VGPRBlocks: 1
; NumSGPRsForWavesPerEU: 22
; NumVGPRsForWavesPerEU: 11
; AccumOffset: 12
; Occupancy: 8
; WaveLimiterHint : 0
; COMPUTE_PGM_RSRC2:SCRATCH_EN: 0
; COMPUTE_PGM_RSRC2:USER_SGPR: 2
; COMPUTE_PGM_RSRC2:TRAP_HANDLER: 0
; COMPUTE_PGM_RSRC2:TGID_X_EN: 1
; COMPUTE_PGM_RSRC2:TGID_Y_EN: 0
; COMPUTE_PGM_RSRC2:TGID_Z_EN: 0
; COMPUTE_PGM_RSRC2:TIDIG_COMP_CNT: 0
; COMPUTE_PGM_RSRC3_GFX90A:ACCUM_OFFSET: 2
; COMPUTE_PGM_RSRC3_GFX90A:TG_SPLIT: 0
	.section	.text._ZN2at6native12_GLOBAL__N_125multi_tensor_apply_kernelINS1_18TensorListMetadataILi1EEENS0_12LpMaxFunctorIlLi1ELi1ELi0EEEJPliEEEvT_T0_DpT1_,"axG",@progbits,_ZN2at6native12_GLOBAL__N_125multi_tensor_apply_kernelINS1_18TensorListMetadataILi1EEENS0_12LpMaxFunctorIlLi1ELi1ELi0EEEJPliEEEvT_T0_DpT1_,comdat
	.globl	_ZN2at6native12_GLOBAL__N_125multi_tensor_apply_kernelINS1_18TensorListMetadataILi1EEENS0_12LpMaxFunctorIlLi1ELi1ELi0EEEJPliEEEvT_T0_DpT1_ ; -- Begin function _ZN2at6native12_GLOBAL__N_125multi_tensor_apply_kernelINS1_18TensorListMetadataILi1EEENS0_12LpMaxFunctorIlLi1ELi1ELi0EEEJPliEEEvT_T0_DpT1_
	.p2align	8
	.type	_ZN2at6native12_GLOBAL__N_125multi_tensor_apply_kernelINS1_18TensorListMetadataILi1EEENS0_12LpMaxFunctorIlLi1ELi1ELi0EEEJPliEEEvT_T0_DpT1_,@function
_ZN2at6native12_GLOBAL__N_125multi_tensor_apply_kernelINS1_18TensorListMetadataILi1EEENS0_12LpMaxFunctorIlLi1ELi1ELi0EEEJPliEEEvT_T0_DpT1_: ; @_ZN2at6native12_GLOBAL__N_125multi_tensor_apply_kernelINS1_18TensorListMetadataILi1EEENS0_12LpMaxFunctorIlLi1ELi1ELi0EEEJPliEEEvT_T0_DpT1_
; %bb.0:
	v_mov_b32_e32 v1, s2
	global_load_ubyte v1, v1, s[0:1] offset:1760
	s_add_u32 s3, s0, s2
	s_mul_hi_u32 s4, s2, 3
	s_mul_i32 s2, s2, 3
	s_addc_u32 s5, s1, 0
	s_add_u32 s2, s3, s2
	s_addc_u32 s3, s5, s4
	s_load_dword s8, s[2:3], 0x820
	s_mov_b32 s15, 0
	s_waitcnt lgkmcnt(0)
	s_ashr_i32 s9, s8, 31
	s_lshl_b64 s[10:11], s[8:9], 16
	s_waitcnt vmcnt(0)
	v_readfirstlane_b32 s2, v1
	s_and_b32 s20, s2, 0xff
	s_lshl_b32 s6, s20, 3
	s_load_dwordx2 s[2:3], s[0:1], s6 offset:0x370
	s_load_dwordx2 s[4:5], s[0:1], s6 offset:0x0
	s_lshl_b64 s[6:7], s[8:9], 19
	s_waitcnt lgkmcnt(0)
	s_add_u32 s12, s4, s6
	s_addc_u32 s13, s5, s7
	s_sub_u32 s10, s2, s10
	s_subb_u32 s11, s3, s11
	s_and_b32 s14, s2, 3
	s_and_b32 s2, s12, 31
	s_mov_b32 s3, s15
	s_or_b64 s[2:3], s[14:15], s[2:3]
	s_cmp_eq_u64 s[2:3], 0
	s_cbranch_scc1 .LBB6_12
; %bb.1:
	v_cmp_lt_i64_e64 s[2:3], s[10:11], 1
	s_and_b64 vcc, exec, s[2:3]
	s_cbranch_vccnz .LBB6_13
; %bb.2:
	v_mov_b64_e32 v[2:3], 0x10000
	v_cmp_lt_i64_e32 vcc, s[10:11], v[2:3]
	s_and_b64 s[2:3], vcc, exec
	s_load_dword s2, s[0:1], 0xd4c
	s_cselect_b32 s15, s11, 0
	s_cselect_b32 s14, s10, 0x10000
	v_mov_b32_e32 v11, 0
	v_bfrev_b32_e32 v3, 1
	s_waitcnt lgkmcnt(0)
	s_and_b32 s16, s2, 0xffff
	s_mov_b32 s9, 0x10000
	s_lshl_b32 s18, s16, 2
	v_lshl_add_u32 v12, s16, 1, v0
	v_mad_u64_u32 v[14:15], s[2:3], s16, 3, v[0:1]
	v_add_u32_e32 v16, s16, v0
	v_mov_b32_e32 v2, v11
	v_mov_b32_e32 v4, v11
	;; [unrolled: 1-line block ×7, first 2 shown]
	s_mov_b64 s[16:17], 0
	s_branch .LBB6_4
.LBB6_3:                                ;   in Loop: Header=BB6_4 Depth=1
	s_or_b64 exec, exec, s[2:3]
	s_add_u32 s16, s16, s18
	s_addc_u32 s17, s17, 0
	v_mov_b64_e32 v[18:19], s[14:15]
	v_cmp_lt_i64_e32 vcc, s[16:17], v[18:19]
	s_cbranch_vccz .LBB6_14
.LBB6_4:                                ; =>This Inner Loop Header: Depth=1
	v_add_u32_e32 v10, s16, v0
	v_cmp_gt_i64_e32 vcc, s[10:11], v[10:11]
	v_cmp_gt_u32_e64 s[2:3], s9, v10
	s_and_b64 s[22:23], s[2:3], vcc
	s_and_saveexec_b64 s[2:3], s[22:23]
	s_cbranch_execz .LBB6_6
; %bb.5:                                ;   in Loop: Header=BB6_4 Depth=1
	v_lshl_add_u64 v[18:19], v[10:11], 3, s[12:13]
	global_load_dwordx2 v[18:19], v[18:19], off
	s_waitcnt vmcnt(0)
	v_cmp_gt_i64_e32 vcc, v[2:3], v[18:19]
	s_nop 1
	v_cndmask_b32_e32 v3, v19, v3, vcc
	v_cndmask_b32_e32 v2, v18, v2, vcc
.LBB6_6:                                ;   in Loop: Header=BB6_4 Depth=1
	s_or_b64 exec, exec, s[2:3]
	v_add_u32_e32 v10, s16, v16
	v_cmp_gt_i64_e32 vcc, s[10:11], v[10:11]
	v_cmp_gt_u32_e64 s[2:3], s9, v10
	s_and_b64 s[22:23], s[2:3], vcc
	s_and_saveexec_b64 s[2:3], s[22:23]
	s_cbranch_execz .LBB6_8
; %bb.7:                                ;   in Loop: Header=BB6_4 Depth=1
	v_lshl_add_u64 v[18:19], v[10:11], 3, s[12:13]
	global_load_dwordx2 v[18:19], v[18:19], off
	s_waitcnt vmcnt(0)
	v_cmp_gt_i64_e32 vcc, v[4:5], v[18:19]
	s_nop 1
	v_cndmask_b32_e32 v5, v19, v5, vcc
	v_cndmask_b32_e32 v4, v18, v4, vcc
.LBB6_8:                                ;   in Loop: Header=BB6_4 Depth=1
	s_or_b64 exec, exec, s[2:3]
	v_add_u32_e32 v10, s16, v12
	v_cmp_gt_i64_e32 vcc, s[10:11], v[10:11]
	v_cmp_gt_u32_e64 s[2:3], s9, v10
	s_and_b64 s[22:23], s[2:3], vcc
	s_and_saveexec_b64 s[2:3], s[22:23]
	s_cbranch_execz .LBB6_10
; %bb.9:                                ;   in Loop: Header=BB6_4 Depth=1
	v_lshl_add_u64 v[18:19], v[10:11], 3, s[12:13]
	global_load_dwordx2 v[18:19], v[18:19], off
	s_waitcnt vmcnt(0)
	v_cmp_gt_i64_e32 vcc, v[6:7], v[18:19]
	s_nop 1
	v_cndmask_b32_e32 v7, v19, v7, vcc
	v_cndmask_b32_e32 v6, v18, v6, vcc
.LBB6_10:                               ;   in Loop: Header=BB6_4 Depth=1
	s_or_b64 exec, exec, s[2:3]
	v_add_u32_e32 v10, s16, v14
	v_cmp_gt_i64_e32 vcc, s[10:11], v[10:11]
	v_cmp_gt_u32_e64 s[2:3], s9, v10
	s_and_b64 s[22:23], s[2:3], vcc
	s_and_saveexec_b64 s[2:3], s[22:23]
	s_cbranch_execz .LBB6_3
; %bb.11:                               ;   in Loop: Header=BB6_4 Depth=1
	v_lshl_add_u64 v[18:19], v[10:11], 3, s[12:13]
	global_load_dwordx2 v[18:19], v[18:19], off
	s_waitcnt vmcnt(0)
	v_cmp_gt_i64_e32 vcc, v[8:9], v[18:19]
	s_nop 1
	v_cndmask_b32_e32 v9, v19, v9, vcc
	v_cndmask_b32_e32 v8, v18, v8, vcc
	s_branch .LBB6_3
.LBB6_12:
                                        ; implicit-def: $vgpr2_vgpr3_vgpr4_vgpr5_vgpr6_vgpr7_vgpr8_vgpr9
	s_branch .LBB6_15
.LBB6_13:
	v_mov_b32_e32 v2, 0
	v_bfrev_b32_e32 v3, 1
	v_mov_b32_e32 v4, v2
	v_mov_b32_e32 v5, v3
	;; [unrolled: 1-line block ×6, first 2 shown]
.LBB6_14:
	s_cbranch_execnz .LBB6_20
.LBB6_15:
	v_mov_b64_e32 v[2:3], 0x10000
	v_cmp_lt_i64_e32 vcc, s[10:11], v[2:3]
	s_and_b64 s[2:3], vcc, exec
	v_mov_b32_e32 v13, 0
	s_cselect_b32 s11, s11, 0
	s_cselect_b32 s10, s10, 0x10000
	v_lshlrev_b32_e32 v12, 2, v0
	v_bfrev_b32_e32 v3, 1
	s_mov_b32 s13, 0
	v_cmp_gt_i64_e32 vcc, s[10:11], v[12:13]
	v_mov_b32_e32 v2, v13
	v_mov_b32_e32 v4, v13
	;; [unrolled: 1-line block ×7, first 2 shown]
	s_and_saveexec_b64 s[14:15], vcc
	s_cbranch_execz .LBB6_19
; %bb.16:
	s_load_dword s2, s[0:1], 0xd4c
	v_lshlrev_b32_e32 v12, 5, v0
	v_mov_b32_e32 v1, v13
	v_mov_b32_e32 v2, v13
	s_mov_b32 s17, s13
	s_waitcnt lgkmcnt(0)
	s_and_b32 s12, s2, 0xffff
	s_add_u32 s2, s4, s6
	s_addc_u32 s3, s5, s7
	v_lshl_add_u64 v[4:5], s[2:3], 0, v[12:13]
	s_lshl_b32 s16, s12, 5
	v_lshl_add_u64 v[10:11], v[4:5], 0, 16
	s_mov_b64 s[18:19], 0
	v_mov_b64_e32 v[12:13], v[0:1]
	v_mov_b64_e32 v[4:5], v[2:3]
	;; [unrolled: 1-line block ×4, first 2 shown]
.LBB6_17:                               ; =>This Inner Loop Header: Depth=1
	global_load_dwordx4 v[14:17], v[10:11], off offset:-16
	global_load_dwordx4 v[18:21], v[10:11], off
	v_lshl_add_u64 v[12:13], v[12:13], 0, s[12:13]
	v_lshlrev_b64 v[22:23], 2, v[12:13]
	v_cmp_le_i64_e32 vcc, s[10:11], v[22:23]
	s_or_b64 s[18:19], vcc, s[18:19]
	v_lshl_add_u64 v[10:11], v[10:11], 0, s[16:17]
	s_waitcnt vmcnt(1)
	v_cmp_gt_i64_e32 vcc, v[2:3], v[14:15]
	v_cmp_gt_i64_e64 s[2:3], v[4:5], v[16:17]
	s_waitcnt vmcnt(0)
	v_cmp_gt_i64_e64 s[4:5], v[6:7], v[18:19]
	v_cmp_gt_i64_e64 s[6:7], v[8:9], v[20:21]
	v_cndmask_b32_e32 v3, v15, v3, vcc
	v_cndmask_b32_e64 v5, v17, v5, s[2:3]
	v_cndmask_b32_e64 v7, v19, v7, s[4:5]
	;; [unrolled: 1-line block ×3, first 2 shown]
	v_cndmask_b32_e32 v2, v14, v2, vcc
	v_cndmask_b32_e64 v4, v16, v4, s[2:3]
	v_cndmask_b32_e64 v6, v18, v6, s[4:5]
	v_cndmask_b32_e64 v8, v20, v8, s[6:7]
	s_andn2_b64 exec, exec, s[18:19]
	s_cbranch_execnz .LBB6_17
; %bb.18:
	s_or_b64 exec, exec, s[18:19]
.LBB6_19:
	s_or_b64 exec, exec, s[14:15]
.LBB6_20:
	v_cmp_gt_i64_e32 vcc, v[2:3], v[4:5]
	v_mbcnt_lo_u32_b32 v1, -1, 0
	v_and_b32_e32 v12, 63, v0
	v_cndmask_b32_e32 v3, v5, v3, vcc
	v_cndmask_b32_e32 v2, v4, v2, vcc
	v_cmp_gt_i64_e32 vcc, v[2:3], v[6:7]
	s_barrier
	s_nop 0
	v_cndmask_b32_e32 v3, v7, v3, vcc
	v_cndmask_b32_e32 v2, v6, v2, vcc
	v_cmp_gt_i64_e32 vcc, v[2:3], v[8:9]
	v_mbcnt_hi_u32_b32 v6, -1, v1
	v_mov_b32_e32 v1, 0x80
	v_cndmask_b32_e32 v3, v9, v3, vcc
	v_cndmask_b32_e32 v2, v8, v2, vcc
	v_lshl_or_b32 v1, v6, 2, v1
	ds_bpermute_b32 v4, v1, v2
	ds_bpermute_b32 v5, v1, v3
	v_and_b32_e32 v11, 63, v6
	s_waitcnt lgkmcnt(0)
	v_cmp_gt_i64_e32 vcc, v[2:3], v[4:5]
	s_nop 1
	v_cndmask_b32_e32 v3, v5, v3, vcc
	v_cndmask_b32_e32 v2, v4, v2, vcc
	v_cmp_gt_u32_e32 vcc, 48, v11
	s_nop 1
	v_cndmask_b32_e64 v4, 0, 16, vcc
	v_add_lshl_u32 v7, v4, v6, 2
	ds_bpermute_b32 v4, v7, v2
	ds_bpermute_b32 v5, v7, v3
	s_waitcnt lgkmcnt(0)
	v_cmp_gt_i64_e32 vcc, v[2:3], v[4:5]
	s_nop 1
	v_cndmask_b32_e32 v3, v5, v3, vcc
	v_cndmask_b32_e32 v2, v4, v2, vcc
	v_cmp_gt_u32_e32 vcc, 56, v11
	s_nop 1
	v_cndmask_b32_e64 v4, 0, 8, vcc
	v_add_lshl_u32 v8, v4, v6, 2
	ds_bpermute_b32 v4, v8, v2
	ds_bpermute_b32 v5, v8, v3
	;; [unrolled: 11-line block ×4, first 2 shown]
	s_waitcnt lgkmcnt(0)
	v_cmp_gt_i64_e32 vcc, v[2:3], v[4:5]
	s_nop 1
	v_cndmask_b32_e32 v3, v5, v3, vcc
	v_cndmask_b32_e32 v2, v4, v2, vcc
	v_cmp_ne_u32_e32 vcc, 63, v11
	s_nop 1
	v_addc_co_u32_e32 v4, vcc, 0, v6, vcc
	v_lshlrev_b32_e32 v11, 2, v4
	ds_bpermute_b32 v4, v11, v2
	ds_bpermute_b32 v6, v11, v3
	v_cmp_eq_u32_e32 vcc, 0, v12
	s_and_saveexec_b64 s[2:3], vcc
	s_cbranch_execz .LBB6_22
; %bb.21:
	s_waitcnt lgkmcnt(0)
	v_mov_b32_e32 v5, v6
	v_cmp_gt_i64_e32 vcc, v[2:3], v[4:5]
	v_lshrrev_b32_e32 v13, 3, v0
	s_nop 0
	v_cndmask_b32_e32 v3, v6, v3, vcc
	v_cndmask_b32_e32 v2, v4, v2, vcc
	ds_write_b64 v13, v[2:3]
.LBB6_22:
	s_or_b64 exec, exec, s[2:3]
	s_waitcnt lgkmcnt(0)
	s_barrier
	s_load_dword s2, s[0:1], 0xd4c
	v_mov_b32_e32 v2, 0
	v_bfrev_b32_e32 v3, 1
	s_waitcnt lgkmcnt(0)
	s_bfe_u32 s2, s2, 0xa0006
	v_cmp_gt_u32_e32 vcc, s2, v0
	s_and_saveexec_b64 s[2:3], vcc
	s_cbranch_execnz .LBB6_26
; %bb.23:
	s_or_b64 exec, exec, s[2:3]
	v_cmp_gt_u32_e32 vcc, 64, v0
	s_and_saveexec_b64 s[2:3], vcc
	s_cbranch_execnz .LBB6_27
.LBB6_24:
	s_or_b64 exec, exec, s[2:3]
	v_cmp_eq_u32_e32 vcc, 0, v0
	s_and_saveexec_b64 s[2:3], vcc
	s_cbranch_execnz .LBB6_28
.LBB6_25:
	s_endpgm
.LBB6_26:
	v_lshlrev_b32_e32 v2, 3, v12
	ds_read_b64 v[2:3], v2
	s_or_b64 exec, exec, s[2:3]
	v_cmp_gt_u32_e32 vcc, 64, v0
	s_and_saveexec_b64 s[2:3], vcc
	s_cbranch_execz .LBB6_24
.LBB6_27:
	s_waitcnt lgkmcnt(0)
	ds_bpermute_b32 v4, v1, v3
	ds_bpermute_b32 v12, v1, v2
	s_waitcnt lgkmcnt(1)
	v_mov_b32_e32 v13, v4
	s_waitcnt lgkmcnt(0)
	v_cmp_gt_i64_e32 vcc, v[2:3], v[12:13]
	s_nop 1
	v_cndmask_b32_e32 v3, v4, v3, vcc
	v_cndmask_b32_e32 v2, v12, v2, vcc
	ds_bpermute_b32 v4, v7, v3
	ds_bpermute_b32 v6, v7, v2
	s_waitcnt lgkmcnt(1)
	v_mov_b32_e32 v7, v4
	s_waitcnt lgkmcnt(0)
	v_cmp_gt_i64_e32 vcc, v[2:3], v[6:7]
	s_nop 1
	v_cndmask_b32_e32 v3, v4, v3, vcc
	v_cndmask_b32_e32 v2, v6, v2, vcc
	;; [unrolled: 9-line block ×6, first 2 shown]
	s_or_b64 exec, exec, s[2:3]
	v_cmp_eq_u32_e32 vcc, 0, v0
	s_and_saveexec_b64 s[2:3], vcc
	s_cbranch_execz .LBB6_25
.LBB6_28:
	s_load_dword s4, s[0:1], 0xd20
	s_load_dword s5, s[0:1], 0xd38
	s_load_dwordx2 s[2:3], s[0:1], 0xd30
	v_mov_b32_e32 v0, 0
	s_waitcnt lgkmcnt(0)
	s_add_i32 s0, s4, s20
	s_mul_i32 s0, s0, s5
	s_add_i32 s0, s0, s8
	s_ashr_i32 s1, s0, 31
	s_lshl_b64 s[0:1], s[0:1], 3
	s_add_u32 s0, s2, s0
	s_addc_u32 s1, s3, s1
	global_store_dwordx2 v0, v[2:3], s[0:1]
	s_endpgm
	.section	.rodata,"a",@progbits
	.p2align	6, 0x0
	.amdhsa_kernel _ZN2at6native12_GLOBAL__N_125multi_tensor_apply_kernelINS1_18TensorListMetadataILi1EEENS0_12LpMaxFunctorIlLi1ELi1ELi0EEEJPliEEEvT_T0_DpT1_
		.amdhsa_group_segment_fixed_size 4096
		.amdhsa_private_segment_fixed_size 0
		.amdhsa_kernarg_size 3648
		.amdhsa_user_sgpr_count 2
		.amdhsa_user_sgpr_dispatch_ptr 0
		.amdhsa_user_sgpr_queue_ptr 0
		.amdhsa_user_sgpr_kernarg_segment_ptr 1
		.amdhsa_user_sgpr_dispatch_id 0
		.amdhsa_user_sgpr_kernarg_preload_length 0
		.amdhsa_user_sgpr_kernarg_preload_offset 0
		.amdhsa_user_sgpr_private_segment_size 0
		.amdhsa_uses_dynamic_stack 0
		.amdhsa_enable_private_segment 0
		.amdhsa_system_sgpr_workgroup_id_x 1
		.amdhsa_system_sgpr_workgroup_id_y 0
		.amdhsa_system_sgpr_workgroup_id_z 0
		.amdhsa_system_sgpr_workgroup_info 0
		.amdhsa_system_vgpr_workitem_id 0
		.amdhsa_next_free_vgpr 24
		.amdhsa_next_free_sgpr 24
		.amdhsa_accum_offset 24
		.amdhsa_reserve_vcc 1
		.amdhsa_float_round_mode_32 0
		.amdhsa_float_round_mode_16_64 0
		.amdhsa_float_denorm_mode_32 3
		.amdhsa_float_denorm_mode_16_64 3
		.amdhsa_dx10_clamp 1
		.amdhsa_ieee_mode 1
		.amdhsa_fp16_overflow 0
		.amdhsa_tg_split 0
		.amdhsa_exception_fp_ieee_invalid_op 0
		.amdhsa_exception_fp_denorm_src 0
		.amdhsa_exception_fp_ieee_div_zero 0
		.amdhsa_exception_fp_ieee_overflow 0
		.amdhsa_exception_fp_ieee_underflow 0
		.amdhsa_exception_fp_ieee_inexact 0
		.amdhsa_exception_int_div_zero 0
	.end_amdhsa_kernel
	.section	.text._ZN2at6native12_GLOBAL__N_125multi_tensor_apply_kernelINS1_18TensorListMetadataILi1EEENS0_12LpMaxFunctorIlLi1ELi1ELi0EEEJPliEEEvT_T0_DpT1_,"axG",@progbits,_ZN2at6native12_GLOBAL__N_125multi_tensor_apply_kernelINS1_18TensorListMetadataILi1EEENS0_12LpMaxFunctorIlLi1ELi1ELi0EEEJPliEEEvT_T0_DpT1_,comdat
.Lfunc_end6:
	.size	_ZN2at6native12_GLOBAL__N_125multi_tensor_apply_kernelINS1_18TensorListMetadataILi1EEENS0_12LpMaxFunctorIlLi1ELi1ELi0EEEJPliEEEvT_T0_DpT1_, .Lfunc_end6-_ZN2at6native12_GLOBAL__N_125multi_tensor_apply_kernelINS1_18TensorListMetadataILi1EEENS0_12LpMaxFunctorIlLi1ELi1ELi0EEEJPliEEEvT_T0_DpT1_
                                        ; -- End function
	.set _ZN2at6native12_GLOBAL__N_125multi_tensor_apply_kernelINS1_18TensorListMetadataILi1EEENS0_12LpMaxFunctorIlLi1ELi1ELi0EEEJPliEEEvT_T0_DpT1_.num_vgpr, 24
	.set _ZN2at6native12_GLOBAL__N_125multi_tensor_apply_kernelINS1_18TensorListMetadataILi1EEENS0_12LpMaxFunctorIlLi1ELi1ELi0EEEJPliEEEvT_T0_DpT1_.num_agpr, 0
	.set _ZN2at6native12_GLOBAL__N_125multi_tensor_apply_kernelINS1_18TensorListMetadataILi1EEENS0_12LpMaxFunctorIlLi1ELi1ELi0EEEJPliEEEvT_T0_DpT1_.numbered_sgpr, 24
	.set _ZN2at6native12_GLOBAL__N_125multi_tensor_apply_kernelINS1_18TensorListMetadataILi1EEENS0_12LpMaxFunctorIlLi1ELi1ELi0EEEJPliEEEvT_T0_DpT1_.num_named_barrier, 0
	.set _ZN2at6native12_GLOBAL__N_125multi_tensor_apply_kernelINS1_18TensorListMetadataILi1EEENS0_12LpMaxFunctorIlLi1ELi1ELi0EEEJPliEEEvT_T0_DpT1_.private_seg_size, 0
	.set _ZN2at6native12_GLOBAL__N_125multi_tensor_apply_kernelINS1_18TensorListMetadataILi1EEENS0_12LpMaxFunctorIlLi1ELi1ELi0EEEJPliEEEvT_T0_DpT1_.uses_vcc, 1
	.set _ZN2at6native12_GLOBAL__N_125multi_tensor_apply_kernelINS1_18TensorListMetadataILi1EEENS0_12LpMaxFunctorIlLi1ELi1ELi0EEEJPliEEEvT_T0_DpT1_.uses_flat_scratch, 0
	.set _ZN2at6native12_GLOBAL__N_125multi_tensor_apply_kernelINS1_18TensorListMetadataILi1EEENS0_12LpMaxFunctorIlLi1ELi1ELi0EEEJPliEEEvT_T0_DpT1_.has_dyn_sized_stack, 0
	.set _ZN2at6native12_GLOBAL__N_125multi_tensor_apply_kernelINS1_18TensorListMetadataILi1EEENS0_12LpMaxFunctorIlLi1ELi1ELi0EEEJPliEEEvT_T0_DpT1_.has_recursion, 0
	.set _ZN2at6native12_GLOBAL__N_125multi_tensor_apply_kernelINS1_18TensorListMetadataILi1EEENS0_12LpMaxFunctorIlLi1ELi1ELi0EEEJPliEEEvT_T0_DpT1_.has_indirect_call, 0
	.section	.AMDGPU.csdata,"",@progbits
; Kernel info:
; codeLenInByte = 1856
; TotalNumSgprs: 30
; NumVgprs: 24
; NumAgprs: 0
; TotalNumVgprs: 24
; ScratchSize: 0
; MemoryBound: 0
; FloatMode: 240
; IeeeMode: 1
; LDSByteSize: 4096 bytes/workgroup (compile time only)
; SGPRBlocks: 3
; VGPRBlocks: 2
; NumSGPRsForWavesPerEU: 30
; NumVGPRsForWavesPerEU: 24
; AccumOffset: 24
; Occupancy: 8
; WaveLimiterHint : 0
; COMPUTE_PGM_RSRC2:SCRATCH_EN: 0
; COMPUTE_PGM_RSRC2:USER_SGPR: 2
; COMPUTE_PGM_RSRC2:TRAP_HANDLER: 0
; COMPUTE_PGM_RSRC2:TGID_X_EN: 1
; COMPUTE_PGM_RSRC2:TGID_Y_EN: 0
; COMPUTE_PGM_RSRC2:TGID_Z_EN: 0
; COMPUTE_PGM_RSRC2:TIDIG_COMP_CNT: 0
; COMPUTE_PGM_RSRC3_GFX90A:ACCUM_OFFSET: 5
; COMPUTE_PGM_RSRC3_GFX90A:TG_SPLIT: 0
	.section	.text._ZN2at6native13lpmax_cleanupIlEEvPKT_NS0_19TensorListAddressesEi,"axG",@progbits,_ZN2at6native13lpmax_cleanupIlEEvPKT_NS0_19TensorListAddressesEi,comdat
	.protected	_ZN2at6native13lpmax_cleanupIlEEvPKT_NS0_19TensorListAddressesEi ; -- Begin function _ZN2at6native13lpmax_cleanupIlEEvPKT_NS0_19TensorListAddressesEi
	.globl	_ZN2at6native13lpmax_cleanupIlEEvPKT_NS0_19TensorListAddressesEi
	.p2align	8
	.type	_ZN2at6native13lpmax_cleanupIlEEvPKT_NS0_19TensorListAddressesEi,@function
_ZN2at6native13lpmax_cleanupIlEEvPKT_NS0_19TensorListAddressesEi: ; @_ZN2at6native13lpmax_cleanupIlEEvPKT_NS0_19TensorListAddressesEi
; %bb.0:
	s_load_dword s4, s[0:1], 0xc88
	s_mov_b32 s7, 0
	v_mov_b32_e32 v2, 0
	v_bfrev_b32_e32 v3, 1
	s_waitcnt lgkmcnt(0)
	v_cmp_gt_u32_e32 vcc, s4, v0
	s_and_saveexec_b64 s[8:9], vcc
	s_cbranch_execz .LBB7_4
; %bb.1:
	s_load_dwordx2 s[10:11], s[0:1], 0x0
	s_load_dword s3, s[0:1], 0xc9c
	s_mul_i32 s12, s4, s2
	s_mov_b32 s13, s7
	s_ashr_i32 s5, s4, 31
	s_lshl_b64 s[12:13], s[12:13], 3
	s_waitcnt lgkmcnt(0)
	s_and_b32 s6, s3, 0xffff
	s_add_u32 s10, s10, s12
	v_mov_b32_e32 v1, v2
	v_lshlrev_b32_e32 v4, 3, v0
	v_mov_b32_e32 v5, v2
	s_addc_u32 s11, s11, s13
	v_lshl_add_u64 v[4:5], s[10:11], 0, v[4:5]
	s_lshl_b32 s10, s6, 3
	s_mov_b32 s11, s7
	s_mov_b64 s[12:13], 0
	v_mov_b64_e32 v[6:7], v[0:1]
.LBB7_2:                                ; =>This Inner Loop Header: Depth=1
	global_load_dwordx2 v[8:9], v[4:5], off
	v_lshl_add_u64 v[6:7], v[6:7], 0, s[6:7]
	v_cmp_le_u64_e32 vcc, s[4:5], v[6:7]
	s_or_b64 s[12:13], vcc, s[12:13]
	v_lshl_add_u64 v[4:5], v[4:5], 0, s[10:11]
	s_waitcnt vmcnt(0)
	v_cmp_gt_i64_e32 vcc, v[2:3], v[8:9]
	s_nop 1
	v_cndmask_b32_e32 v3, v9, v3, vcc
	v_cndmask_b32_e32 v2, v8, v2, vcc
	s_andn2_b64 exec, exec, s[12:13]
	s_cbranch_execnz .LBB7_2
; %bb.3:
	s_or_b64 exec, exec, s[12:13]
.LBB7_4:
	s_or_b64 exec, exec, s[8:9]
	v_mbcnt_lo_u32_b32 v1, -1, 0
	v_mbcnt_hi_u32_b32 v6, -1, v1
	v_mov_b32_e32 v1, 0x80
	v_lshl_or_b32 v1, v6, 2, v1
	ds_bpermute_b32 v4, v1, v2
	ds_bpermute_b32 v5, v1, v3
	v_and_b32_e32 v11, 63, v6
	v_and_b32_e32 v12, 63, v0
	s_waitcnt lgkmcnt(0)
	s_barrier
	v_cmp_gt_i64_e32 vcc, v[2:3], v[4:5]
	s_nop 1
	v_cndmask_b32_e32 v3, v5, v3, vcc
	v_cndmask_b32_e32 v2, v4, v2, vcc
	v_cmp_gt_u32_e32 vcc, 48, v11
	s_nop 1
	v_cndmask_b32_e64 v4, 0, 16, vcc
	v_add_lshl_u32 v7, v4, v6, 2
	ds_bpermute_b32 v5, v7, v3
	ds_bpermute_b32 v4, v7, v2
	s_waitcnt lgkmcnt(0)
	v_cmp_gt_i64_e32 vcc, v[2:3], v[4:5]
	s_nop 1
	v_cndmask_b32_e32 v3, v5, v3, vcc
	v_cndmask_b32_e32 v2, v4, v2, vcc
	v_cmp_gt_u32_e32 vcc, 56, v11
	s_nop 1
	v_cndmask_b32_e64 v4, 0, 8, vcc
	v_add_lshl_u32 v8, v4, v6, 2
	ds_bpermute_b32 v4, v8, v2
	ds_bpermute_b32 v5, v8, v3
	s_waitcnt lgkmcnt(0)
	;; [unrolled: 11-line block ×4, first 2 shown]
	v_cmp_gt_i64_e32 vcc, v[2:3], v[4:5]
	s_nop 1
	v_cndmask_b32_e32 v3, v5, v3, vcc
	v_cndmask_b32_e32 v2, v4, v2, vcc
	v_cmp_ne_u32_e32 vcc, 63, v11
	s_nop 1
	v_addc_co_u32_e32 v4, vcc, 0, v6, vcc
	v_lshlrev_b32_e32 v11, 2, v4
	ds_bpermute_b32 v4, v11, v2
	ds_bpermute_b32 v6, v11, v3
	v_cmp_eq_u32_e32 vcc, 0, v12
	s_and_saveexec_b64 s[4:5], vcc
	s_cbranch_execz .LBB7_6
; %bb.5:
	s_waitcnt lgkmcnt(0)
	v_mov_b32_e32 v5, v6
	v_cmp_gt_i64_e32 vcc, v[2:3], v[4:5]
	s_nop 1
	v_cndmask_b32_e32 v3, v6, v3, vcc
	v_cndmask_b32_e32 v2, v4, v2, vcc
	v_lshrrev_b32_e32 v4, 3, v0
	ds_write_b64 v4, v[2:3]
.LBB7_6:
	s_or_b64 exec, exec, s[4:5]
	s_waitcnt lgkmcnt(0)
	s_barrier
	s_load_dword s3, s[0:1], 0xc9c
	v_mov_b32_e32 v2, 0
	v_bfrev_b32_e32 v3, 1
	s_waitcnt lgkmcnt(0)
	s_bfe_u32 s3, s3, 0xa0006
	v_cmp_gt_u32_e32 vcc, s3, v0
	s_and_saveexec_b64 s[4:5], vcc
; %bb.7:
	v_lshlrev_b32_e32 v2, 3, v12
	ds_read_b64 v[2:3], v2
; %bb.8:
	s_or_b64 exec, exec, s[4:5]
	v_cmp_gt_u32_e32 vcc, 64, v0
	s_and_saveexec_b64 s[4:5], vcc
	s_cbranch_execz .LBB7_10
; %bb.9:
	s_waitcnt lgkmcnt(0)
	ds_bpermute_b32 v4, v1, v3
	ds_bpermute_b32 v12, v1, v2
	s_waitcnt lgkmcnt(1)
	v_mov_b32_e32 v13, v4
	s_waitcnt lgkmcnt(0)
	v_cmp_gt_i64_e32 vcc, v[2:3], v[12:13]
	s_nop 1
	v_cndmask_b32_e32 v3, v4, v3, vcc
	v_cndmask_b32_e32 v2, v12, v2, vcc
	ds_bpermute_b32 v4, v7, v3
	ds_bpermute_b32 v6, v7, v2
	s_waitcnt lgkmcnt(1)
	v_mov_b32_e32 v7, v4
	s_waitcnt lgkmcnt(0)
	v_cmp_gt_i64_e32 vcc, v[2:3], v[6:7]
	s_nop 1
	v_cndmask_b32_e32 v3, v4, v3, vcc
	v_cndmask_b32_e32 v2, v6, v2, vcc
	;; [unrolled: 9-line block ×6, first 2 shown]
.LBB7_10:
	s_or_b64 exec, exec, s[4:5]
	s_mov_b32 s3, 0
	v_cmp_eq_u32_e32 vcc, 0, v0
	s_and_saveexec_b64 s[4:5], vcc
	s_cbranch_execz .LBB7_12
; %bb.11:
	s_lshl_b64 s[2:3], s[2:3], 3
	s_add_u32 s0, s0, s2
	s_addc_u32 s1, s1, s3
	s_load_dwordx2 s[0:1], s[0:1], 0x8
	v_mov_b32_e32 v0, 0
	s_waitcnt lgkmcnt(0)
	global_store_dwordx2 v0, v[2:3], s[0:1]
.LBB7_12:
	s_endpgm
	.section	.rodata,"a",@progbits
	.p2align	6, 0x0
	.amdhsa_kernel _ZN2at6native13lpmax_cleanupIlEEvPKT_NS0_19TensorListAddressesEi
		.amdhsa_group_segment_fixed_size 4096
		.amdhsa_private_segment_fixed_size 0
		.amdhsa_kernarg_size 3472
		.amdhsa_user_sgpr_count 2
		.amdhsa_user_sgpr_dispatch_ptr 0
		.amdhsa_user_sgpr_queue_ptr 0
		.amdhsa_user_sgpr_kernarg_segment_ptr 1
		.amdhsa_user_sgpr_dispatch_id 0
		.amdhsa_user_sgpr_kernarg_preload_length 0
		.amdhsa_user_sgpr_kernarg_preload_offset 0
		.amdhsa_user_sgpr_private_segment_size 0
		.amdhsa_uses_dynamic_stack 0
		.amdhsa_enable_private_segment 0
		.amdhsa_system_sgpr_workgroup_id_x 1
		.amdhsa_system_sgpr_workgroup_id_y 0
		.amdhsa_system_sgpr_workgroup_id_z 0
		.amdhsa_system_sgpr_workgroup_info 0
		.amdhsa_system_vgpr_workitem_id 0
		.amdhsa_next_free_vgpr 14
		.amdhsa_next_free_sgpr 14
		.amdhsa_accum_offset 16
		.amdhsa_reserve_vcc 1
		.amdhsa_float_round_mode_32 0
		.amdhsa_float_round_mode_16_64 0
		.amdhsa_float_denorm_mode_32 3
		.amdhsa_float_denorm_mode_16_64 3
		.amdhsa_dx10_clamp 1
		.amdhsa_ieee_mode 1
		.amdhsa_fp16_overflow 0
		.amdhsa_tg_split 0
		.amdhsa_exception_fp_ieee_invalid_op 0
		.amdhsa_exception_fp_denorm_src 0
		.amdhsa_exception_fp_ieee_div_zero 0
		.amdhsa_exception_fp_ieee_overflow 0
		.amdhsa_exception_fp_ieee_underflow 0
		.amdhsa_exception_fp_ieee_inexact 0
		.amdhsa_exception_int_div_zero 0
	.end_amdhsa_kernel
	.section	.text._ZN2at6native13lpmax_cleanupIlEEvPKT_NS0_19TensorListAddressesEi,"axG",@progbits,_ZN2at6native13lpmax_cleanupIlEEvPKT_NS0_19TensorListAddressesEi,comdat
.Lfunc_end7:
	.size	_ZN2at6native13lpmax_cleanupIlEEvPKT_NS0_19TensorListAddressesEi, .Lfunc_end7-_ZN2at6native13lpmax_cleanupIlEEvPKT_NS0_19TensorListAddressesEi
                                        ; -- End function
	.set _ZN2at6native13lpmax_cleanupIlEEvPKT_NS0_19TensorListAddressesEi.num_vgpr, 14
	.set _ZN2at6native13lpmax_cleanupIlEEvPKT_NS0_19TensorListAddressesEi.num_agpr, 0
	.set _ZN2at6native13lpmax_cleanupIlEEvPKT_NS0_19TensorListAddressesEi.numbered_sgpr, 14
	.set _ZN2at6native13lpmax_cleanupIlEEvPKT_NS0_19TensorListAddressesEi.num_named_barrier, 0
	.set _ZN2at6native13lpmax_cleanupIlEEvPKT_NS0_19TensorListAddressesEi.private_seg_size, 0
	.set _ZN2at6native13lpmax_cleanupIlEEvPKT_NS0_19TensorListAddressesEi.uses_vcc, 1
	.set _ZN2at6native13lpmax_cleanupIlEEvPKT_NS0_19TensorListAddressesEi.uses_flat_scratch, 0
	.set _ZN2at6native13lpmax_cleanupIlEEvPKT_NS0_19TensorListAddressesEi.has_dyn_sized_stack, 0
	.set _ZN2at6native13lpmax_cleanupIlEEvPKT_NS0_19TensorListAddressesEi.has_recursion, 0
	.set _ZN2at6native13lpmax_cleanupIlEEvPKT_NS0_19TensorListAddressesEi.has_indirect_call, 0
	.section	.AMDGPU.csdata,"",@progbits
; Kernel info:
; codeLenInByte = 996
; TotalNumSgprs: 20
; NumVgprs: 14
; NumAgprs: 0
; TotalNumVgprs: 14
; ScratchSize: 0
; MemoryBound: 0
; FloatMode: 240
; IeeeMode: 1
; LDSByteSize: 4096 bytes/workgroup (compile time only)
; SGPRBlocks: 2
; VGPRBlocks: 1
; NumSGPRsForWavesPerEU: 20
; NumVGPRsForWavesPerEU: 14
; AccumOffset: 16
; Occupancy: 8
; WaveLimiterHint : 0
; COMPUTE_PGM_RSRC2:SCRATCH_EN: 0
; COMPUTE_PGM_RSRC2:USER_SGPR: 2
; COMPUTE_PGM_RSRC2:TRAP_HANDLER: 0
; COMPUTE_PGM_RSRC2:TGID_X_EN: 1
; COMPUTE_PGM_RSRC2:TGID_Y_EN: 0
; COMPUTE_PGM_RSRC2:TGID_Z_EN: 0
; COMPUTE_PGM_RSRC2:TIDIG_COMP_CNT: 0
; COMPUTE_PGM_RSRC3_GFX90A:ACCUM_OFFSET: 3
; COMPUTE_PGM_RSRC3_GFX90A:TG_SPLIT: 0
	.section	.text._ZN2at6native12_GLOBAL__N_125multi_tensor_apply_kernelINS1_18TensorListMetadataILi1EEENS0_12LpMaxFunctorIsLi1ELi1ELi0EEEJPsiEEEvT_T0_DpT1_,"axG",@progbits,_ZN2at6native12_GLOBAL__N_125multi_tensor_apply_kernelINS1_18TensorListMetadataILi1EEENS0_12LpMaxFunctorIsLi1ELi1ELi0EEEJPsiEEEvT_T0_DpT1_,comdat
	.globl	_ZN2at6native12_GLOBAL__N_125multi_tensor_apply_kernelINS1_18TensorListMetadataILi1EEENS0_12LpMaxFunctorIsLi1ELi1ELi0EEEJPsiEEEvT_T0_DpT1_ ; -- Begin function _ZN2at6native12_GLOBAL__N_125multi_tensor_apply_kernelINS1_18TensorListMetadataILi1EEENS0_12LpMaxFunctorIsLi1ELi1ELi0EEEJPsiEEEvT_T0_DpT1_
	.p2align	8
	.type	_ZN2at6native12_GLOBAL__N_125multi_tensor_apply_kernelINS1_18TensorListMetadataILi1EEENS0_12LpMaxFunctorIsLi1ELi1ELi0EEEJPsiEEEvT_T0_DpT1_,@function
_ZN2at6native12_GLOBAL__N_125multi_tensor_apply_kernelINS1_18TensorListMetadataILi1EEENS0_12LpMaxFunctorIsLi1ELi1ELi0EEEJPsiEEEvT_T0_DpT1_: ; @_ZN2at6native12_GLOBAL__N_125multi_tensor_apply_kernelINS1_18TensorListMetadataILi1EEENS0_12LpMaxFunctorIsLi1ELi1ELi0EEEJPsiEEEvT_T0_DpT1_
; %bb.0:
	v_mov_b32_e32 v1, s2
	global_load_ubyte v1, v1, s[0:1] offset:1760
	s_add_u32 s3, s0, s2
	s_mul_hi_u32 s4, s2, 3
	s_mul_i32 s2, s2, 3
	s_addc_u32 s5, s1, 0
	s_add_u32 s2, s3, s2
	s_addc_u32 s3, s5, s4
	s_load_dword s4, s[2:3], 0x820
	s_mov_b32 s15, 0
	s_waitcnt vmcnt(0)
	v_readfirstlane_b32 s2, v1
	s_and_b32 s16, s2, 0xff
	s_lshl_b32 s5, s16, 3
	s_load_dwordx2 s[2:3], s[0:1], s5 offset:0x370
	s_load_dwordx2 s[6:7], s[0:1], s5 offset:0x0
	s_waitcnt lgkmcnt(0)
	s_ashr_i32 s5, s4, 31
	s_lshl_b64 s[10:11], s[4:5], 16
	s_lshl_b64 s[8:9], s[4:5], 17
	s_add_u32 s12, s6, s8
	s_addc_u32 s13, s7, s9
	s_sub_u32 s10, s2, s10
	s_subb_u32 s11, s3, s11
	s_and_b32 s14, s2, 3
	s_and_b32 s2, s12, 7
	s_mov_b32 s3, s15
	s_or_b64 s[2:3], s[14:15], s[2:3]
	s_cmp_eq_u64 s[2:3], 0
	s_cbranch_scc1 .LBB8_12
; %bb.1:
	v_cmp_lt_i64_e64 s[2:3], s[10:11], 1
	s_and_b64 vcc, exec, s[2:3]
	s_cbranch_vccnz .LBB8_13
; %bb.2:
	s_load_dword s14, s[0:1], 0xd4c
	v_mov_b64_e32 v[2:3], 0x10000
	v_cmp_lt_i64_e32 vcc, s[10:11], v[2:3]
	s_and_b64 s[2:3], vcc, exec
	s_cselect_b32 s3, s11, 0
	s_cselect_b32 s2, s10, 0x10000
	s_waitcnt lgkmcnt(0)
	s_and_b32 s19, s14, 0xffff
	v_mad_u64_u32 v[8:9], s[14:15], s19, 3, v[0:1]
	v_mov_b32_e32 v2, 0x80008000
	s_mov_b32 s5, 0x10000
	v_mov_b32_e32 v5, 0
	s_mov_b32 s17, 0xffff
	s_lshl_b32 s18, s19, 2
	v_lshl_add_u32 v6, s19, 1, v0
	v_add_u32_e32 v10, s19, v0
	v_mov_b32_e32 v3, v2
	s_mov_b64 s[14:15], 0
	s_mov_b32 s19, 0x5040100
	v_mov_b64_e32 v[12:13], s[2:3]
	s_branch .LBB8_4
.LBB8_3:                                ;   in Loop: Header=BB8_4 Depth=1
	s_or_b64 exec, exec, s[2:3]
	s_add_u32 s14, s14, s18
	s_addc_u32 s15, s15, 0
	v_cmp_lt_i64_e32 vcc, s[14:15], v[12:13]
	s_cbranch_vccz .LBB8_14
.LBB8_4:                                ; =>This Inner Loop Header: Depth=1
	v_add_u32_e32 v4, s14, v0
	v_cmp_gt_i64_e32 vcc, s[10:11], v[4:5]
	v_cmp_gt_u32_e64 s[2:3], s5, v4
	s_and_b64 s[20:21], s[2:3], vcc
	s_and_saveexec_b64 s[2:3], s[20:21]
	s_cbranch_execz .LBB8_6
; %bb.5:                                ;   in Loop: Header=BB8_4 Depth=1
	v_lshl_add_u64 v[14:15], v[4:5], 1, s[12:13]
	global_load_ushort v1, v[14:15], off
	s_waitcnt vmcnt(0)
	v_max_i16_e32 v1, v2, v1
	v_bfi_b32 v2, s17, v1, v2
.LBB8_6:                                ;   in Loop: Header=BB8_4 Depth=1
	s_or_b64 exec, exec, s[2:3]
	v_add_u32_e32 v4, s14, v10
	v_cmp_gt_i64_e32 vcc, s[10:11], v[4:5]
	v_cmp_gt_u32_e64 s[2:3], s5, v4
	s_and_b64 s[20:21], s[2:3], vcc
	s_and_saveexec_b64 s[2:3], s[20:21]
	s_cbranch_execz .LBB8_8
; %bb.7:                                ;   in Loop: Header=BB8_4 Depth=1
	v_lshl_add_u64 v[14:15], v[4:5], 1, s[12:13]
	global_load_ushort v1, v[14:15], off
	s_waitcnt vmcnt(0)
	v_max_i16_sdwa v1, v2, v1 dst_sel:DWORD dst_unused:UNUSED_PAD src0_sel:WORD_1 src1_sel:DWORD
	v_perm_b32 v2, v1, v2, s19
.LBB8_8:                                ;   in Loop: Header=BB8_4 Depth=1
	s_or_b64 exec, exec, s[2:3]
	v_add_u32_e32 v4, s14, v6
	v_cmp_gt_i64_e32 vcc, s[10:11], v[4:5]
	v_cmp_gt_u32_e64 s[2:3], s5, v4
	s_and_b64 s[20:21], s[2:3], vcc
	s_and_saveexec_b64 s[2:3], s[20:21]
	s_cbranch_execz .LBB8_10
; %bb.9:                                ;   in Loop: Header=BB8_4 Depth=1
	v_lshl_add_u64 v[14:15], v[4:5], 1, s[12:13]
	global_load_ushort v1, v[14:15], off
	s_waitcnt vmcnt(0)
	v_max_i16_e32 v1, v3, v1
	v_bfi_b32 v3, s17, v1, v3
.LBB8_10:                               ;   in Loop: Header=BB8_4 Depth=1
	s_or_b64 exec, exec, s[2:3]
	v_add_u32_e32 v4, s14, v8
	v_cmp_gt_i64_e32 vcc, s[10:11], v[4:5]
	v_cmp_gt_u32_e64 s[2:3], s5, v4
	s_and_b64 s[20:21], s[2:3], vcc
	s_and_saveexec_b64 s[2:3], s[20:21]
	s_cbranch_execz .LBB8_3
; %bb.11:                               ;   in Loop: Header=BB8_4 Depth=1
	v_lshl_add_u64 v[14:15], v[4:5], 1, s[12:13]
	global_load_ushort v1, v[14:15], off
	s_waitcnt vmcnt(0)
	v_max_i16_sdwa v1, v3, v1 dst_sel:DWORD dst_unused:UNUSED_PAD src0_sel:WORD_1 src1_sel:DWORD
	v_perm_b32 v3, v1, v3, s19
	s_branch .LBB8_3
.LBB8_12:
                                        ; implicit-def: $vgpr2_vgpr3
	s_branch .LBB8_15
.LBB8_13:
	v_mov_b32_e32 v2, 0x80008000
	v_mov_b32_e32 v3, v2
.LBB8_14:
	s_cbranch_execnz .LBB8_20
.LBB8_15:
	v_mov_b64_e32 v[2:3], 0x10000
	v_cmp_lt_i64_e32 vcc, s[10:11], v[2:3]
	s_and_b64 s[12:13], vcc, exec
	v_mov_b32_e32 v5, 0
	s_cselect_b32 s11, s11, 0
	s_cselect_b32 s10, s10, 0x10000
	v_lshlrev_b32_e32 v4, 2, v0
	v_mov_b32_e32 v2, 0x80008000
	s_mov_b32 s3, 0
	v_cmp_gt_i64_e32 vcc, s[10:11], v[4:5]
	v_mov_b32_e32 v3, v2
	s_and_saveexec_b64 s[12:13], vcc
	s_cbranch_execz .LBB8_19
; %bb.16:
	s_load_dword s2, s[0:1], 0xd4c
	v_mov_b32_e32 v1, v5
	v_lshlrev_b32_e32 v4, 3, v0
	s_mov_b32 s15, s3
	v_mov_b64_e32 v[6:7], v[0:1]
	s_waitcnt lgkmcnt(0)
	s_and_b32 s2, s2, 0xffff
	s_add_u32 s6, s6, s8
	s_addc_u32 s7, s7, s9
	s_lshl_b32 s14, s2, 3
	v_lshl_add_u64 v[4:5], s[6:7], 0, v[4:5]
	s_mov_b64 s[6:7], 0
	v_mov_b32_e32 v3, 0x80008000
.LBB8_17:                               ; =>This Inner Loop Header: Depth=1
	global_load_dwordx2 v[8:9], v[4:5], off
	v_lshl_add_u64 v[6:7], v[6:7], 0, s[2:3]
	v_lshlrev_b64 v[10:11], 2, v[6:7]
	v_cmp_le_i64_e32 vcc, s[10:11], v[10:11]
	v_lshl_add_u64 v[4:5], v[4:5], 0, s[14:15]
	s_or_b64 s[6:7], vcc, s[6:7]
	s_waitcnt vmcnt(0)
	v_pk_max_i16 v3, v3, v9
	v_pk_max_i16 v2, v2, v8
	s_andn2_b64 exec, exec, s[6:7]
	s_cbranch_execnz .LBB8_17
; %bb.18:
	s_or_b64 exec, exec, s[6:7]
.LBB8_19:
	s_or_b64 exec, exec, s[12:13]
.LBB8_20:
	v_max_i16_sdwa v1, v2, v2 dst_sel:DWORD dst_unused:UNUSED_PAD src0_sel:DWORD src1_sel:WORD_1
	v_lshrrev_b32_e32 v2, 16, v3
	v_max3_i16 v2, v1, v3, v2
	v_mbcnt_lo_u32_b32 v1, -1, 0
	v_mbcnt_hi_u32_b32 v6, -1, v1
	v_mov_b32_e32 v1, 0x80
	v_bfe_i32 v3, v2, 0, 16
	v_lshl_or_b32 v1, v6, 2, v1
	ds_bpermute_b32 v3, v1, v3
	v_and_b32_e32 v9, 63, v6
	v_cmp_gt_u32_e32 vcc, 48, v9
	s_waitcnt lgkmcnt(0)
	s_barrier
	v_max_i16_e32 v3, v2, v3
	v_cndmask_b32_e64 v2, 0, 16, vcc
	v_bfe_i32 v4, v3, 0, 16
	v_add_lshl_u32 v2, v2, v6, 2
	ds_bpermute_b32 v4, v2, v4
	v_cmp_gt_u32_e32 vcc, 56, v9
	s_waitcnt lgkmcnt(0)
	v_max_i16_e32 v4, v3, v4
	v_cndmask_b32_e64 v3, 0, 8, vcc
	v_bfe_i32 v5, v4, 0, 16
	v_add_lshl_u32 v3, v3, v6, 2
	ds_bpermute_b32 v5, v3, v5
	v_cmp_gt_u32_e32 vcc, 60, v9
	s_waitcnt lgkmcnt(0)
	;; [unrolled: 7-line block ×3, first 2 shown]
	v_max_i16_e32 v7, v5, v7
	v_cndmask_b32_e64 v5, 0, 2, vcc
	v_bfe_i32 v8, v7, 0, 16
	v_add_lshl_u32 v5, v5, v6, 2
	ds_bpermute_b32 v10, v5, v8
	v_cmp_ne_u32_e32 vcc, 63, v9
	v_and_b32_e32 v8, 63, v0
	s_waitcnt lgkmcnt(0)
	v_max_i16_e32 v7, v7, v10
	v_addc_co_u32_e32 v6, vcc, 0, v6, vcc
	v_bfe_i32 v10, v7, 0, 16
	v_lshlrev_b32_e32 v6, 2, v6
	ds_bpermute_b32 v9, v6, v10
	v_cmp_eq_u32_e32 vcc, 0, v8
	s_and_saveexec_b64 s[2:3], vcc
	s_cbranch_execz .LBB8_22
; %bb.21:
	v_lshrrev_b32_e32 v10, 5, v0
	s_waitcnt lgkmcnt(0)
	v_max_i16_e32 v7, v7, v9
	ds_write_b16 v10, v7
.LBB8_22:
	s_or_b64 exec, exec, s[2:3]
	s_waitcnt lgkmcnt(0)
	s_barrier
	s_load_dword s2, s[0:1], 0xd4c
	v_mov_b32_e32 v7, 0xffff8000
	s_waitcnt lgkmcnt(0)
	s_bfe_u32 s2, s2, 0xa0006
	v_cmp_gt_u32_e32 vcc, s2, v0
	s_and_saveexec_b64 s[2:3], vcc
	s_cbranch_execnz .LBB8_26
; %bb.23:
	s_or_b64 exec, exec, s[2:3]
	v_cmp_gt_u32_e32 vcc, 64, v0
	s_and_saveexec_b64 s[2:3], vcc
	s_cbranch_execnz .LBB8_27
.LBB8_24:
	s_or_b64 exec, exec, s[2:3]
	v_cmp_eq_u32_e32 vcc, 0, v0
	s_and_saveexec_b64 s[2:3], vcc
	s_cbranch_execnz .LBB8_28
.LBB8_25:
	s_endpgm
.LBB8_26:
	v_lshlrev_b32_e32 v7, 1, v8
	ds_read_u16 v7, v7
	s_or_b64 exec, exec, s[2:3]
	v_cmp_gt_u32_e32 vcc, 64, v0
	s_and_saveexec_b64 s[2:3], vcc
	s_cbranch_execz .LBB8_24
.LBB8_27:
	s_waitcnt lgkmcnt(0)
	v_bfe_i32 v8, v7, 0, 16
	ds_bpermute_b32 v1, v1, v8
	s_waitcnt lgkmcnt(0)
	v_max_i16_e32 v1, v7, v1
	v_bfe_i32 v7, v1, 0, 16
	ds_bpermute_b32 v2, v2, v7
	s_waitcnt lgkmcnt(0)
	v_max_i16_e32 v1, v1, v2
	;; [unrolled: 4-line block ×6, first 2 shown]
	s_or_b64 exec, exec, s[2:3]
	v_cmp_eq_u32_e32 vcc, 0, v0
	s_and_saveexec_b64 s[2:3], vcc
	s_cbranch_execz .LBB8_25
.LBB8_28:
	s_load_dword s5, s[0:1], 0xd20
	s_load_dword s6, s[0:1], 0xd38
	s_load_dwordx2 s[2:3], s[0:1], 0xd30
	v_mov_b32_e32 v0, 0
	s_waitcnt lgkmcnt(0)
	s_add_i32 s0, s5, s16
	s_mul_i32 s0, s0, s6
	s_add_i32 s0, s0, s4
	s_ashr_i32 s1, s0, 31
	s_lshl_b64 s[0:1], s[0:1], 1
	s_add_u32 s0, s2, s0
	s_addc_u32 s1, s3, s1
	global_store_short v0, v7, s[0:1]
	s_endpgm
	.section	.rodata,"a",@progbits
	.p2align	6, 0x0
	.amdhsa_kernel _ZN2at6native12_GLOBAL__N_125multi_tensor_apply_kernelINS1_18TensorListMetadataILi1EEENS0_12LpMaxFunctorIsLi1ELi1ELi0EEEJPsiEEEvT_T0_DpT1_
		.amdhsa_group_segment_fixed_size 1024
		.amdhsa_private_segment_fixed_size 0
		.amdhsa_kernarg_size 3648
		.amdhsa_user_sgpr_count 2
		.amdhsa_user_sgpr_dispatch_ptr 0
		.amdhsa_user_sgpr_queue_ptr 0
		.amdhsa_user_sgpr_kernarg_segment_ptr 1
		.amdhsa_user_sgpr_dispatch_id 0
		.amdhsa_user_sgpr_kernarg_preload_length 0
		.amdhsa_user_sgpr_kernarg_preload_offset 0
		.amdhsa_user_sgpr_private_segment_size 0
		.amdhsa_uses_dynamic_stack 0
		.amdhsa_enable_private_segment 0
		.amdhsa_system_sgpr_workgroup_id_x 1
		.amdhsa_system_sgpr_workgroup_id_y 0
		.amdhsa_system_sgpr_workgroup_id_z 0
		.amdhsa_system_sgpr_workgroup_info 0
		.amdhsa_system_vgpr_workitem_id 0
		.amdhsa_next_free_vgpr 16
		.amdhsa_next_free_sgpr 22
		.amdhsa_accum_offset 16
		.amdhsa_reserve_vcc 1
		.amdhsa_float_round_mode_32 0
		.amdhsa_float_round_mode_16_64 0
		.amdhsa_float_denorm_mode_32 3
		.amdhsa_float_denorm_mode_16_64 3
		.amdhsa_dx10_clamp 1
		.amdhsa_ieee_mode 1
		.amdhsa_fp16_overflow 0
		.amdhsa_tg_split 0
		.amdhsa_exception_fp_ieee_invalid_op 0
		.amdhsa_exception_fp_denorm_src 0
		.amdhsa_exception_fp_ieee_div_zero 0
		.amdhsa_exception_fp_ieee_overflow 0
		.amdhsa_exception_fp_ieee_underflow 0
		.amdhsa_exception_fp_ieee_inexact 0
		.amdhsa_exception_int_div_zero 0
	.end_amdhsa_kernel
	.section	.text._ZN2at6native12_GLOBAL__N_125multi_tensor_apply_kernelINS1_18TensorListMetadataILi1EEENS0_12LpMaxFunctorIsLi1ELi1ELi0EEEJPsiEEEvT_T0_DpT1_,"axG",@progbits,_ZN2at6native12_GLOBAL__N_125multi_tensor_apply_kernelINS1_18TensorListMetadataILi1EEENS0_12LpMaxFunctorIsLi1ELi1ELi0EEEJPsiEEEvT_T0_DpT1_,comdat
.Lfunc_end8:
	.size	_ZN2at6native12_GLOBAL__N_125multi_tensor_apply_kernelINS1_18TensorListMetadataILi1EEENS0_12LpMaxFunctorIsLi1ELi1ELi0EEEJPsiEEEvT_T0_DpT1_, .Lfunc_end8-_ZN2at6native12_GLOBAL__N_125multi_tensor_apply_kernelINS1_18TensorListMetadataILi1EEENS0_12LpMaxFunctorIsLi1ELi1ELi0EEEJPsiEEEvT_T0_DpT1_
                                        ; -- End function
	.set _ZN2at6native12_GLOBAL__N_125multi_tensor_apply_kernelINS1_18TensorListMetadataILi1EEENS0_12LpMaxFunctorIsLi1ELi1ELi0EEEJPsiEEEvT_T0_DpT1_.num_vgpr, 16
	.set _ZN2at6native12_GLOBAL__N_125multi_tensor_apply_kernelINS1_18TensorListMetadataILi1EEENS0_12LpMaxFunctorIsLi1ELi1ELi0EEEJPsiEEEvT_T0_DpT1_.num_agpr, 0
	.set _ZN2at6native12_GLOBAL__N_125multi_tensor_apply_kernelINS1_18TensorListMetadataILi1EEENS0_12LpMaxFunctorIsLi1ELi1ELi0EEEJPsiEEEvT_T0_DpT1_.numbered_sgpr, 22
	.set _ZN2at6native12_GLOBAL__N_125multi_tensor_apply_kernelINS1_18TensorListMetadataILi1EEENS0_12LpMaxFunctorIsLi1ELi1ELi0EEEJPsiEEEvT_T0_DpT1_.num_named_barrier, 0
	.set _ZN2at6native12_GLOBAL__N_125multi_tensor_apply_kernelINS1_18TensorListMetadataILi1EEENS0_12LpMaxFunctorIsLi1ELi1ELi0EEEJPsiEEEvT_T0_DpT1_.private_seg_size, 0
	.set _ZN2at6native12_GLOBAL__N_125multi_tensor_apply_kernelINS1_18TensorListMetadataILi1EEENS0_12LpMaxFunctorIsLi1ELi1ELi0EEEJPsiEEEvT_T0_DpT1_.uses_vcc, 1
	.set _ZN2at6native12_GLOBAL__N_125multi_tensor_apply_kernelINS1_18TensorListMetadataILi1EEENS0_12LpMaxFunctorIsLi1ELi1ELi0EEEJPsiEEEvT_T0_DpT1_.uses_flat_scratch, 0
	.set _ZN2at6native12_GLOBAL__N_125multi_tensor_apply_kernelINS1_18TensorListMetadataILi1EEENS0_12LpMaxFunctorIsLi1ELi1ELi0EEEJPsiEEEvT_T0_DpT1_.has_dyn_sized_stack, 0
	.set _ZN2at6native12_GLOBAL__N_125multi_tensor_apply_kernelINS1_18TensorListMetadataILi1EEENS0_12LpMaxFunctorIsLi1ELi1ELi0EEEJPsiEEEvT_T0_DpT1_.has_recursion, 0
	.set _ZN2at6native12_GLOBAL__N_125multi_tensor_apply_kernelINS1_18TensorListMetadataILi1EEENS0_12LpMaxFunctorIsLi1ELi1ELi0EEEJPsiEEEvT_T0_DpT1_.has_indirect_call, 0
	.section	.AMDGPU.csdata,"",@progbits
; Kernel info:
; codeLenInByte = 1468
; TotalNumSgprs: 28
; NumVgprs: 16
; NumAgprs: 0
; TotalNumVgprs: 16
; ScratchSize: 0
; MemoryBound: 0
; FloatMode: 240
; IeeeMode: 1
; LDSByteSize: 1024 bytes/workgroup (compile time only)
; SGPRBlocks: 3
; VGPRBlocks: 1
; NumSGPRsForWavesPerEU: 28
; NumVGPRsForWavesPerEU: 16
; AccumOffset: 16
; Occupancy: 8
; WaveLimiterHint : 0
; COMPUTE_PGM_RSRC2:SCRATCH_EN: 0
; COMPUTE_PGM_RSRC2:USER_SGPR: 2
; COMPUTE_PGM_RSRC2:TRAP_HANDLER: 0
; COMPUTE_PGM_RSRC2:TGID_X_EN: 1
; COMPUTE_PGM_RSRC2:TGID_Y_EN: 0
; COMPUTE_PGM_RSRC2:TGID_Z_EN: 0
; COMPUTE_PGM_RSRC2:TIDIG_COMP_CNT: 0
; COMPUTE_PGM_RSRC3_GFX90A:ACCUM_OFFSET: 3
; COMPUTE_PGM_RSRC3_GFX90A:TG_SPLIT: 0
	.section	.text._ZN2at6native13lpmax_cleanupIsEEvPKT_NS0_19TensorListAddressesEi,"axG",@progbits,_ZN2at6native13lpmax_cleanupIsEEvPKT_NS0_19TensorListAddressesEi,comdat
	.protected	_ZN2at6native13lpmax_cleanupIsEEvPKT_NS0_19TensorListAddressesEi ; -- Begin function _ZN2at6native13lpmax_cleanupIsEEvPKT_NS0_19TensorListAddressesEi
	.globl	_ZN2at6native13lpmax_cleanupIsEEvPKT_NS0_19TensorListAddressesEi
	.p2align	8
	.type	_ZN2at6native13lpmax_cleanupIsEEvPKT_NS0_19TensorListAddressesEi,@function
_ZN2at6native13lpmax_cleanupIsEEvPKT_NS0_19TensorListAddressesEi: ; @_ZN2at6native13lpmax_cleanupIsEEvPKT_NS0_19TensorListAddressesEi
; %bb.0:
	s_load_dword s6, s[0:1], 0xc88
	v_mov_b32_e32 v6, 0xffff8000
	s_waitcnt lgkmcnt(0)
	v_cmp_gt_u32_e32 vcc, s6, v0
	s_and_saveexec_b64 s[4:5], vcc
	s_cbranch_execz .LBB9_4
; %bb.1:
	s_load_dwordx2 s[12:13], s[0:1], 0x0
	s_load_dword s3, s[0:1], 0xc9c
	s_mul_i32 s8, s6, s2
	s_mov_b32 s9, 0
	s_ashr_i32 s7, s6, 31
	s_lshl_b64 s[14:15], s[8:9], 1
	s_waitcnt lgkmcnt(0)
	s_and_b32 s10, s3, 0xffff
	v_mov_b32_e32 v1, 0
	s_add_u32 s12, s12, s14
	v_lshlrev_b32_e32 v2, 1, v0
	v_mov_b32_e32 v3, v1
	s_addc_u32 s13, s13, s15
	s_mov_b32 s11, s9
	v_lshl_add_u64 v[2:3], s[12:13], 0, v[2:3]
	s_lshl_b32 s8, s10, 1
	v_mov_b32_e32 v6, 0xffff8000
	s_mov_b64 s[12:13], 0
	v_mov_b64_e32 v[4:5], v[0:1]
.LBB9_2:                                ; =>This Inner Loop Header: Depth=1
	global_load_ushort v1, v[2:3], off
	v_lshl_add_u64 v[4:5], v[4:5], 0, s[10:11]
	v_cmp_le_u64_e32 vcc, s[6:7], v[4:5]
	v_lshl_add_u64 v[2:3], v[2:3], 0, s[8:9]
	s_or_b64 s[12:13], vcc, s[12:13]
	s_waitcnt vmcnt(0)
	v_max_i16_e32 v6, v6, v1
	s_andn2_b64 exec, exec, s[12:13]
	s_cbranch_execnz .LBB9_2
; %bb.3:
	s_or_b64 exec, exec, s[12:13]
.LBB9_4:
	s_or_b64 exec, exec, s[4:5]
	v_mbcnt_lo_u32_b32 v1, -1, 0
	v_mbcnt_hi_u32_b32 v7, -1, v1
	v_mov_b32_e32 v1, 0x80
	v_bfe_i32 v2, v6, 0, 16
	v_lshl_or_b32 v1, v7, 2, v1
	ds_bpermute_b32 v2, v1, v2
	v_and_b32_e32 v9, 63, v7
	v_cmp_gt_u32_e32 vcc, 48, v9
	s_waitcnt lgkmcnt(0)
	s_barrier
	v_max_i16_e32 v3, v6, v2
	v_cndmask_b32_e64 v2, 0, 16, vcc
	v_bfe_i32 v4, v3, 0, 16
	v_add_lshl_u32 v2, v2, v7, 2
	ds_bpermute_b32 v4, v2, v4
	v_cmp_gt_u32_e32 vcc, 56, v9
	s_waitcnt lgkmcnt(0)
	v_max_i16_e32 v6, v3, v4
	v_cndmask_b32_e64 v5, 0, 8, vcc
	v_bfe_i32 v4, v6, 0, 16
	v_add_lshl_u32 v3, v5, v7, 2
	ds_bpermute_b32 v5, v3, v4
	v_cmp_gt_u32_e32 vcc, 60, v9
	s_waitcnt lgkmcnt(0)
	v_max_i16_e32 v6, v6, v5
	v_cndmask_b32_e64 v4, 0, 4, vcc
	v_add_lshl_u32 v4, v4, v7, 2
	v_bfe_i32 v5, v6, 0, 16
	ds_bpermute_b32 v8, v4, v5
	v_cmp_gt_u32_e32 vcc, 62, v9
	s_waitcnt lgkmcnt(0)
	v_max_i16_e32 v6, v6, v8
	v_cndmask_b32_e64 v5, 0, 2, vcc
	v_add_lshl_u32 v5, v5, v7, 2
	v_bfe_i32 v8, v6, 0, 16
	ds_bpermute_b32 v10, v5, v8
	v_cmp_ne_u32_e32 vcc, 63, v9
	v_and_b32_e32 v8, 63, v0
	s_nop 0
	v_addc_co_u32_e32 v9, vcc, 0, v7, vcc
	s_waitcnt lgkmcnt(0)
	v_max_i16_e32 v7, v6, v10
	v_bfe_i32 v10, v7, 0, 16
	v_lshlrev_b32_e32 v6, 2, v9
	ds_bpermute_b32 v9, v6, v10
	v_cmp_eq_u32_e32 vcc, 0, v8
	s_and_saveexec_b64 s[4:5], vcc
	s_cbranch_execz .LBB9_6
; %bb.5:
	s_waitcnt lgkmcnt(0)
	v_max_i16_e32 v7, v7, v9
	v_lshrrev_b32_e32 v9, 5, v0
	ds_write_b16 v9, v7
.LBB9_6:
	s_or_b64 exec, exec, s[4:5]
	s_waitcnt lgkmcnt(0)
	s_barrier
	s_load_dword s3, s[0:1], 0xc9c
	v_mov_b32_e32 v7, 0xffff8000
	s_waitcnt lgkmcnt(0)
	s_bfe_u32 s3, s3, 0xa0006
	v_cmp_gt_u32_e32 vcc, s3, v0
	s_and_saveexec_b64 s[4:5], vcc
; %bb.7:
	v_lshlrev_b32_e32 v7, 1, v8
	ds_read_u16 v7, v7
; %bb.8:
	s_or_b64 exec, exec, s[4:5]
	v_cmp_gt_u32_e32 vcc, 64, v0
	s_and_saveexec_b64 s[4:5], vcc
	s_cbranch_execz .LBB9_10
; %bb.9:
	s_waitcnt lgkmcnt(0)
	v_bfe_i32 v8, v7, 0, 16
	ds_bpermute_b32 v1, v1, v8
	s_waitcnt lgkmcnt(0)
	v_max_i16_e32 v1, v7, v1
	v_bfe_i32 v7, v1, 0, 16
	ds_bpermute_b32 v2, v2, v7
	s_waitcnt lgkmcnt(0)
	v_max_i16_e32 v1, v1, v2
	;; [unrolled: 4-line block ×6, first 2 shown]
.LBB9_10:
	s_or_b64 exec, exec, s[4:5]
	s_mov_b32 s3, 0
	v_cmp_eq_u32_e32 vcc, 0, v0
	s_and_saveexec_b64 s[4:5], vcc
	s_cbranch_execz .LBB9_12
; %bb.11:
	s_lshl_b64 s[2:3], s[2:3], 3
	s_add_u32 s0, s0, s2
	s_addc_u32 s1, s1, s3
	s_load_dwordx2 s[0:1], s[0:1], 0x8
	v_mov_b32_e32 v0, 0
	s_waitcnt lgkmcnt(0)
	global_store_short v0, v7, s[0:1]
.LBB9_12:
	s_endpgm
	.section	.rodata,"a",@progbits
	.p2align	6, 0x0
	.amdhsa_kernel _ZN2at6native13lpmax_cleanupIsEEvPKT_NS0_19TensorListAddressesEi
		.amdhsa_group_segment_fixed_size 1024
		.amdhsa_private_segment_fixed_size 0
		.amdhsa_kernarg_size 3472
		.amdhsa_user_sgpr_count 2
		.amdhsa_user_sgpr_dispatch_ptr 0
		.amdhsa_user_sgpr_queue_ptr 0
		.amdhsa_user_sgpr_kernarg_segment_ptr 1
		.amdhsa_user_sgpr_dispatch_id 0
		.amdhsa_user_sgpr_kernarg_preload_length 0
		.amdhsa_user_sgpr_kernarg_preload_offset 0
		.amdhsa_user_sgpr_private_segment_size 0
		.amdhsa_uses_dynamic_stack 0
		.amdhsa_enable_private_segment 0
		.amdhsa_system_sgpr_workgroup_id_x 1
		.amdhsa_system_sgpr_workgroup_id_y 0
		.amdhsa_system_sgpr_workgroup_id_z 0
		.amdhsa_system_sgpr_workgroup_info 0
		.amdhsa_system_vgpr_workitem_id 0
		.amdhsa_next_free_vgpr 11
		.amdhsa_next_free_sgpr 16
		.amdhsa_accum_offset 12
		.amdhsa_reserve_vcc 1
		.amdhsa_float_round_mode_32 0
		.amdhsa_float_round_mode_16_64 0
		.amdhsa_float_denorm_mode_32 3
		.amdhsa_float_denorm_mode_16_64 3
		.amdhsa_dx10_clamp 1
		.amdhsa_ieee_mode 1
		.amdhsa_fp16_overflow 0
		.amdhsa_tg_split 0
		.amdhsa_exception_fp_ieee_invalid_op 0
		.amdhsa_exception_fp_denorm_src 0
		.amdhsa_exception_fp_ieee_div_zero 0
		.amdhsa_exception_fp_ieee_overflow 0
		.amdhsa_exception_fp_ieee_underflow 0
		.amdhsa_exception_fp_ieee_inexact 0
		.amdhsa_exception_int_div_zero 0
	.end_amdhsa_kernel
	.section	.text._ZN2at6native13lpmax_cleanupIsEEvPKT_NS0_19TensorListAddressesEi,"axG",@progbits,_ZN2at6native13lpmax_cleanupIsEEvPKT_NS0_19TensorListAddressesEi,comdat
.Lfunc_end9:
	.size	_ZN2at6native13lpmax_cleanupIsEEvPKT_NS0_19TensorListAddressesEi, .Lfunc_end9-_ZN2at6native13lpmax_cleanupIsEEvPKT_NS0_19TensorListAddressesEi
                                        ; -- End function
	.set _ZN2at6native13lpmax_cleanupIsEEvPKT_NS0_19TensorListAddressesEi.num_vgpr, 11
	.set _ZN2at6native13lpmax_cleanupIsEEvPKT_NS0_19TensorListAddressesEi.num_agpr, 0
	.set _ZN2at6native13lpmax_cleanupIsEEvPKT_NS0_19TensorListAddressesEi.numbered_sgpr, 16
	.set _ZN2at6native13lpmax_cleanupIsEEvPKT_NS0_19TensorListAddressesEi.num_named_barrier, 0
	.set _ZN2at6native13lpmax_cleanupIsEEvPKT_NS0_19TensorListAddressesEi.private_seg_size, 0
	.set _ZN2at6native13lpmax_cleanupIsEEvPKT_NS0_19TensorListAddressesEi.uses_vcc, 1
	.set _ZN2at6native13lpmax_cleanupIsEEvPKT_NS0_19TensorListAddressesEi.uses_flat_scratch, 0
	.set _ZN2at6native13lpmax_cleanupIsEEvPKT_NS0_19TensorListAddressesEi.has_dyn_sized_stack, 0
	.set _ZN2at6native13lpmax_cleanupIsEEvPKT_NS0_19TensorListAddressesEi.has_recursion, 0
	.set _ZN2at6native13lpmax_cleanupIsEEvPKT_NS0_19TensorListAddressesEi.has_indirect_call, 0
	.section	.AMDGPU.csdata,"",@progbits
; Kernel info:
; codeLenInByte = 776
; TotalNumSgprs: 22
; NumVgprs: 11
; NumAgprs: 0
; TotalNumVgprs: 11
; ScratchSize: 0
; MemoryBound: 0
; FloatMode: 240
; IeeeMode: 1
; LDSByteSize: 1024 bytes/workgroup (compile time only)
; SGPRBlocks: 2
; VGPRBlocks: 1
; NumSGPRsForWavesPerEU: 22
; NumVGPRsForWavesPerEU: 11
; AccumOffset: 12
; Occupancy: 8
; WaveLimiterHint : 0
; COMPUTE_PGM_RSRC2:SCRATCH_EN: 0
; COMPUTE_PGM_RSRC2:USER_SGPR: 2
; COMPUTE_PGM_RSRC2:TRAP_HANDLER: 0
; COMPUTE_PGM_RSRC2:TGID_X_EN: 1
; COMPUTE_PGM_RSRC2:TGID_Y_EN: 0
; COMPUTE_PGM_RSRC2:TGID_Z_EN: 0
; COMPUTE_PGM_RSRC2:TIDIG_COMP_CNT: 0
; COMPUTE_PGM_RSRC3_GFX90A:ACCUM_OFFSET: 2
; COMPUTE_PGM_RSRC3_GFX90A:TG_SPLIT: 0
	.section	.text._ZN2at6native12_GLOBAL__N_125multi_tensor_apply_kernelINS1_18TensorListMetadataILi1EEENS0_12LpMaxFunctorIdLi1ELi1ELi0EEEJPdiEEEvT_T0_DpT1_,"axG",@progbits,_ZN2at6native12_GLOBAL__N_125multi_tensor_apply_kernelINS1_18TensorListMetadataILi1EEENS0_12LpMaxFunctorIdLi1ELi1ELi0EEEJPdiEEEvT_T0_DpT1_,comdat
	.globl	_ZN2at6native12_GLOBAL__N_125multi_tensor_apply_kernelINS1_18TensorListMetadataILi1EEENS0_12LpMaxFunctorIdLi1ELi1ELi0EEEJPdiEEEvT_T0_DpT1_ ; -- Begin function _ZN2at6native12_GLOBAL__N_125multi_tensor_apply_kernelINS1_18TensorListMetadataILi1EEENS0_12LpMaxFunctorIdLi1ELi1ELi0EEEJPdiEEEvT_T0_DpT1_
	.p2align	8
	.type	_ZN2at6native12_GLOBAL__N_125multi_tensor_apply_kernelINS1_18TensorListMetadataILi1EEENS0_12LpMaxFunctorIdLi1ELi1ELi0EEEJPdiEEEvT_T0_DpT1_,@function
_ZN2at6native12_GLOBAL__N_125multi_tensor_apply_kernelINS1_18TensorListMetadataILi1EEENS0_12LpMaxFunctorIdLi1ELi1ELi0EEEJPdiEEEvT_T0_DpT1_: ; @_ZN2at6native12_GLOBAL__N_125multi_tensor_apply_kernelINS1_18TensorListMetadataILi1EEENS0_12LpMaxFunctorIdLi1ELi1ELi0EEEJPdiEEEvT_T0_DpT1_
; %bb.0:
	v_mov_b32_e32 v1, s2
	global_load_ubyte v1, v1, s[0:1] offset:1760
	s_add_u32 s3, s0, s2
	s_mul_hi_u32 s4, s2, 3
	s_mul_i32 s2, s2, 3
	s_addc_u32 s5, s1, 0
	s_add_u32 s2, s3, s2
	s_addc_u32 s3, s5, s4
	s_load_dword s18, s[2:3], 0x820
	s_mov_b32 s13, 0
	s_waitcnt lgkmcnt(0)
	s_ashr_i32 s19, s18, 31
	s_lshl_b64 s[8:9], s[18:19], 16
	s_waitcnt vmcnt(0)
	v_readfirstlane_b32 s2, v1
	s_and_b32 s30, s2, 0xff
	s_lshl_b32 s6, s30, 3
	s_load_dwordx2 s[2:3], s[0:1], s6 offset:0x370
	s_load_dwordx2 s[4:5], s[0:1], s6 offset:0x0
	s_lshl_b64 s[6:7], s[18:19], 19
	s_waitcnt lgkmcnt(0)
	s_add_u32 s10, s4, s6
	s_addc_u32 s11, s5, s7
	s_sub_u32 s8, s2, s8
	s_subb_u32 s9, s3, s9
	s_and_b32 s12, s2, 3
	s_and_b32 s2, s10, 31
	s_mov_b32 s3, s13
	s_or_b64 s[2:3], s[12:13], s[2:3]
	s_cmp_eq_u64 s[2:3], 0
	s_cbranch_scc1 .LBB10_12
; %bb.1:
	v_cmp_lt_i64_e64 s[2:3], s[8:9], 1
	s_and_b64 vcc, exec, s[2:3]
	s_cbranch_vccnz .LBB10_13
; %bb.2:
	v_mov_b64_e32 v[2:3], 0x10000
	v_cmp_lt_i64_e32 vcc, s[8:9], v[2:3]
	s_and_b64 s[2:3], vcc, exec
	s_load_dword s2, s[0:1], 0xd4c
	s_cselect_b32 s13, s9, 0
	s_cselect_b32 s12, s8, 0x10000
	v_mov_b32_e32 v2, -1
	v_mov_b32_e32 v3, 0xffefffff
	s_waitcnt lgkmcnt(0)
	s_and_b32 s14, s2, 0xffff
	s_mov_b32 s19, 0x10000
	v_mov_b32_e32 v11, 0
	s_lshl_b32 s20, s14, 2
	v_lshl_add_u32 v12, s14, 1, v0
	v_mad_u64_u32 v[14:15], s[2:3], s14, 3, v[0:1]
	v_add_u32_e32 v16, s14, v0
	v_mov_b32_e32 v4, v2
	v_mov_b32_e32 v5, v3
	;; [unrolled: 1-line block ×6, first 2 shown]
	s_mov_b64 s[14:15], 0
	s_branch .LBB10_4
.LBB10_3:                               ;   in Loop: Header=BB10_4 Depth=1
	s_or_b64 exec, exec, s[16:17]
	s_add_u32 s14, s14, s20
	s_addc_u32 s15, s15, 0
	v_mov_b64_e32 v[18:19], s[12:13]
	v_cmp_lt_i64_e32 vcc, s[14:15], v[18:19]
	s_cbranch_vccz .LBB10_14
.LBB10_4:                               ; =>This Inner Loop Header: Depth=1
	v_add_u32_e32 v10, s14, v0
	v_cmp_gt_i64_e32 vcc, s[8:9], v[10:11]
	v_cmp_gt_u32_e64 s[2:3], s19, v10
	s_and_b64 s[2:3], s[2:3], vcc
	s_and_saveexec_b64 s[16:17], s[2:3]
	s_cbranch_execz .LBB10_6
; %bb.5:                                ;   in Loop: Header=BB10_4 Depth=1
	v_lshl_add_u64 v[18:19], v[10:11], 3, s[10:11]
	global_load_dwordx2 v[18:19], v[18:19], off
	s_waitcnt vmcnt(0)
	v_cmp_u_f64_e32 vcc, v[18:19], v[18:19]
	v_cmp_lt_f64_e64 s[2:3], v[2:3], v[18:19]
	s_or_b64 vcc, vcc, s[2:3]
	v_cndmask_b32_e32 v3, v3, v19, vcc
	v_cndmask_b32_e32 v2, v2, v18, vcc
.LBB10_6:                               ;   in Loop: Header=BB10_4 Depth=1
	s_or_b64 exec, exec, s[16:17]
	v_add_u32_e32 v10, s14, v16
	v_cmp_gt_i64_e32 vcc, s[8:9], v[10:11]
	v_cmp_gt_u32_e64 s[2:3], s19, v10
	s_and_b64 s[2:3], s[2:3], vcc
	s_and_saveexec_b64 s[16:17], s[2:3]
	s_cbranch_execz .LBB10_8
; %bb.7:                                ;   in Loop: Header=BB10_4 Depth=1
	v_lshl_add_u64 v[18:19], v[10:11], 3, s[10:11]
	global_load_dwordx2 v[18:19], v[18:19], off
	s_waitcnt vmcnt(0)
	v_cmp_u_f64_e32 vcc, v[18:19], v[18:19]
	v_cmp_lt_f64_e64 s[2:3], v[4:5], v[18:19]
	s_or_b64 vcc, vcc, s[2:3]
	v_cndmask_b32_e32 v5, v5, v19, vcc
	v_cndmask_b32_e32 v4, v4, v18, vcc
.LBB10_8:                               ;   in Loop: Header=BB10_4 Depth=1
	s_or_b64 exec, exec, s[16:17]
	v_add_u32_e32 v10, s14, v12
	v_cmp_gt_i64_e32 vcc, s[8:9], v[10:11]
	v_cmp_gt_u32_e64 s[2:3], s19, v10
	s_and_b64 s[2:3], s[2:3], vcc
	s_and_saveexec_b64 s[16:17], s[2:3]
	s_cbranch_execz .LBB10_10
; %bb.9:                                ;   in Loop: Header=BB10_4 Depth=1
	v_lshl_add_u64 v[18:19], v[10:11], 3, s[10:11]
	global_load_dwordx2 v[18:19], v[18:19], off
	s_waitcnt vmcnt(0)
	v_cmp_u_f64_e32 vcc, v[18:19], v[18:19]
	v_cmp_lt_f64_e64 s[2:3], v[6:7], v[18:19]
	s_or_b64 vcc, vcc, s[2:3]
	v_cndmask_b32_e32 v7, v7, v19, vcc
	v_cndmask_b32_e32 v6, v6, v18, vcc
.LBB10_10:                              ;   in Loop: Header=BB10_4 Depth=1
	s_or_b64 exec, exec, s[16:17]
	v_add_u32_e32 v10, s14, v14
	v_cmp_gt_i64_e32 vcc, s[8:9], v[10:11]
	v_cmp_gt_u32_e64 s[2:3], s19, v10
	s_and_b64 s[2:3], s[2:3], vcc
	s_and_saveexec_b64 s[16:17], s[2:3]
	s_cbranch_execz .LBB10_3
; %bb.11:                               ;   in Loop: Header=BB10_4 Depth=1
	v_lshl_add_u64 v[18:19], v[10:11], 3, s[10:11]
	global_load_dwordx2 v[18:19], v[18:19], off
	s_waitcnt vmcnt(0)
	v_cmp_u_f64_e32 vcc, v[18:19], v[18:19]
	v_cmp_lt_f64_e64 s[2:3], v[8:9], v[18:19]
	s_or_b64 vcc, vcc, s[2:3]
	v_cndmask_b32_e32 v9, v9, v19, vcc
	v_cndmask_b32_e32 v8, v8, v18, vcc
	s_branch .LBB10_3
.LBB10_12:
                                        ; implicit-def: $vgpr2_vgpr3_vgpr4_vgpr5_vgpr6_vgpr7_vgpr8_vgpr9
	s_branch .LBB10_15
.LBB10_13:
	v_mov_b32_e32 v2, -1
	v_mov_b32_e32 v3, 0xffefffff
	v_mov_b32_e32 v4, v2
	;; [unrolled: 1-line block ×7, first 2 shown]
.LBB10_14:
	s_cbranch_execnz .LBB10_20
.LBB10_15:
	v_mov_b64_e32 v[2:3], 0x10000
	v_cmp_lt_i64_e32 vcc, s[8:9], v[2:3]
	s_and_b64 s[2:3], vcc, exec
	v_mov_b32_e32 v11, 0
	s_cselect_b32 s23, s9, 0
	s_cselect_b32 s22, s8, 0x10000
	v_lshlrev_b32_e32 v10, 2, v0
	v_mov_b32_e32 v2, -1
	v_mov_b32_e32 v3, 0xffefffff
	s_mov_b32 s21, 0
	v_cmp_gt_i64_e32 vcc, s[22:23], v[10:11]
	v_mov_b32_e32 v4, v2
	v_mov_b32_e32 v5, v3
	;; [unrolled: 1-line block ×6, first 2 shown]
	s_and_saveexec_b64 s[24:25], vcc
	s_cbranch_execz .LBB10_19
; %bb.16:
	s_load_dword s2, s[0:1], 0xd4c
	v_lshlrev_b32_e32 v10, 5, v0
	v_mov_b32_e32 v1, v11
	s_mov_b32 s27, s21
	s_mov_b64 s[28:29], 0
	s_waitcnt lgkmcnt(0)
	s_and_b32 s20, s2, 0xffff
	s_add_u32 s2, s4, s6
	s_addc_u32 s3, s5, s7
	v_lshl_add_u64 v[4:5], s[2:3], 0, v[10:11]
	s_lshl_b32 s26, s20, 5
	v_lshl_add_u64 v[10:11], v[4:5], 0, 16
	v_mov_b64_e32 v[12:13], v[0:1]
	v_mov_b64_e32 v[4:5], v[2:3]
	;; [unrolled: 1-line block ×4, first 2 shown]
.LBB10_17:                              ; =>This Inner Loop Header: Depth=1
	global_load_dwordx4 v[14:17], v[10:11], off offset:-16
	global_load_dwordx4 v[18:21], v[10:11], off
	v_lshl_add_u64 v[12:13], v[12:13], 0, s[20:21]
	v_lshlrev_b64 v[22:23], 2, v[12:13]
	v_cmp_le_i64_e32 vcc, s[22:23], v[22:23]
	v_lshl_add_u64 v[10:11], v[10:11], 0, s[26:27]
	s_waitcnt vmcnt(1)
	v_cmp_u_f64_e64 s[2:3], v[14:15], v[14:15]
	v_cmp_lt_f64_e64 s[4:5], v[2:3], v[14:15]
	v_cmp_u_f64_e64 s[6:7], v[16:17], v[16:17]
	v_cmp_lt_f64_e64 s[8:9], v[4:5], v[16:17]
	s_waitcnt vmcnt(0)
	v_cmp_u_f64_e64 s[10:11], v[18:19], v[18:19]
	v_cmp_lt_f64_e64 s[12:13], v[6:7], v[18:19]
	v_cmp_u_f64_e64 s[14:15], v[20:21], v[20:21]
	v_cmp_lt_f64_e64 s[16:17], v[8:9], v[20:21]
	s_or_b64 s[2:3], s[2:3], s[4:5]
	s_or_b64 s[4:5], s[6:7], s[8:9]
	;; [unrolled: 1-line block ×4, first 2 shown]
	v_cndmask_b32_e64 v3, v3, v15, s[2:3]
	v_cndmask_b32_e64 v5, v5, v17, s[4:5]
	;; [unrolled: 1-line block ×7, first 2 shown]
	s_or_b64 s[28:29], vcc, s[28:29]
	v_cndmask_b32_e64 v8, v8, v20, s[8:9]
	s_andn2_b64 exec, exec, s[28:29]
	s_cbranch_execnz .LBB10_17
; %bb.18:
	s_or_b64 exec, exec, s[28:29]
.LBB10_19:
	s_or_b64 exec, exec, s[24:25]
.LBB10_20:
	s_mov_b32 s2, -1
	s_mov_b32 s3, 0xffefffff
	v_cmp_u_f64_e32 vcc, v[2:3], v[2:3]
	v_cmp_lt_f64_e64 s[2:3], s[2:3], v[2:3]
	v_mov_b32_e32 v11, 0xffefffff
	s_or_b64 vcc, vcc, s[2:3]
	v_cndmask_b32_e32 v3, v11, v3, vcc
	v_cndmask_b32_e32 v2, -1, v2, vcc
	v_cmp_u_f64_e32 vcc, v[4:5], v[4:5]
	v_cmp_lt_f64_e64 s[2:3], v[2:3], v[4:5]
	s_or_b64 vcc, vcc, s[2:3]
	v_cndmask_b32_e32 v3, v3, v5, vcc
	v_cndmask_b32_e32 v2, v2, v4, vcc
	v_cmp_u_f64_e32 vcc, v[6:7], v[6:7]
	v_cmp_lt_f64_e64 s[2:3], v[2:3], v[6:7]
	s_or_b64 vcc, vcc, s[2:3]
	v_cndmask_b32_e32 v3, v3, v7, vcc
	v_cndmask_b32_e32 v2, v2, v6, vcc
	v_cmp_u_f64_e32 vcc, v[8:9], v[8:9]
	v_cmp_lt_f64_e64 s[2:3], v[2:3], v[8:9]
	v_mbcnt_lo_u32_b32 v1, -1, 0
	s_or_b64 vcc, vcc, s[2:3]
	v_mbcnt_hi_u32_b32 v10, -1, v1
	v_mov_b32_e32 v1, 0x80
	v_cndmask_b32_e32 v3, v3, v9, vcc
	v_cndmask_b32_e32 v2, v2, v8, vcc
	v_lshl_or_b32 v1, v10, 2, v1
	ds_bpermute_b32 v4, v1, v2
	ds_bpermute_b32 v5, v1, v3
	v_and_b32_e32 v12, 63, v10
	v_and_b32_e32 v13, 63, v0
	s_waitcnt lgkmcnt(0)
	s_barrier
	v_cmp_u_f64_e32 vcc, v[4:5], v[4:5]
	v_cmp_lt_f64_e64 s[2:3], v[2:3], v[4:5]
	s_or_b64 vcc, vcc, s[2:3]
	v_cndmask_b32_e32 v3, v3, v5, vcc
	v_cndmask_b32_e32 v2, v2, v4, vcc
	v_cmp_gt_u32_e32 vcc, 48, v12
	s_nop 1
	v_cndmask_b32_e64 v4, 0, 16, vcc
	v_add_lshl_u32 v6, v4, v10, 2
	ds_bpermute_b32 v4, v6, v2
	ds_bpermute_b32 v5, v6, v3
	s_waitcnt lgkmcnt(0)
	v_cmp_u_f64_e32 vcc, v[4:5], v[4:5]
	v_cmp_lt_f64_e64 s[2:3], v[2:3], v[4:5]
	s_or_b64 vcc, vcc, s[2:3]
	v_cndmask_b32_e32 v3, v3, v5, vcc
	v_cndmask_b32_e32 v2, v2, v4, vcc
	v_cmp_gt_u32_e32 vcc, 56, v12
	s_nop 1
	v_cndmask_b32_e64 v4, 0, 8, vcc
	v_add_lshl_u32 v7, v4, v10, 2
	ds_bpermute_b32 v4, v7, v2
	ds_bpermute_b32 v5, v7, v3
	s_waitcnt lgkmcnt(0)
	;; [unrolled: 12-line block ×4, first 2 shown]
	v_cmp_u_f64_e32 vcc, v[4:5], v[4:5]
	v_cmp_lt_f64_e64 s[2:3], v[2:3], v[4:5]
	s_or_b64 vcc, vcc, s[2:3]
	v_cndmask_b32_e32 v3, v3, v5, vcc
	v_cndmask_b32_e32 v2, v2, v4, vcc
	v_cmp_ne_u32_e32 vcc, 63, v12
	s_nop 1
	v_addc_co_u32_e32 v4, vcc, 0, v10, vcc
	v_lshlrev_b32_e32 v12, 2, v4
	ds_bpermute_b32 v4, v12, v2
	ds_bpermute_b32 v5, v12, v3
	v_cmp_eq_u32_e32 vcc, 0, v13
	s_and_saveexec_b64 s[4:5], vcc
	s_cbranch_execz .LBB10_22
; %bb.21:
	s_waitcnt lgkmcnt(0)
	v_cmp_u_f64_e32 vcc, v[4:5], v[4:5]
	v_cmp_lt_f64_e64 s[2:3], v[2:3], v[4:5]
	s_or_b64 vcc, vcc, s[2:3]
	v_lshrrev_b32_e32 v10, 3, v0
	v_cndmask_b32_e32 v3, v3, v5, vcc
	v_cndmask_b32_e32 v2, v2, v4, vcc
	ds_write_b64 v10, v[2:3]
.LBB10_22:
	s_or_b64 exec, exec, s[4:5]
	s_waitcnt lgkmcnt(0)
	s_barrier
	s_load_dword s2, s[0:1], 0xd4c
	v_mov_b32_e32 v10, -1
	s_waitcnt lgkmcnt(0)
	s_bfe_u32 s2, s2, 0xa0006
	v_cmp_gt_u32_e32 vcc, s2, v0
	s_and_saveexec_b64 s[2:3], vcc
	s_cbranch_execnz .LBB10_26
; %bb.23:
	s_or_b64 exec, exec, s[2:3]
	v_cmp_gt_u32_e32 vcc, 64, v0
	s_and_saveexec_b64 s[4:5], vcc
	s_cbranch_execnz .LBB10_27
.LBB10_24:
	s_or_b64 exec, exec, s[4:5]
	v_cmp_eq_u32_e32 vcc, 0, v0
	s_and_saveexec_b64 s[2:3], vcc
	s_cbranch_execnz .LBB10_28
.LBB10_25:
	s_endpgm
.LBB10_26:
	v_lshlrev_b32_e32 v2, 3, v13
	ds_read_b64 v[10:11], v2
	s_or_b64 exec, exec, s[2:3]
	v_cmp_gt_u32_e32 vcc, 64, v0
	s_and_saveexec_b64 s[4:5], vcc
	s_cbranch_execz .LBB10_24
.LBB10_27:
	s_waitcnt lgkmcnt(0)
	ds_bpermute_b32 v2, v1, v10
	ds_bpermute_b32 v3, v1, v11
	s_waitcnt lgkmcnt(0)
	v_cmp_u_f64_e32 vcc, v[2:3], v[2:3]
	v_cmp_lt_f64_e64 s[2:3], v[10:11], v[2:3]
	s_or_b64 vcc, vcc, s[2:3]
	v_cndmask_b32_e32 v3, v11, v3, vcc
	v_cndmask_b32_e32 v2, v10, v2, vcc
	ds_bpermute_b32 v5, v6, v3
	ds_bpermute_b32 v4, v6, v2
	s_waitcnt lgkmcnt(0)
	v_cmp_u_f64_e32 vcc, v[4:5], v[4:5]
	v_cmp_lt_f64_e64 s[2:3], v[2:3], v[4:5]
	s_or_b64 vcc, vcc, s[2:3]
	v_cndmask_b32_e32 v3, v3, v5, vcc
	v_cndmask_b32_e32 v2, v2, v4, vcc
	;; [unrolled: 8-line block ×6, first 2 shown]
	s_or_b64 exec, exec, s[4:5]
	v_cmp_eq_u32_e32 vcc, 0, v0
	s_and_saveexec_b64 s[2:3], vcc
	s_cbranch_execz .LBB10_25
.LBB10_28:
	s_load_dword s4, s[0:1], 0xd20
	s_load_dword s5, s[0:1], 0xd38
	s_load_dwordx2 s[2:3], s[0:1], 0xd30
	v_mov_b32_e32 v0, 0
	s_waitcnt lgkmcnt(0)
	s_add_i32 s0, s4, s30
	s_mul_i32 s0, s0, s5
	s_add_i32 s0, s0, s18
	s_ashr_i32 s1, s0, 31
	s_lshl_b64 s[0:1], s[0:1], 3
	s_add_u32 s0, s2, s0
	s_addc_u32 s1, s3, s1
	global_store_dwordx2 v0, v[10:11], s[0:1]
	s_endpgm
	.section	.rodata,"a",@progbits
	.p2align	6, 0x0
	.amdhsa_kernel _ZN2at6native12_GLOBAL__N_125multi_tensor_apply_kernelINS1_18TensorListMetadataILi1EEENS0_12LpMaxFunctorIdLi1ELi1ELi0EEEJPdiEEEvT_T0_DpT1_
		.amdhsa_group_segment_fixed_size 4096
		.amdhsa_private_segment_fixed_size 0
		.amdhsa_kernarg_size 3648
		.amdhsa_user_sgpr_count 2
		.amdhsa_user_sgpr_dispatch_ptr 0
		.amdhsa_user_sgpr_queue_ptr 0
		.amdhsa_user_sgpr_kernarg_segment_ptr 1
		.amdhsa_user_sgpr_dispatch_id 0
		.amdhsa_user_sgpr_kernarg_preload_length 0
		.amdhsa_user_sgpr_kernarg_preload_offset 0
		.amdhsa_user_sgpr_private_segment_size 0
		.amdhsa_uses_dynamic_stack 0
		.amdhsa_enable_private_segment 0
		.amdhsa_system_sgpr_workgroup_id_x 1
		.amdhsa_system_sgpr_workgroup_id_y 0
		.amdhsa_system_sgpr_workgroup_id_z 0
		.amdhsa_system_sgpr_workgroup_info 0
		.amdhsa_system_vgpr_workitem_id 0
		.amdhsa_next_free_vgpr 24
		.amdhsa_next_free_sgpr 31
		.amdhsa_accum_offset 24
		.amdhsa_reserve_vcc 1
		.amdhsa_float_round_mode_32 0
		.amdhsa_float_round_mode_16_64 0
		.amdhsa_float_denorm_mode_32 3
		.amdhsa_float_denorm_mode_16_64 3
		.amdhsa_dx10_clamp 1
		.amdhsa_ieee_mode 1
		.amdhsa_fp16_overflow 0
		.amdhsa_tg_split 0
		.amdhsa_exception_fp_ieee_invalid_op 0
		.amdhsa_exception_fp_denorm_src 0
		.amdhsa_exception_fp_ieee_div_zero 0
		.amdhsa_exception_fp_ieee_overflow 0
		.amdhsa_exception_fp_ieee_underflow 0
		.amdhsa_exception_fp_ieee_inexact 0
		.amdhsa_exception_int_div_zero 0
	.end_amdhsa_kernel
	.section	.text._ZN2at6native12_GLOBAL__N_125multi_tensor_apply_kernelINS1_18TensorListMetadataILi1EEENS0_12LpMaxFunctorIdLi1ELi1ELi0EEEJPdiEEEvT_T0_DpT1_,"axG",@progbits,_ZN2at6native12_GLOBAL__N_125multi_tensor_apply_kernelINS1_18TensorListMetadataILi1EEENS0_12LpMaxFunctorIdLi1ELi1ELi0EEEJPdiEEEvT_T0_DpT1_,comdat
.Lfunc_end10:
	.size	_ZN2at6native12_GLOBAL__N_125multi_tensor_apply_kernelINS1_18TensorListMetadataILi1EEENS0_12LpMaxFunctorIdLi1ELi1ELi0EEEJPdiEEEvT_T0_DpT1_, .Lfunc_end10-_ZN2at6native12_GLOBAL__N_125multi_tensor_apply_kernelINS1_18TensorListMetadataILi1EEENS0_12LpMaxFunctorIdLi1ELi1ELi0EEEJPdiEEEvT_T0_DpT1_
                                        ; -- End function
	.set _ZN2at6native12_GLOBAL__N_125multi_tensor_apply_kernelINS1_18TensorListMetadataILi1EEENS0_12LpMaxFunctorIdLi1ELi1ELi0EEEJPdiEEEvT_T0_DpT1_.num_vgpr, 24
	.set _ZN2at6native12_GLOBAL__N_125multi_tensor_apply_kernelINS1_18TensorListMetadataILi1EEENS0_12LpMaxFunctorIdLi1ELi1ELi0EEEJPdiEEEvT_T0_DpT1_.num_agpr, 0
	.set _ZN2at6native12_GLOBAL__N_125multi_tensor_apply_kernelINS1_18TensorListMetadataILi1EEENS0_12LpMaxFunctorIdLi1ELi1ELi0EEEJPdiEEEvT_T0_DpT1_.numbered_sgpr, 31
	.set _ZN2at6native12_GLOBAL__N_125multi_tensor_apply_kernelINS1_18TensorListMetadataILi1EEENS0_12LpMaxFunctorIdLi1ELi1ELi0EEEJPdiEEEvT_T0_DpT1_.num_named_barrier, 0
	.set _ZN2at6native12_GLOBAL__N_125multi_tensor_apply_kernelINS1_18TensorListMetadataILi1EEENS0_12LpMaxFunctorIdLi1ELi1ELi0EEEJPdiEEEvT_T0_DpT1_.private_seg_size, 0
	.set _ZN2at6native12_GLOBAL__N_125multi_tensor_apply_kernelINS1_18TensorListMetadataILi1EEENS0_12LpMaxFunctorIdLi1ELi1ELi0EEEJPdiEEEvT_T0_DpT1_.uses_vcc, 1
	.set _ZN2at6native12_GLOBAL__N_125multi_tensor_apply_kernelINS1_18TensorListMetadataILi1EEENS0_12LpMaxFunctorIdLi1ELi1ELi0EEEJPdiEEEvT_T0_DpT1_.uses_flat_scratch, 0
	.set _ZN2at6native12_GLOBAL__N_125multi_tensor_apply_kernelINS1_18TensorListMetadataILi1EEENS0_12LpMaxFunctorIdLi1ELi1ELi0EEEJPdiEEEvT_T0_DpT1_.has_dyn_sized_stack, 0
	.set _ZN2at6native12_GLOBAL__N_125multi_tensor_apply_kernelINS1_18TensorListMetadataILi1EEENS0_12LpMaxFunctorIdLi1ELi1ELi0EEEJPdiEEEvT_T0_DpT1_.has_recursion, 0
	.set _ZN2at6native12_GLOBAL__N_125multi_tensor_apply_kernelINS1_18TensorListMetadataILi1EEENS0_12LpMaxFunctorIdLi1ELi1ELi0EEEJPdiEEEvT_T0_DpT1_.has_indirect_call, 0
	.section	.AMDGPU.csdata,"",@progbits
; Kernel info:
; codeLenInByte = 2072
; TotalNumSgprs: 37
; NumVgprs: 24
; NumAgprs: 0
; TotalNumVgprs: 24
; ScratchSize: 0
; MemoryBound: 0
; FloatMode: 240
; IeeeMode: 1
; LDSByteSize: 4096 bytes/workgroup (compile time only)
; SGPRBlocks: 4
; VGPRBlocks: 2
; NumSGPRsForWavesPerEU: 37
; NumVGPRsForWavesPerEU: 24
; AccumOffset: 24
; Occupancy: 8
; WaveLimiterHint : 0
; COMPUTE_PGM_RSRC2:SCRATCH_EN: 0
; COMPUTE_PGM_RSRC2:USER_SGPR: 2
; COMPUTE_PGM_RSRC2:TRAP_HANDLER: 0
; COMPUTE_PGM_RSRC2:TGID_X_EN: 1
; COMPUTE_PGM_RSRC2:TGID_Y_EN: 0
; COMPUTE_PGM_RSRC2:TGID_Z_EN: 0
; COMPUTE_PGM_RSRC2:TIDIG_COMP_CNT: 0
; COMPUTE_PGM_RSRC3_GFX90A:ACCUM_OFFSET: 5
; COMPUTE_PGM_RSRC3_GFX90A:TG_SPLIT: 0
	.section	.text._ZN2at6native13lpmax_cleanupIdEEvPKT_NS0_19TensorListAddressesEi,"axG",@progbits,_ZN2at6native13lpmax_cleanupIdEEvPKT_NS0_19TensorListAddressesEi,comdat
	.protected	_ZN2at6native13lpmax_cleanupIdEEvPKT_NS0_19TensorListAddressesEi ; -- Begin function _ZN2at6native13lpmax_cleanupIdEEvPKT_NS0_19TensorListAddressesEi
	.globl	_ZN2at6native13lpmax_cleanupIdEEvPKT_NS0_19TensorListAddressesEi
	.p2align	8
	.type	_ZN2at6native13lpmax_cleanupIdEEvPKT_NS0_19TensorListAddressesEi,@function
_ZN2at6native13lpmax_cleanupIdEEvPKT_NS0_19TensorListAddressesEi: ; @_ZN2at6native13lpmax_cleanupIdEEvPKT_NS0_19TensorListAddressesEi
; %bb.0:
	s_load_dword s8, s[0:1], 0xc88
	v_mov_b32_e32 v2, -1
	v_mov_b32_e32 v3, 0xffefffff
	s_waitcnt lgkmcnt(0)
	v_cmp_gt_u32_e32 vcc, s8, v0
	s_and_saveexec_b64 s[10:11], vcc
	s_cbranch_execz .LBB11_4
; %bb.1:
	s_load_dwordx2 s[4:5], s[0:1], 0x0
	s_load_dword s3, s[0:1], 0xc9c
	s_mul_i32 s12, s8, s2
	s_mov_b32 s13, 0
	s_ashr_i32 s9, s8, 31
	s_lshl_b64 s[6:7], s[12:13], 3
	s_waitcnt lgkmcnt(0)
	s_and_b32 s14, s3, 0xffff
	v_mov_b32_e32 v1, 0
	s_add_u32 s4, s4, s6
	v_lshlrev_b32_e32 v4, 3, v0
	v_mov_b32_e32 v5, v1
	s_addc_u32 s5, s5, s7
	s_mov_b32 s15, s13
	v_lshl_add_u64 v[4:5], s[4:5], 0, v[4:5]
	s_lshl_b32 s12, s14, 3
	s_mov_b64 s[16:17], 0
	v_mov_b64_e32 v[6:7], v[0:1]
.LBB11_2:                               ; =>This Inner Loop Header: Depth=1
	global_load_dwordx2 v[8:9], v[4:5], off
	v_lshl_add_u64 v[6:7], v[6:7], 0, s[14:15]
	v_cmp_le_u64_e32 vcc, s[8:9], v[6:7]
	v_lshl_add_u64 v[4:5], v[4:5], 0, s[12:13]
	s_waitcnt vmcnt(0)
	v_cmp_u_f64_e64 s[4:5], v[8:9], v[8:9]
	v_cmp_lt_f64_e64 s[6:7], v[2:3], v[8:9]
	s_or_b64 s[4:5], s[4:5], s[6:7]
	v_cndmask_b32_e64 v3, v3, v9, s[4:5]
	s_or_b64 s[16:17], vcc, s[16:17]
	v_cndmask_b32_e64 v2, v2, v8, s[4:5]
	s_andn2_b64 exec, exec, s[16:17]
	s_cbranch_execnz .LBB11_2
; %bb.3:
	s_or_b64 exec, exec, s[16:17]
.LBB11_4:
	s_or_b64 exec, exec, s[10:11]
	v_mbcnt_lo_u32_b32 v1, -1, 0
	v_mbcnt_hi_u32_b32 v10, -1, v1
	v_mov_b32_e32 v1, 0x80
	v_lshl_or_b32 v1, v10, 2, v1
	ds_bpermute_b32 v4, v1, v2
	ds_bpermute_b32 v5, v1, v3
	v_and_b32_e32 v12, 63, v10
	v_and_b32_e32 v11, 63, v0
	s_waitcnt lgkmcnt(0)
	s_barrier
	v_cmp_u_f64_e32 vcc, v[4:5], v[4:5]
	v_cmp_lt_f64_e64 s[4:5], v[2:3], v[4:5]
	s_or_b64 vcc, vcc, s[4:5]
	v_cndmask_b32_e32 v3, v3, v5, vcc
	v_cndmask_b32_e32 v2, v2, v4, vcc
	v_cmp_gt_u32_e32 vcc, 48, v12
	s_nop 1
	v_cndmask_b32_e64 v4, 0, 16, vcc
	v_add_lshl_u32 v6, v4, v10, 2
	ds_bpermute_b32 v4, v6, v2
	ds_bpermute_b32 v5, v6, v3
	s_waitcnt lgkmcnt(0)
	v_cmp_u_f64_e32 vcc, v[4:5], v[4:5]
	v_cmp_lt_f64_e64 s[4:5], v[2:3], v[4:5]
	s_or_b64 vcc, vcc, s[4:5]
	v_cndmask_b32_e32 v3, v3, v5, vcc
	v_cndmask_b32_e32 v2, v2, v4, vcc
	v_cmp_gt_u32_e32 vcc, 56, v12
	s_nop 1
	v_cndmask_b32_e64 v4, 0, 8, vcc
	v_add_lshl_u32 v7, v4, v10, 2
	ds_bpermute_b32 v4, v7, v2
	ds_bpermute_b32 v5, v7, v3
	s_waitcnt lgkmcnt(0)
	;; [unrolled: 12-line block ×4, first 2 shown]
	v_cmp_u_f64_e32 vcc, v[4:5], v[4:5]
	v_cmp_lt_f64_e64 s[4:5], v[2:3], v[4:5]
	s_or_b64 vcc, vcc, s[4:5]
	v_cndmask_b32_e32 v3, v3, v5, vcc
	v_cndmask_b32_e32 v2, v2, v4, vcc
	v_cmp_ne_u32_e32 vcc, 63, v12
	s_nop 1
	v_addc_co_u32_e32 v4, vcc, 0, v10, vcc
	v_lshlrev_b32_e32 v10, 2, v4
	ds_bpermute_b32 v4, v10, v2
	ds_bpermute_b32 v5, v10, v3
	v_cmp_eq_u32_e32 vcc, 0, v11
	s_and_saveexec_b64 s[6:7], vcc
	s_cbranch_execz .LBB11_6
; %bb.5:
	s_waitcnt lgkmcnt(0)
	v_cmp_u_f64_e32 vcc, v[4:5], v[4:5]
	v_cmp_lt_f64_e64 s[4:5], v[2:3], v[4:5]
	s_or_b64 vcc, vcc, s[4:5]
	v_lshrrev_b32_e32 v12, 3, v0
	v_cndmask_b32_e32 v3, v3, v5, vcc
	v_cndmask_b32_e32 v2, v2, v4, vcc
	ds_write_b64 v12, v[2:3]
.LBB11_6:
	s_or_b64 exec, exec, s[6:7]
	s_waitcnt lgkmcnt(0)
	s_barrier
	s_load_dword s3, s[0:1], 0xc9c
	v_mov_b32_e32 v2, -1
	v_mov_b32_e32 v3, 0xffefffff
	s_waitcnt lgkmcnt(0)
	s_bfe_u32 s3, s3, 0xa0006
	v_cmp_gt_u32_e32 vcc, s3, v0
	s_and_saveexec_b64 s[4:5], vcc
; %bb.7:
	v_lshlrev_b32_e32 v2, 3, v11
	ds_read_b64 v[2:3], v2
; %bb.8:
	s_or_b64 exec, exec, s[4:5]
	v_cmp_gt_u32_e32 vcc, 64, v0
	s_and_saveexec_b64 s[6:7], vcc
	s_cbranch_execz .LBB11_10
; %bb.9:
	s_waitcnt lgkmcnt(0)
	ds_bpermute_b32 v4, v1, v2
	ds_bpermute_b32 v5, v1, v3
	s_waitcnt lgkmcnt(0)
	v_cmp_u_f64_e32 vcc, v[4:5], v[4:5]
	v_cmp_lt_f64_e64 s[4:5], v[2:3], v[4:5]
	s_or_b64 vcc, vcc, s[4:5]
	v_cndmask_b32_e32 v3, v3, v5, vcc
	v_cndmask_b32_e32 v2, v2, v4, vcc
	ds_bpermute_b32 v5, v6, v3
	ds_bpermute_b32 v4, v6, v2
	s_waitcnt lgkmcnt(0)
	v_cmp_u_f64_e32 vcc, v[4:5], v[4:5]
	v_cmp_lt_f64_e64 s[4:5], v[2:3], v[4:5]
	s_or_b64 vcc, vcc, s[4:5]
	v_cndmask_b32_e32 v3, v3, v5, vcc
	v_cndmask_b32_e32 v2, v2, v4, vcc
	;; [unrolled: 8-line block ×6, first 2 shown]
.LBB11_10:
	s_or_b64 exec, exec, s[6:7]
	s_mov_b32 s3, 0
	v_cmp_eq_u32_e32 vcc, 0, v0
	s_and_saveexec_b64 s[4:5], vcc
	s_cbranch_execz .LBB11_12
; %bb.11:
	s_lshl_b64 s[2:3], s[2:3], 3
	s_add_u32 s0, s0, s2
	s_addc_u32 s1, s1, s3
	s_load_dwordx2 s[0:1], s[0:1], 0x8
	v_mov_b32_e32 v0, 0
	s_waitcnt lgkmcnt(0)
	global_store_dwordx2 v0, v[2:3], s[0:1]
.LBB11_12:
	s_endpgm
	.section	.rodata,"a",@progbits
	.p2align	6, 0x0
	.amdhsa_kernel _ZN2at6native13lpmax_cleanupIdEEvPKT_NS0_19TensorListAddressesEi
		.amdhsa_group_segment_fixed_size 4096
		.amdhsa_private_segment_fixed_size 0
		.amdhsa_kernarg_size 3472
		.amdhsa_user_sgpr_count 2
		.amdhsa_user_sgpr_dispatch_ptr 0
		.amdhsa_user_sgpr_queue_ptr 0
		.amdhsa_user_sgpr_kernarg_segment_ptr 1
		.amdhsa_user_sgpr_dispatch_id 0
		.amdhsa_user_sgpr_kernarg_preload_length 0
		.amdhsa_user_sgpr_kernarg_preload_offset 0
		.amdhsa_user_sgpr_private_segment_size 0
		.amdhsa_uses_dynamic_stack 0
		.amdhsa_enable_private_segment 0
		.amdhsa_system_sgpr_workgroup_id_x 1
		.amdhsa_system_sgpr_workgroup_id_y 0
		.amdhsa_system_sgpr_workgroup_id_z 0
		.amdhsa_system_sgpr_workgroup_info 0
		.amdhsa_system_vgpr_workitem_id 0
		.amdhsa_next_free_vgpr 13
		.amdhsa_next_free_sgpr 18
		.amdhsa_accum_offset 16
		.amdhsa_reserve_vcc 1
		.amdhsa_float_round_mode_32 0
		.amdhsa_float_round_mode_16_64 0
		.amdhsa_float_denorm_mode_32 3
		.amdhsa_float_denorm_mode_16_64 3
		.amdhsa_dx10_clamp 1
		.amdhsa_ieee_mode 1
		.amdhsa_fp16_overflow 0
		.amdhsa_tg_split 0
		.amdhsa_exception_fp_ieee_invalid_op 0
		.amdhsa_exception_fp_denorm_src 0
		.amdhsa_exception_fp_ieee_div_zero 0
		.amdhsa_exception_fp_ieee_overflow 0
		.amdhsa_exception_fp_ieee_underflow 0
		.amdhsa_exception_fp_ieee_inexact 0
		.amdhsa_exception_int_div_zero 0
	.end_amdhsa_kernel
	.section	.text._ZN2at6native13lpmax_cleanupIdEEvPKT_NS0_19TensorListAddressesEi,"axG",@progbits,_ZN2at6native13lpmax_cleanupIdEEvPKT_NS0_19TensorListAddressesEi,comdat
.Lfunc_end11:
	.size	_ZN2at6native13lpmax_cleanupIdEEvPKT_NS0_19TensorListAddressesEi, .Lfunc_end11-_ZN2at6native13lpmax_cleanupIdEEvPKT_NS0_19TensorListAddressesEi
                                        ; -- End function
	.set _ZN2at6native13lpmax_cleanupIdEEvPKT_NS0_19TensorListAddressesEi.num_vgpr, 13
	.set _ZN2at6native13lpmax_cleanupIdEEvPKT_NS0_19TensorListAddressesEi.num_agpr, 0
	.set _ZN2at6native13lpmax_cleanupIdEEvPKT_NS0_19TensorListAddressesEi.numbered_sgpr, 18
	.set _ZN2at6native13lpmax_cleanupIdEEvPKT_NS0_19TensorListAddressesEi.num_named_barrier, 0
	.set _ZN2at6native13lpmax_cleanupIdEEvPKT_NS0_19TensorListAddressesEi.private_seg_size, 0
	.set _ZN2at6native13lpmax_cleanupIdEEvPKT_NS0_19TensorListAddressesEi.uses_vcc, 1
	.set _ZN2at6native13lpmax_cleanupIdEEvPKT_NS0_19TensorListAddressesEi.uses_flat_scratch, 0
	.set _ZN2at6native13lpmax_cleanupIdEEvPKT_NS0_19TensorListAddressesEi.has_dyn_sized_stack, 0
	.set _ZN2at6native13lpmax_cleanupIdEEvPKT_NS0_19TensorListAddressesEi.has_recursion, 0
	.set _ZN2at6native13lpmax_cleanupIdEEvPKT_NS0_19TensorListAddressesEi.has_indirect_call, 0
	.section	.AMDGPU.csdata,"",@progbits
; Kernel info:
; codeLenInByte = 1064
; TotalNumSgprs: 24
; NumVgprs: 13
; NumAgprs: 0
; TotalNumVgprs: 13
; ScratchSize: 0
; MemoryBound: 0
; FloatMode: 240
; IeeeMode: 1
; LDSByteSize: 4096 bytes/workgroup (compile time only)
; SGPRBlocks: 2
; VGPRBlocks: 1
; NumSGPRsForWavesPerEU: 24
; NumVGPRsForWavesPerEU: 13
; AccumOffset: 16
; Occupancy: 8
; WaveLimiterHint : 0
; COMPUTE_PGM_RSRC2:SCRATCH_EN: 0
; COMPUTE_PGM_RSRC2:USER_SGPR: 2
; COMPUTE_PGM_RSRC2:TRAP_HANDLER: 0
; COMPUTE_PGM_RSRC2:TGID_X_EN: 1
; COMPUTE_PGM_RSRC2:TGID_Y_EN: 0
; COMPUTE_PGM_RSRC2:TGID_Z_EN: 0
; COMPUTE_PGM_RSRC2:TIDIG_COMP_CNT: 0
; COMPUTE_PGM_RSRC3_GFX90A:ACCUM_OFFSET: 3
; COMPUTE_PGM_RSRC3_GFX90A:TG_SPLIT: 0
	.section	.text._ZN2at6native12_GLOBAL__N_125multi_tensor_apply_kernelINS1_18TensorListMetadataILi1EEENS0_12LpMaxFunctorIfLi1ELi1ELi0EEEJPfiEEEvT_T0_DpT1_,"axG",@progbits,_ZN2at6native12_GLOBAL__N_125multi_tensor_apply_kernelINS1_18TensorListMetadataILi1EEENS0_12LpMaxFunctorIfLi1ELi1ELi0EEEJPfiEEEvT_T0_DpT1_,comdat
	.globl	_ZN2at6native12_GLOBAL__N_125multi_tensor_apply_kernelINS1_18TensorListMetadataILi1EEENS0_12LpMaxFunctorIfLi1ELi1ELi0EEEJPfiEEEvT_T0_DpT1_ ; -- Begin function _ZN2at6native12_GLOBAL__N_125multi_tensor_apply_kernelINS1_18TensorListMetadataILi1EEENS0_12LpMaxFunctorIfLi1ELi1ELi0EEEJPfiEEEvT_T0_DpT1_
	.p2align	8
	.type	_ZN2at6native12_GLOBAL__N_125multi_tensor_apply_kernelINS1_18TensorListMetadataILi1EEENS0_12LpMaxFunctorIfLi1ELi1ELi0EEEJPfiEEEvT_T0_DpT1_,@function
_ZN2at6native12_GLOBAL__N_125multi_tensor_apply_kernelINS1_18TensorListMetadataILi1EEENS0_12LpMaxFunctorIfLi1ELi1ELi0EEEJPfiEEEvT_T0_DpT1_: ; @_ZN2at6native12_GLOBAL__N_125multi_tensor_apply_kernelINS1_18TensorListMetadataILi1EEENS0_12LpMaxFunctorIfLi1ELi1ELi0EEEJPfiEEEvT_T0_DpT1_
; %bb.0:
	v_mov_b32_e32 v1, s2
	global_load_ubyte v1, v1, s[0:1] offset:1760
	s_add_u32 s3, s0, s2
	s_mul_hi_u32 s4, s2, 3
	s_mul_i32 s2, s2, 3
	s_addc_u32 s5, s1, 0
	s_add_u32 s2, s3, s2
	s_addc_u32 s3, s5, s4
	s_load_dword s18, s[2:3], 0x820
	s_mov_b32 s13, 0
	s_waitcnt lgkmcnt(0)
	s_ashr_i32 s19, s18, 31
	s_lshl_b64 s[8:9], s[18:19], 16
	s_waitcnt vmcnt(0)
	v_readfirstlane_b32 s2, v1
	s_and_b32 s30, s2, 0xff
	s_lshl_b32 s6, s30, 3
	s_load_dwordx2 s[2:3], s[0:1], s6 offset:0x370
	s_load_dwordx2 s[4:5], s[0:1], s6 offset:0x0
	s_lshl_b64 s[6:7], s[18:19], 18
	s_waitcnt lgkmcnt(0)
	s_add_u32 s10, s4, s6
	s_addc_u32 s11, s5, s7
	s_sub_u32 s8, s2, s8
	s_subb_u32 s9, s3, s9
	s_and_b32 s12, s2, 3
	s_and_b32 s2, s10, 15
	s_mov_b32 s3, s13
	s_or_b64 s[2:3], s[12:13], s[2:3]
	s_cmp_eq_u64 s[2:3], 0
	s_cbranch_scc1 .LBB12_12
; %bb.1:
	v_cmp_lt_i64_e64 s[2:3], s[8:9], 1
	s_and_b64 vcc, exec, s[2:3]
	s_cbranch_vccnz .LBB12_13
; %bb.2:
	s_load_dword s12, s[0:1], 0xd4c
	v_mov_b64_e32 v[2:3], 0x10000
	v_cmp_lt_i64_e32 vcc, s[8:9], v[2:3]
	s_and_b64 s[2:3], vcc, exec
	s_cselect_b32 s3, s9, 0
	s_cselect_b32 s2, s8, 0x10000
	s_waitcnt lgkmcnt(0)
	s_and_b32 s14, s12, 0xffff
	v_mad_u64_u32 v[10:11], s[12:13], s14, 3, v[0:1]
	v_mov_b32_e32 v2, 0xff7fffff
	s_mov_b32 s16, 0x10000
	v_mov_b32_e32 v7, 0
	s_lshl_b32 s17, s14, 2
	v_lshl_add_u32 v8, s14, 1, v0
	v_add_u32_e32 v12, s14, v0
	v_mov_b32_e32 v3, v2
	v_mov_b32_e32 v4, v2
	;; [unrolled: 1-line block ×3, first 2 shown]
	s_mov_b64 s[12:13], 0
	v_mov_b64_e32 v[14:15], s[2:3]
	s_branch .LBB12_4
.LBB12_3:                               ;   in Loop: Header=BB12_4 Depth=1
	s_or_b64 exec, exec, s[14:15]
	s_add_u32 s12, s12, s17
	s_addc_u32 s13, s13, 0
	v_cmp_lt_i64_e32 vcc, s[12:13], v[14:15]
	s_cbranch_vccz .LBB12_14
.LBB12_4:                               ; =>This Inner Loop Header: Depth=1
	v_add_u32_e32 v6, s12, v0
	v_cmp_gt_i64_e32 vcc, s[8:9], v[6:7]
	v_cmp_gt_u32_e64 s[2:3], s16, v6
	s_and_b64 s[2:3], s[2:3], vcc
	s_and_saveexec_b64 s[14:15], s[2:3]
	s_cbranch_execz .LBB12_6
; %bb.5:                                ;   in Loop: Header=BB12_4 Depth=1
	v_lshl_add_u64 v[16:17], v[6:7], 2, s[10:11]
	global_load_dword v1, v[16:17], off
	s_waitcnt vmcnt(0)
	v_cmp_u_f32_e32 vcc, v1, v1
	v_cmp_lt_f32_e64 s[2:3], v2, v1
	s_or_b64 vcc, vcc, s[2:3]
	v_cndmask_b32_e32 v2, v2, v1, vcc
.LBB12_6:                               ;   in Loop: Header=BB12_4 Depth=1
	s_or_b64 exec, exec, s[14:15]
	v_add_u32_e32 v6, s12, v12
	v_cmp_gt_i64_e32 vcc, s[8:9], v[6:7]
	v_cmp_gt_u32_e64 s[2:3], s16, v6
	s_and_b64 s[2:3], s[2:3], vcc
	s_and_saveexec_b64 s[14:15], s[2:3]
	s_cbranch_execz .LBB12_8
; %bb.7:                                ;   in Loop: Header=BB12_4 Depth=1
	v_lshl_add_u64 v[16:17], v[6:7], 2, s[10:11]
	global_load_dword v1, v[16:17], off
	s_waitcnt vmcnt(0)
	v_cmp_u_f32_e32 vcc, v1, v1
	v_cmp_lt_f32_e64 s[2:3], v3, v1
	s_or_b64 vcc, vcc, s[2:3]
	v_cndmask_b32_e32 v3, v3, v1, vcc
.LBB12_8:                               ;   in Loop: Header=BB12_4 Depth=1
	s_or_b64 exec, exec, s[14:15]
	v_add_u32_e32 v6, s12, v8
	v_cmp_gt_i64_e32 vcc, s[8:9], v[6:7]
	v_cmp_gt_u32_e64 s[2:3], s16, v6
	s_and_b64 s[2:3], s[2:3], vcc
	s_and_saveexec_b64 s[14:15], s[2:3]
	s_cbranch_execz .LBB12_10
; %bb.9:                                ;   in Loop: Header=BB12_4 Depth=1
	v_lshl_add_u64 v[16:17], v[6:7], 2, s[10:11]
	global_load_dword v1, v[16:17], off
	s_waitcnt vmcnt(0)
	v_cmp_u_f32_e32 vcc, v1, v1
	v_cmp_lt_f32_e64 s[2:3], v4, v1
	s_or_b64 vcc, vcc, s[2:3]
	v_cndmask_b32_e32 v4, v4, v1, vcc
.LBB12_10:                              ;   in Loop: Header=BB12_4 Depth=1
	s_or_b64 exec, exec, s[14:15]
	v_add_u32_e32 v6, s12, v10
	v_cmp_gt_i64_e32 vcc, s[8:9], v[6:7]
	v_cmp_gt_u32_e64 s[2:3], s16, v6
	s_and_b64 s[2:3], s[2:3], vcc
	s_and_saveexec_b64 s[14:15], s[2:3]
	s_cbranch_execz .LBB12_3
; %bb.11:                               ;   in Loop: Header=BB12_4 Depth=1
	v_lshl_add_u64 v[16:17], v[6:7], 2, s[10:11]
	global_load_dword v1, v[16:17], off
	s_waitcnt vmcnt(0)
	v_cmp_u_f32_e32 vcc, v1, v1
	v_cmp_lt_f32_e64 s[2:3], v5, v1
	s_or_b64 vcc, vcc, s[2:3]
	v_cndmask_b32_e32 v5, v5, v1, vcc
	s_branch .LBB12_3
.LBB12_12:
                                        ; implicit-def: $vgpr2_vgpr3_vgpr4_vgpr5
	s_branch .LBB12_15
.LBB12_13:
	v_mov_b32_e32 v2, 0xff7fffff
	v_mov_b32_e32 v3, v2
	;; [unrolled: 1-line block ×4, first 2 shown]
.LBB12_14:
	s_cbranch_execnz .LBB12_20
.LBB12_15:
	v_mov_b64_e32 v[2:3], 0x10000
	v_cmp_lt_i64_e32 vcc, s[8:9], v[2:3]
	s_and_b64 s[2:3], vcc, exec
	v_mov_b32_e32 v7, 0
	s_cselect_b32 s23, s9, 0
	s_cselect_b32 s22, s8, 0x10000
	v_lshlrev_b32_e32 v6, 2, v0
	v_mov_b32_e32 v2, 0xff7fffff
	s_mov_b32 s21, 0
	v_cmp_gt_i64_e32 vcc, s[22:23], v[6:7]
	v_mov_b32_e32 v3, v2
	v_mov_b32_e32 v4, v2
	;; [unrolled: 1-line block ×3, first 2 shown]
	s_and_saveexec_b64 s[24:25], vcc
	s_cbranch_execz .LBB12_19
; %bb.16:
	s_load_dword s2, s[0:1], 0xd4c
	v_lshlrev_b32_e32 v6, 4, v0
	v_mov_b32_e32 v1, v7
	s_mov_b32 s27, s21
	s_mov_b64 s[28:29], 0
	s_waitcnt lgkmcnt(0)
	s_and_b32 s20, s2, 0xffff
	s_add_u32 s2, s4, s6
	s_addc_u32 s3, s5, s7
	v_lshl_add_u64 v[4:5], s[2:3], 0, v[6:7]
	s_lshl_b32 s26, s20, 4
	v_lshl_add_u64 v[6:7], v[4:5], 0, 8
	v_mov_b64_e32 v[8:9], v[0:1]
	v_mov_b32_e32 v3, 0xff7fffff
	v_mov_b32_e32 v4, 0xff7fffff
	;; [unrolled: 1-line block ×3, first 2 shown]
.LBB12_17:                              ; =>This Inner Loop Header: Depth=1
	global_load_dwordx4 v[10:13], v[6:7], off offset:-8
	v_lshl_add_u64 v[8:9], v[8:9], 0, s[20:21]
	v_lshlrev_b64 v[14:15], 2, v[8:9]
	v_cmp_le_i64_e32 vcc, s[22:23], v[14:15]
	v_lshl_add_u64 v[6:7], v[6:7], 0, s[26:27]
	s_waitcnt vmcnt(0)
	v_cmp_u_f32_e64 s[2:3], v13, v13
	v_cmp_lt_f32_e64 s[10:11], v5, v13
	v_cmp_u_f32_e64 s[4:5], v12, v12
	v_cmp_lt_f32_e64 s[12:13], v4, v12
	s_or_b64 s[2:3], s[2:3], s[10:11]
	v_cmp_u_f32_e64 s[6:7], v11, v11
	v_cmp_u_f32_e64 s[8:9], v10, v10
	v_cmp_lt_f32_e64 s[14:15], v3, v11
	v_cmp_lt_f32_e64 s[16:17], v2, v10
	v_cndmask_b32_e64 v5, v5, v13, s[2:3]
	s_or_b64 s[2:3], s[4:5], s[12:13]
	s_or_b64 s[8:9], s[8:9], s[16:17]
	v_cndmask_b32_e64 v4, v4, v12, s[2:3]
	s_or_b64 s[2:3], s[6:7], s[14:15]
	v_cndmask_b32_e64 v3, v3, v11, s[2:3]
	s_or_b64 s[28:29], vcc, s[28:29]
	v_cndmask_b32_e64 v2, v2, v10, s[8:9]
	s_andn2_b64 exec, exec, s[28:29]
	s_cbranch_execnz .LBB12_17
; %bb.18:
	s_or_b64 exec, exec, s[28:29]
.LBB12_19:
	s_or_b64 exec, exec, s[24:25]
.LBB12_20:
	s_mov_b32 s2, 0xff7fffff
	v_cmp_u_f32_e32 vcc, v2, v2
	v_cmp_lt_f32_e64 s[2:3], s2, v2
	v_mov_b32_e32 v1, 0xff7fffff
	s_or_b64 vcc, vcc, s[2:3]
	v_cndmask_b32_e32 v2, v1, v2, vcc
	v_cmp_u_f32_e32 vcc, v3, v3
	v_cmp_lt_f32_e64 s[2:3], v2, v3
	s_or_b64 vcc, vcc, s[2:3]
	v_cndmask_b32_e32 v2, v2, v3, vcc
	v_cmp_u_f32_e32 vcc, v4, v4
	v_cmp_lt_f32_e64 s[2:3], v2, v4
	s_or_b64 vcc, vcc, s[2:3]
	v_cndmask_b32_e32 v2, v2, v4, vcc
	v_cmp_u_f32_e32 vcc, v5, v5
	v_cmp_lt_f32_e64 s[2:3], v2, v5
	s_or_b64 vcc, vcc, s[2:3]
	v_cndmask_b32_e32 v3, v2, v5, vcc
	v_mbcnt_lo_u32_b32 v2, -1, 0
	v_mbcnt_hi_u32_b32 v7, -1, v2
	v_mov_b32_e32 v2, 0x80
	v_lshl_or_b32 v2, v7, 2, v2
	ds_bpermute_b32 v4, v2, v3
	v_and_b32_e32 v10, 63, v7
	s_waitcnt lgkmcnt(0)
	s_barrier
	v_cmp_u_f32_e32 vcc, v4, v4
	v_cmp_lt_f32_e64 s[2:3], v3, v4
	s_or_b64 vcc, vcc, s[2:3]
	v_cndmask_b32_e32 v4, v3, v4, vcc
	v_cmp_gt_u32_e32 vcc, 48, v10
	s_nop 1
	v_cndmask_b32_e64 v3, 0, 16, vcc
	v_add_lshl_u32 v3, v3, v7, 2
	ds_bpermute_b32 v5, v3, v4
	s_waitcnt lgkmcnt(0)
	v_cmp_u_f32_e32 vcc, v5, v5
	v_cmp_lt_f32_e64 s[2:3], v4, v5
	s_or_b64 vcc, vcc, s[2:3]
	v_cndmask_b32_e32 v5, v4, v5, vcc
	v_cmp_gt_u32_e32 vcc, 56, v10
	s_nop 1
	v_cndmask_b32_e64 v4, 0, 8, vcc
	v_add_lshl_u32 v4, v4, v7, 2
	ds_bpermute_b32 v6, v4, v5
	s_waitcnt lgkmcnt(0)
	;; [unrolled: 10-line block ×3, first 2 shown]
	v_cmp_u_f32_e32 vcc, v8, v8
	v_cmp_lt_f32_e64 s[2:3], v6, v8
	s_or_b64 vcc, vcc, s[2:3]
	v_cndmask_b32_e32 v9, v6, v8, vcc
	v_cmp_gt_u32_e32 vcc, 62, v10
	v_and_b32_e32 v8, 63, v0
	s_nop 0
	v_cndmask_b32_e64 v6, 0, 2, vcc
	v_add_lshl_u32 v6, v6, v7, 2
	ds_bpermute_b32 v11, v6, v9
	s_waitcnt lgkmcnt(0)
	v_cmp_u_f32_e32 vcc, v11, v11
	v_cmp_lt_f32_e64 s[2:3], v9, v11
	s_or_b64 vcc, vcc, s[2:3]
	v_cndmask_b32_e32 v9, v9, v11, vcc
	v_cmp_ne_u32_e32 vcc, 63, v10
	s_nop 1
	v_addc_co_u32_e32 v7, vcc, 0, v7, vcc
	v_lshlrev_b32_e32 v7, 2, v7
	ds_bpermute_b32 v10, v7, v9
	v_cmp_eq_u32_e32 vcc, 0, v8
	s_and_saveexec_b64 s[4:5], vcc
	s_cbranch_execz .LBB12_22
; %bb.21:
	s_waitcnt lgkmcnt(0)
	v_cmp_u_f32_e32 vcc, v10, v10
	v_cmp_lt_f32_e64 s[2:3], v9, v10
	s_or_b64 vcc, vcc, s[2:3]
	v_lshrrev_b32_e32 v11, 4, v0
	v_cndmask_b32_e32 v9, v9, v10, vcc
	ds_write_b32 v11, v9
.LBB12_22:
	s_or_b64 exec, exec, s[4:5]
	s_waitcnt lgkmcnt(0)
	s_barrier
	s_load_dword s2, s[0:1], 0xd4c
	s_waitcnt lgkmcnt(0)
	s_bfe_u32 s2, s2, 0xa0006
	v_cmp_gt_u32_e32 vcc, s2, v0
	s_and_saveexec_b64 s[2:3], vcc
	s_cbranch_execnz .LBB12_26
; %bb.23:
	s_or_b64 exec, exec, s[2:3]
	v_cmp_gt_u32_e32 vcc, 64, v0
	s_and_saveexec_b64 s[4:5], vcc
	s_cbranch_execnz .LBB12_27
.LBB12_24:
	s_or_b64 exec, exec, s[4:5]
	v_cmp_eq_u32_e32 vcc, 0, v0
	s_and_saveexec_b64 s[2:3], vcc
	s_cbranch_execnz .LBB12_28
.LBB12_25:
	s_endpgm
.LBB12_26:
	v_lshlrev_b32_e32 v1, 2, v8
	ds_read_b32 v1, v1
	s_or_b64 exec, exec, s[2:3]
	v_cmp_gt_u32_e32 vcc, 64, v0
	s_and_saveexec_b64 s[4:5], vcc
	s_cbranch_execz .LBB12_24
.LBB12_27:
	s_waitcnt lgkmcnt(0)
	ds_bpermute_b32 v2, v2, v1
	s_waitcnt lgkmcnt(0)
	v_cmp_u_f32_e32 vcc, v2, v2
	v_cmp_lt_f32_e64 s[2:3], v1, v2
	s_or_b64 vcc, vcc, s[2:3]
	v_cndmask_b32_e32 v1, v1, v2, vcc
	ds_bpermute_b32 v2, v3, v1
	s_waitcnt lgkmcnt(0)
	v_cmp_u_f32_e32 vcc, v2, v2
	v_cmp_lt_f32_e64 s[2:3], v1, v2
	s_or_b64 vcc, vcc, s[2:3]
	v_cndmask_b32_e32 v1, v1, v2, vcc
	;; [unrolled: 6-line block ×6, first 2 shown]
	s_or_b64 exec, exec, s[4:5]
	v_cmp_eq_u32_e32 vcc, 0, v0
	s_and_saveexec_b64 s[2:3], vcc
	s_cbranch_execz .LBB12_25
.LBB12_28:
	s_load_dword s4, s[0:1], 0xd20
	s_load_dword s5, s[0:1], 0xd38
	s_load_dwordx2 s[2:3], s[0:1], 0xd30
	v_mov_b32_e32 v0, 0
	s_waitcnt lgkmcnt(0)
	s_add_i32 s0, s4, s30
	s_mul_i32 s0, s0, s5
	s_add_i32 s0, s0, s18
	s_ashr_i32 s1, s0, 31
	s_lshl_b64 s[0:1], s[0:1], 2
	s_add_u32 s0, s2, s0
	s_addc_u32 s1, s3, s1
	global_store_dword v0, v1, s[0:1]
	s_endpgm
	.section	.rodata,"a",@progbits
	.p2align	6, 0x0
	.amdhsa_kernel _ZN2at6native12_GLOBAL__N_125multi_tensor_apply_kernelINS1_18TensorListMetadataILi1EEENS0_12LpMaxFunctorIfLi1ELi1ELi0EEEJPfiEEEvT_T0_DpT1_
		.amdhsa_group_segment_fixed_size 2048
		.amdhsa_private_segment_fixed_size 0
		.amdhsa_kernarg_size 3648
		.amdhsa_user_sgpr_count 2
		.amdhsa_user_sgpr_dispatch_ptr 0
		.amdhsa_user_sgpr_queue_ptr 0
		.amdhsa_user_sgpr_kernarg_segment_ptr 1
		.amdhsa_user_sgpr_dispatch_id 0
		.amdhsa_user_sgpr_kernarg_preload_length 0
		.amdhsa_user_sgpr_kernarg_preload_offset 0
		.amdhsa_user_sgpr_private_segment_size 0
		.amdhsa_uses_dynamic_stack 0
		.amdhsa_enable_private_segment 0
		.amdhsa_system_sgpr_workgroup_id_x 1
		.amdhsa_system_sgpr_workgroup_id_y 0
		.amdhsa_system_sgpr_workgroup_id_z 0
		.amdhsa_system_sgpr_workgroup_info 0
		.amdhsa_system_vgpr_workitem_id 0
		.amdhsa_next_free_vgpr 18
		.amdhsa_next_free_sgpr 31
		.amdhsa_accum_offset 20
		.amdhsa_reserve_vcc 1
		.amdhsa_float_round_mode_32 0
		.amdhsa_float_round_mode_16_64 0
		.amdhsa_float_denorm_mode_32 3
		.amdhsa_float_denorm_mode_16_64 3
		.amdhsa_dx10_clamp 1
		.amdhsa_ieee_mode 1
		.amdhsa_fp16_overflow 0
		.amdhsa_tg_split 0
		.amdhsa_exception_fp_ieee_invalid_op 0
		.amdhsa_exception_fp_denorm_src 0
		.amdhsa_exception_fp_ieee_div_zero 0
		.amdhsa_exception_fp_ieee_overflow 0
		.amdhsa_exception_fp_ieee_underflow 0
		.amdhsa_exception_fp_ieee_inexact 0
		.amdhsa_exception_int_div_zero 0
	.end_amdhsa_kernel
	.section	.text._ZN2at6native12_GLOBAL__N_125multi_tensor_apply_kernelINS1_18TensorListMetadataILi1EEENS0_12LpMaxFunctorIfLi1ELi1ELi0EEEJPfiEEEvT_T0_DpT1_,"axG",@progbits,_ZN2at6native12_GLOBAL__N_125multi_tensor_apply_kernelINS1_18TensorListMetadataILi1EEENS0_12LpMaxFunctorIfLi1ELi1ELi0EEEJPfiEEEvT_T0_DpT1_,comdat
.Lfunc_end12:
	.size	_ZN2at6native12_GLOBAL__N_125multi_tensor_apply_kernelINS1_18TensorListMetadataILi1EEENS0_12LpMaxFunctorIfLi1ELi1ELi0EEEJPfiEEEvT_T0_DpT1_, .Lfunc_end12-_ZN2at6native12_GLOBAL__N_125multi_tensor_apply_kernelINS1_18TensorListMetadataILi1EEENS0_12LpMaxFunctorIfLi1ELi1ELi0EEEJPfiEEEvT_T0_DpT1_
                                        ; -- End function
	.set _ZN2at6native12_GLOBAL__N_125multi_tensor_apply_kernelINS1_18TensorListMetadataILi1EEENS0_12LpMaxFunctorIfLi1ELi1ELi0EEEJPfiEEEvT_T0_DpT1_.num_vgpr, 18
	.set _ZN2at6native12_GLOBAL__N_125multi_tensor_apply_kernelINS1_18TensorListMetadataILi1EEENS0_12LpMaxFunctorIfLi1ELi1ELi0EEEJPfiEEEvT_T0_DpT1_.num_agpr, 0
	.set _ZN2at6native12_GLOBAL__N_125multi_tensor_apply_kernelINS1_18TensorListMetadataILi1EEENS0_12LpMaxFunctorIfLi1ELi1ELi0EEEJPfiEEEvT_T0_DpT1_.numbered_sgpr, 31
	.set _ZN2at6native12_GLOBAL__N_125multi_tensor_apply_kernelINS1_18TensorListMetadataILi1EEENS0_12LpMaxFunctorIfLi1ELi1ELi0EEEJPfiEEEvT_T0_DpT1_.num_named_barrier, 0
	.set _ZN2at6native12_GLOBAL__N_125multi_tensor_apply_kernelINS1_18TensorListMetadataILi1EEENS0_12LpMaxFunctorIfLi1ELi1ELi0EEEJPfiEEEvT_T0_DpT1_.private_seg_size, 0
	.set _ZN2at6native12_GLOBAL__N_125multi_tensor_apply_kernelINS1_18TensorListMetadataILi1EEENS0_12LpMaxFunctorIfLi1ELi1ELi0EEEJPfiEEEvT_T0_DpT1_.uses_vcc, 1
	.set _ZN2at6native12_GLOBAL__N_125multi_tensor_apply_kernelINS1_18TensorListMetadataILi1EEENS0_12LpMaxFunctorIfLi1ELi1ELi0EEEJPfiEEEvT_T0_DpT1_.uses_flat_scratch, 0
	.set _ZN2at6native12_GLOBAL__N_125multi_tensor_apply_kernelINS1_18TensorListMetadataILi1EEENS0_12LpMaxFunctorIfLi1ELi1ELi0EEEJPfiEEEvT_T0_DpT1_.has_dyn_sized_stack, 0
	.set _ZN2at6native12_GLOBAL__N_125multi_tensor_apply_kernelINS1_18TensorListMetadataILi1EEENS0_12LpMaxFunctorIfLi1ELi1ELi0EEEJPfiEEEvT_T0_DpT1_.has_recursion, 0
	.set _ZN2at6native12_GLOBAL__N_125multi_tensor_apply_kernelINS1_18TensorListMetadataILi1EEENS0_12LpMaxFunctorIfLi1ELi1ELi0EEEJPfiEEEvT_T0_DpT1_.has_indirect_call, 0
	.section	.AMDGPU.csdata,"",@progbits
; Kernel info:
; codeLenInByte = 1808
; TotalNumSgprs: 37
; NumVgprs: 18
; NumAgprs: 0
; TotalNumVgprs: 18
; ScratchSize: 0
; MemoryBound: 0
; FloatMode: 240
; IeeeMode: 1
; LDSByteSize: 2048 bytes/workgroup (compile time only)
; SGPRBlocks: 4
; VGPRBlocks: 2
; NumSGPRsForWavesPerEU: 37
; NumVGPRsForWavesPerEU: 18
; AccumOffset: 20
; Occupancy: 8
; WaveLimiterHint : 0
; COMPUTE_PGM_RSRC2:SCRATCH_EN: 0
; COMPUTE_PGM_RSRC2:USER_SGPR: 2
; COMPUTE_PGM_RSRC2:TRAP_HANDLER: 0
; COMPUTE_PGM_RSRC2:TGID_X_EN: 1
; COMPUTE_PGM_RSRC2:TGID_Y_EN: 0
; COMPUTE_PGM_RSRC2:TGID_Z_EN: 0
; COMPUTE_PGM_RSRC2:TIDIG_COMP_CNT: 0
; COMPUTE_PGM_RSRC3_GFX90A:ACCUM_OFFSET: 4
; COMPUTE_PGM_RSRC3_GFX90A:TG_SPLIT: 0
	.section	.text._ZN2at6native13lpmax_cleanupIfEEvPKT_NS0_19TensorListAddressesEi,"axG",@progbits,_ZN2at6native13lpmax_cleanupIfEEvPKT_NS0_19TensorListAddressesEi,comdat
	.protected	_ZN2at6native13lpmax_cleanupIfEEvPKT_NS0_19TensorListAddressesEi ; -- Begin function _ZN2at6native13lpmax_cleanupIfEEvPKT_NS0_19TensorListAddressesEi
	.globl	_ZN2at6native13lpmax_cleanupIfEEvPKT_NS0_19TensorListAddressesEi
	.p2align	8
	.type	_ZN2at6native13lpmax_cleanupIfEEvPKT_NS0_19TensorListAddressesEi,@function
_ZN2at6native13lpmax_cleanupIfEEvPKT_NS0_19TensorListAddressesEi: ; @_ZN2at6native13lpmax_cleanupIfEEvPKT_NS0_19TensorListAddressesEi
; %bb.0:
	s_load_dword s10, s[0:1], 0xc88
	v_mov_b32_e32 v6, 0xff7fffff
	s_waitcnt lgkmcnt(0)
	v_cmp_gt_u32_e32 vcc, s10, v0
	s_and_saveexec_b64 s[8:9], vcc
	s_cbranch_execz .LBB13_4
; %bb.1:
	s_load_dwordx2 s[4:5], s[0:1], 0x0
	s_load_dword s3, s[0:1], 0xc9c
	s_mul_i32 s12, s10, s2
	s_mov_b32 s13, 0
	s_ashr_i32 s11, s10, 31
	s_lshl_b64 s[6:7], s[12:13], 2
	s_waitcnt lgkmcnt(0)
	s_and_b32 s14, s3, 0xffff
	v_mov_b32_e32 v1, 0
	s_add_u32 s4, s4, s6
	v_lshlrev_b32_e32 v2, 2, v0
	v_mov_b32_e32 v3, v1
	s_addc_u32 s5, s5, s7
	s_mov_b32 s15, s13
	v_lshl_add_u64 v[2:3], s[4:5], 0, v[2:3]
	s_lshl_b32 s12, s14, 2
	v_mov_b32_e32 v6, 0xff7fffff
	s_mov_b64 s[16:17], 0
	v_mov_b64_e32 v[4:5], v[0:1]
.LBB13_2:                               ; =>This Inner Loop Header: Depth=1
	global_load_dword v1, v[2:3], off
	v_lshl_add_u64 v[4:5], v[4:5], 0, s[14:15]
	v_cmp_le_u64_e32 vcc, s[10:11], v[4:5]
	v_lshl_add_u64 v[2:3], v[2:3], 0, s[12:13]
	s_waitcnt vmcnt(0)
	v_cmp_u_f32_e64 s[4:5], v1, v1
	v_cmp_lt_f32_e64 s[6:7], v6, v1
	s_or_b64 s[4:5], s[4:5], s[6:7]
	s_or_b64 s[16:17], vcc, s[16:17]
	v_cndmask_b32_e64 v6, v6, v1, s[4:5]
	s_andn2_b64 exec, exec, s[16:17]
	s_cbranch_execnz .LBB13_2
; %bb.3:
	s_or_b64 exec, exec, s[16:17]
.LBB13_4:
	s_or_b64 exec, exec, s[8:9]
	v_mbcnt_lo_u32_b32 v1, -1, 0
	v_mbcnt_hi_u32_b32 v9, -1, v1
	v_mov_b32_e32 v1, 0x80
	v_lshl_or_b32 v1, v9, 2, v1
	ds_bpermute_b32 v2, v1, v6
	v_and_b32_e32 v10, 63, v9
	v_and_b32_e32 v8, 63, v0
	s_waitcnt lgkmcnt(0)
	s_barrier
	v_cmp_u_f32_e32 vcc, v2, v2
	v_cmp_lt_f32_e64 s[4:5], v6, v2
	s_or_b64 vcc, vcc, s[4:5]
	v_cndmask_b32_e32 v3, v6, v2, vcc
	v_cmp_gt_u32_e32 vcc, 48, v10
	s_nop 1
	v_cndmask_b32_e64 v2, 0, 16, vcc
	v_add_lshl_u32 v2, v2, v9, 2
	ds_bpermute_b32 v4, v2, v3
	s_waitcnt lgkmcnt(0)
	v_cmp_u_f32_e32 vcc, v4, v4
	v_cmp_lt_f32_e64 s[4:5], v3, v4
	s_or_b64 vcc, vcc, s[4:5]
	v_cndmask_b32_e32 v4, v3, v4, vcc
	v_cmp_gt_u32_e32 vcc, 56, v10
	s_nop 1
	v_cndmask_b32_e64 v3, 0, 8, vcc
	v_add_lshl_u32 v3, v3, v9, 2
	ds_bpermute_b32 v5, v3, v4
	s_waitcnt lgkmcnt(0)
	;; [unrolled: 10-line block ×4, first 2 shown]
	v_cmp_u_f32_e32 vcc, v7, v7
	v_cmp_lt_f32_e64 s[4:5], v6, v7
	s_or_b64 vcc, vcc, s[4:5]
	v_cndmask_b32_e32 v7, v6, v7, vcc
	v_cmp_ne_u32_e32 vcc, 63, v10
	s_nop 1
	v_addc_co_u32_e32 v6, vcc, 0, v9, vcc
	v_lshlrev_b32_e32 v6, 2, v6
	ds_bpermute_b32 v9, v6, v7
	v_cmp_eq_u32_e32 vcc, 0, v8
	s_and_saveexec_b64 s[6:7], vcc
	s_cbranch_execz .LBB13_6
; %bb.5:
	s_waitcnt lgkmcnt(0)
	v_cmp_u_f32_e32 vcc, v9, v9
	v_cmp_lt_f32_e64 s[4:5], v7, v9
	s_or_b64 vcc, vcc, s[4:5]
	v_cndmask_b32_e32 v7, v7, v9, vcc
	v_lshrrev_b32_e32 v9, 4, v0
	ds_write_b32 v9, v7
.LBB13_6:
	s_or_b64 exec, exec, s[6:7]
	s_waitcnt lgkmcnt(0)
	s_barrier
	s_load_dword s3, s[0:1], 0xc9c
	v_mov_b32_e32 v7, 0xff7fffff
	s_waitcnt lgkmcnt(0)
	s_bfe_u32 s3, s3, 0xa0006
	v_cmp_gt_u32_e32 vcc, s3, v0
	s_and_saveexec_b64 s[4:5], vcc
; %bb.7:
	v_lshlrev_b32_e32 v7, 2, v8
	ds_read_b32 v7, v7
; %bb.8:
	s_or_b64 exec, exec, s[4:5]
	v_cmp_gt_u32_e32 vcc, 64, v0
	s_and_saveexec_b64 s[6:7], vcc
	s_cbranch_execz .LBB13_10
; %bb.9:
	s_waitcnt lgkmcnt(0)
	ds_bpermute_b32 v1, v1, v7
	s_waitcnt lgkmcnt(0)
	v_cmp_u_f32_e32 vcc, v1, v1
	v_cmp_lt_f32_e64 s[4:5], v7, v1
	s_or_b64 vcc, vcc, s[4:5]
	v_cndmask_b32_e32 v1, v7, v1, vcc
	ds_bpermute_b32 v2, v2, v1
	s_waitcnt lgkmcnt(0)
	v_cmp_u_f32_e32 vcc, v2, v2
	v_cmp_lt_f32_e64 s[4:5], v1, v2
	s_or_b64 vcc, vcc, s[4:5]
	v_cndmask_b32_e32 v1, v1, v2, vcc
	;; [unrolled: 6-line block ×6, first 2 shown]
.LBB13_10:
	s_or_b64 exec, exec, s[6:7]
	s_mov_b32 s3, 0
	v_cmp_eq_u32_e32 vcc, 0, v0
	s_and_saveexec_b64 s[4:5], vcc
	s_cbranch_execz .LBB13_12
; %bb.11:
	s_lshl_b64 s[2:3], s[2:3], 3
	s_add_u32 s0, s0, s2
	s_addc_u32 s1, s1, s3
	s_load_dwordx2 s[0:1], s[0:1], 0x8
	v_mov_b32_e32 v0, 0
	s_waitcnt lgkmcnt(0)
	global_store_dword v0, v7, s[0:1]
.LBB13_12:
	s_endpgm
	.section	.rodata,"a",@progbits
	.p2align	6, 0x0
	.amdhsa_kernel _ZN2at6native13lpmax_cleanupIfEEvPKT_NS0_19TensorListAddressesEi
		.amdhsa_group_segment_fixed_size 2048
		.amdhsa_private_segment_fixed_size 0
		.amdhsa_kernarg_size 3472
		.amdhsa_user_sgpr_count 2
		.amdhsa_user_sgpr_dispatch_ptr 0
		.amdhsa_user_sgpr_queue_ptr 0
		.amdhsa_user_sgpr_kernarg_segment_ptr 1
		.amdhsa_user_sgpr_dispatch_id 0
		.amdhsa_user_sgpr_kernarg_preload_length 0
		.amdhsa_user_sgpr_kernarg_preload_offset 0
		.amdhsa_user_sgpr_private_segment_size 0
		.amdhsa_uses_dynamic_stack 0
		.amdhsa_enable_private_segment 0
		.amdhsa_system_sgpr_workgroup_id_x 1
		.amdhsa_system_sgpr_workgroup_id_y 0
		.amdhsa_system_sgpr_workgroup_id_z 0
		.amdhsa_system_sgpr_workgroup_info 0
		.amdhsa_system_vgpr_workitem_id 0
		.amdhsa_next_free_vgpr 11
		.amdhsa_next_free_sgpr 18
		.amdhsa_accum_offset 12
		.amdhsa_reserve_vcc 1
		.amdhsa_float_round_mode_32 0
		.amdhsa_float_round_mode_16_64 0
		.amdhsa_float_denorm_mode_32 3
		.amdhsa_float_denorm_mode_16_64 3
		.amdhsa_dx10_clamp 1
		.amdhsa_ieee_mode 1
		.amdhsa_fp16_overflow 0
		.amdhsa_tg_split 0
		.amdhsa_exception_fp_ieee_invalid_op 0
		.amdhsa_exception_fp_denorm_src 0
		.amdhsa_exception_fp_ieee_div_zero 0
		.amdhsa_exception_fp_ieee_overflow 0
		.amdhsa_exception_fp_ieee_underflow 0
		.amdhsa_exception_fp_ieee_inexact 0
		.amdhsa_exception_int_div_zero 0
	.end_amdhsa_kernel
	.section	.text._ZN2at6native13lpmax_cleanupIfEEvPKT_NS0_19TensorListAddressesEi,"axG",@progbits,_ZN2at6native13lpmax_cleanupIfEEvPKT_NS0_19TensorListAddressesEi,comdat
.Lfunc_end13:
	.size	_ZN2at6native13lpmax_cleanupIfEEvPKT_NS0_19TensorListAddressesEi, .Lfunc_end13-_ZN2at6native13lpmax_cleanupIfEEvPKT_NS0_19TensorListAddressesEi
                                        ; -- End function
	.set _ZN2at6native13lpmax_cleanupIfEEvPKT_NS0_19TensorListAddressesEi.num_vgpr, 11
	.set _ZN2at6native13lpmax_cleanupIfEEvPKT_NS0_19TensorListAddressesEi.num_agpr, 0
	.set _ZN2at6native13lpmax_cleanupIfEEvPKT_NS0_19TensorListAddressesEi.numbered_sgpr, 18
	.set _ZN2at6native13lpmax_cleanupIfEEvPKT_NS0_19TensorListAddressesEi.num_named_barrier, 0
	.set _ZN2at6native13lpmax_cleanupIfEEvPKT_NS0_19TensorListAddressesEi.private_seg_size, 0
	.set _ZN2at6native13lpmax_cleanupIfEEvPKT_NS0_19TensorListAddressesEi.uses_vcc, 1
	.set _ZN2at6native13lpmax_cleanupIfEEvPKT_NS0_19TensorListAddressesEi.uses_flat_scratch, 0
	.set _ZN2at6native13lpmax_cleanupIfEEvPKT_NS0_19TensorListAddressesEi.has_dyn_sized_stack, 0
	.set _ZN2at6native13lpmax_cleanupIfEEvPKT_NS0_19TensorListAddressesEi.has_recursion, 0
	.set _ZN2at6native13lpmax_cleanupIfEEvPKT_NS0_19TensorListAddressesEi.has_indirect_call, 0
	.section	.AMDGPU.csdata,"",@progbits
; Kernel info:
; codeLenInByte = 912
; TotalNumSgprs: 24
; NumVgprs: 11
; NumAgprs: 0
; TotalNumVgprs: 11
; ScratchSize: 0
; MemoryBound: 0
; FloatMode: 240
; IeeeMode: 1
; LDSByteSize: 2048 bytes/workgroup (compile time only)
; SGPRBlocks: 2
; VGPRBlocks: 1
; NumSGPRsForWavesPerEU: 24
; NumVGPRsForWavesPerEU: 11
; AccumOffset: 12
; Occupancy: 8
; WaveLimiterHint : 0
; COMPUTE_PGM_RSRC2:SCRATCH_EN: 0
; COMPUTE_PGM_RSRC2:USER_SGPR: 2
; COMPUTE_PGM_RSRC2:TRAP_HANDLER: 0
; COMPUTE_PGM_RSRC2:TGID_X_EN: 1
; COMPUTE_PGM_RSRC2:TGID_Y_EN: 0
; COMPUTE_PGM_RSRC2:TGID_Z_EN: 0
; COMPUTE_PGM_RSRC2:TIDIG_COMP_CNT: 0
; COMPUTE_PGM_RSRC3_GFX90A:ACCUM_OFFSET: 2
; COMPUTE_PGM_RSRC3_GFX90A:TG_SPLIT: 0
	.section	.text._ZN2at6native12_GLOBAL__N_125multi_tensor_apply_kernelINS1_18TensorListMetadataILi1EEENS0_12LpMaxFunctorIN3c104HalfELi1ELi1ELi0EEEJPS7_iEEEvT_T0_DpT1_,"axG",@progbits,_ZN2at6native12_GLOBAL__N_125multi_tensor_apply_kernelINS1_18TensorListMetadataILi1EEENS0_12LpMaxFunctorIN3c104HalfELi1ELi1ELi0EEEJPS7_iEEEvT_T0_DpT1_,comdat
	.globl	_ZN2at6native12_GLOBAL__N_125multi_tensor_apply_kernelINS1_18TensorListMetadataILi1EEENS0_12LpMaxFunctorIN3c104HalfELi1ELi1ELi0EEEJPS7_iEEEvT_T0_DpT1_ ; -- Begin function _ZN2at6native12_GLOBAL__N_125multi_tensor_apply_kernelINS1_18TensorListMetadataILi1EEENS0_12LpMaxFunctorIN3c104HalfELi1ELi1ELi0EEEJPS7_iEEEvT_T0_DpT1_
	.p2align	8
	.type	_ZN2at6native12_GLOBAL__N_125multi_tensor_apply_kernelINS1_18TensorListMetadataILi1EEENS0_12LpMaxFunctorIN3c104HalfELi1ELi1ELi0EEEJPS7_iEEEvT_T0_DpT1_,@function
_ZN2at6native12_GLOBAL__N_125multi_tensor_apply_kernelINS1_18TensorListMetadataILi1EEENS0_12LpMaxFunctorIN3c104HalfELi1ELi1ELi0EEEJPS7_iEEEvT_T0_DpT1_: ; @_ZN2at6native12_GLOBAL__N_125multi_tensor_apply_kernelINS1_18TensorListMetadataILi1EEENS0_12LpMaxFunctorIN3c104HalfELi1ELi1ELi0EEEJPS7_iEEEvT_T0_DpT1_
; %bb.0:
	v_mov_b32_e32 v1, s2
	global_load_ubyte v1, v1, s[0:1] offset:1760
	s_add_u32 s3, s0, s2
	s_mul_hi_u32 s4, s2, 3
	s_mul_i32 s2, s2, 3
	s_addc_u32 s5, s1, 0
	s_add_u32 s2, s3, s2
	s_addc_u32 s3, s5, s4
	s_load_dword s10, s[2:3], 0x820
	s_mov_b32 s15, 0
	s_waitcnt lgkmcnt(0)
	s_ashr_i32 s11, s10, 31
	s_lshl_b64 s[8:9], s[10:11], 16
	s_waitcnt vmcnt(0)
	v_readfirstlane_b32 s2, v1
	s_and_b32 s22, s2, 0xff
	s_lshl_b32 s6, s22, 3
	s_load_dwordx2 s[2:3], s[0:1], s6 offset:0x370
	s_load_dwordx2 s[4:5], s[0:1], s6 offset:0x0
	s_lshl_b64 s[6:7], s[10:11], 17
	s_waitcnt lgkmcnt(0)
	s_add_u32 s12, s4, s6
	s_addc_u32 s13, s5, s7
	s_sub_u32 s8, s2, s8
	s_subb_u32 s9, s3, s9
	s_and_b32 s14, s2, 3
	s_and_b32 s2, s12, 7
	s_mov_b32 s3, s15
	s_or_b64 s[2:3], s[14:15], s[2:3]
	s_cmp_eq_u64 s[2:3], 0
	s_cbranch_scc1 .LBB14_12
; %bb.1:
	v_cmp_lt_i64_e64 s[2:3], s[8:9], 1
	s_and_b64 vcc, exec, s[2:3]
	s_cbranch_vccnz .LBB14_13
; %bb.2:
	s_load_dword s14, s[0:1], 0xd4c
	v_mov_b64_e32 v[2:3], 0x10000
	v_cmp_lt_i64_e32 vcc, s[8:9], v[2:3]
	s_and_b64 s[2:3], vcc, exec
	s_cselect_b32 s3, s9, 0
	s_cselect_b32 s2, s8, 0x10000
	s_waitcnt lgkmcnt(0)
	s_and_b32 s16, s14, 0xffff
	v_mad_u64_u32 v[6:7], s[14:15], s16, 3, v[0:1]
	s_mov_b32 s11, 0x10000
	v_mov_b32_e32 v3, 0
	s_lshl_b32 s18, s16, 2
	v_lshl_add_u32 v4, s16, 1, v0
	v_add_u32_e32 v8, s16, v0
	s_mov_b64 s[14:15], 0
	v_mov_b32_e32 v7, 0xfffffbff
	v_mov_b64_e32 v[10:11], s[2:3]
	v_mov_b32_e32 v9, 0xfffffbff
	v_mov_b32_e32 v12, 0xfffffbff
	;; [unrolled: 1-line block ×3, first 2 shown]
	s_branch .LBB14_4
.LBB14_3:                               ;   in Loop: Header=BB14_4 Depth=1
	s_or_b64 exec, exec, s[16:17]
	s_add_u32 s14, s14, s18
	s_addc_u32 s15, s15, 0
	v_cmp_lt_i64_e32 vcc, s[14:15], v[10:11]
	s_cbranch_vccz .LBB14_14
.LBB14_4:                               ; =>This Inner Loop Header: Depth=1
	v_add_u32_e32 v2, s14, v0
	v_cmp_gt_i64_e32 vcc, s[8:9], v[2:3]
	v_cmp_gt_u32_e64 s[2:3], s11, v2
	s_and_b64 s[2:3], s[2:3], vcc
	s_and_saveexec_b64 s[16:17], s[2:3]
	s_cbranch_execz .LBB14_6
; %bb.5:                                ;   in Loop: Header=BB14_4 Depth=1
	v_lshl_add_u64 v[14:15], v[2:3], 1, s[12:13]
	global_load_ushort v1, v[14:15], off
	s_waitcnt vmcnt(0)
	v_cmp_u_f16_e32 vcc, v1, v1
	v_cmp_lt_f16_e64 s[2:3], v13, v1
	s_or_b64 vcc, vcc, s[2:3]
	v_cndmask_b32_e32 v13, v13, v1, vcc
.LBB14_6:                               ;   in Loop: Header=BB14_4 Depth=1
	s_or_b64 exec, exec, s[16:17]
	v_add_u32_e32 v2, s14, v8
	v_cmp_gt_i64_e32 vcc, s[8:9], v[2:3]
	v_cmp_gt_u32_e64 s[2:3], s11, v2
	s_and_b64 s[2:3], s[2:3], vcc
	s_and_saveexec_b64 s[16:17], s[2:3]
	s_cbranch_execz .LBB14_8
; %bb.7:                                ;   in Loop: Header=BB14_4 Depth=1
	v_lshl_add_u64 v[14:15], v[2:3], 1, s[12:13]
	global_load_ushort v1, v[14:15], off
	s_waitcnt vmcnt(0)
	v_cmp_u_f16_e32 vcc, v1, v1
	v_cmp_lt_f16_e64 s[2:3], v12, v1
	s_or_b64 vcc, vcc, s[2:3]
	v_cndmask_b32_e32 v12, v12, v1, vcc
.LBB14_8:                               ;   in Loop: Header=BB14_4 Depth=1
	s_or_b64 exec, exec, s[16:17]
	v_add_u32_e32 v2, s14, v4
	v_cmp_gt_i64_e32 vcc, s[8:9], v[2:3]
	v_cmp_gt_u32_e64 s[2:3], s11, v2
	s_and_b64 s[2:3], s[2:3], vcc
	s_and_saveexec_b64 s[16:17], s[2:3]
	s_cbranch_execz .LBB14_10
; %bb.9:                                ;   in Loop: Header=BB14_4 Depth=1
	v_lshl_add_u64 v[14:15], v[2:3], 1, s[12:13]
	global_load_ushort v1, v[14:15], off
	s_waitcnt vmcnt(0)
	v_cmp_u_f16_e32 vcc, v1, v1
	v_cmp_lt_f16_e64 s[2:3], v9, v1
	s_or_b64 vcc, vcc, s[2:3]
	v_cndmask_b32_e32 v9, v9, v1, vcc
.LBB14_10:                              ;   in Loop: Header=BB14_4 Depth=1
	s_or_b64 exec, exec, s[16:17]
	v_add_u32_e32 v2, s14, v6
	v_cmp_gt_i64_e32 vcc, s[8:9], v[2:3]
	v_cmp_gt_u32_e64 s[2:3], s11, v2
	s_and_b64 s[2:3], s[2:3], vcc
	s_and_saveexec_b64 s[16:17], s[2:3]
	s_cbranch_execz .LBB14_3
; %bb.11:                               ;   in Loop: Header=BB14_4 Depth=1
	v_lshl_add_u64 v[14:15], v[2:3], 1, s[12:13]
	global_load_ushort v1, v[14:15], off
	s_waitcnt vmcnt(0)
	v_cmp_u_f16_e32 vcc, v1, v1
	v_cmp_lt_f16_e64 s[2:3], v7, v1
	s_or_b64 vcc, vcc, s[2:3]
	v_cndmask_b32_e32 v7, v7, v1, vcc
	s_branch .LBB14_3
.LBB14_12:
                                        ; implicit-def: $vgpr13
                                        ; implicit-def: $vgpr12
                                        ; implicit-def: $vgpr9
                                        ; implicit-def: $vgpr7
	s_branch .LBB14_15
.LBB14_13:
	v_mov_b32_e32 v13, 0xfffffbff
	v_mov_b32_e32 v12, 0xfffffbff
	;; [unrolled: 1-line block ×4, first 2 shown]
.LBB14_14:
	s_cbranch_execnz .LBB14_20
.LBB14_15:
	v_mov_b64_e32 v[4:5], 0x10000
	v_cmp_lt_i64_e32 vcc, s[8:9], v[4:5]
	s_and_b64 s[2:3], vcc, exec
	v_mov_b32_e32 v3, 0
	s_cselect_b32 s15, s9, 0
	s_cselect_b32 s14, s8, 0x10000
	v_lshlrev_b32_e32 v2, 2, v0
	s_mov_b32 s13, 0
	v_cmp_gt_i64_e32 vcc, s[14:15], v[2:3]
	v_mov_b32_e32 v13, 0xfffffbff
	v_mov_b32_e32 v12, 0xfffffbff
	;; [unrolled: 1-line block ×4, first 2 shown]
	s_and_saveexec_b64 s[16:17], vcc
	s_cbranch_execz .LBB14_19
; %bb.16:
	s_load_dword s2, s[0:1], 0xd4c
	v_mov_b32_e32 v1, v3
	v_lshlrev_b32_e32 v2, 3, v0
	s_mov_b32 s19, s13
	v_mov_b32_e32 v7, 0xfffffbff
	s_waitcnt lgkmcnt(0)
	s_and_b32 s12, s2, 0xffff
	s_add_u32 s2, s4, s6
	s_addc_u32 s3, s5, s7
	s_lshl_b32 s18, s12, 3
	v_lshl_add_u64 v[2:3], s[2:3], 0, v[2:3]
	s_mov_b64 s[20:21], 0
	v_mov_b32_e32 v9, 0xfffffbff
	v_mov_b32_e32 v12, 0xfffffbff
	;; [unrolled: 1-line block ×3, first 2 shown]
	v_mov_b64_e32 v[4:5], v[0:1]
.LBB14_17:                              ; =>This Inner Loop Header: Depth=1
	global_load_dwordx2 v[10:11], v[2:3], off
	v_lshl_add_u64 v[4:5], v[4:5], 0, s[12:13]
	v_lshlrev_b64 v[14:15], 2, v[4:5]
	v_cmp_le_i64_e32 vcc, s[14:15], v[14:15]
	v_lshl_add_u64 v[2:3], v[2:3], 0, s[18:19]
	s_waitcnt vmcnt(0)
	v_cmp_u_f16_e64 s[2:3], v10, v10
	v_cmp_lt_f16_e64 s[4:5], v13, v10
	v_lshrrev_b32_e32 v1, 16, v10
	v_cmp_u_f16_e64 s[6:7], v11, v11
	v_cmp_lt_f16_e64 s[8:9], v9, v11
	s_or_b64 s[2:3], s[2:3], s[4:5]
	v_lshrrev_b32_e32 v6, 16, v11
	v_cndmask_b32_e64 v13, v13, v10, s[2:3]
	v_cmp_u_f16_e64 s[2:3], v1, v1
	v_cmp_lt_f16_e64 s[4:5], v12, v1
	s_or_b64 s[6:7], s[6:7], s[8:9]
	v_cndmask_b32_e64 v9, v9, v11, s[6:7]
	v_cmp_u_f16_e64 s[6:7], v6, v6
	v_cmp_lt_f16_e64 s[8:9], v7, v6
	s_or_b64 s[2:3], s[2:3], s[4:5]
	v_cndmask_b32_e64 v12, v12, v1, s[2:3]
	s_or_b64 s[2:3], s[6:7], s[8:9]
	s_or_b64 s[20:21], vcc, s[20:21]
	v_cndmask_b32_e64 v7, v7, v6, s[2:3]
	s_andn2_b64 exec, exec, s[20:21]
	s_cbranch_execnz .LBB14_17
; %bb.18:
	s_or_b64 exec, exec, s[20:21]
.LBB14_19:
	s_or_b64 exec, exec, s[16:17]
.LBB14_20:
	s_mov_b32 s2, 0xfbff
	v_cmp_u_f16_e32 vcc, v13, v13
	v_cmp_lt_f16_e64 s[2:3], s2, v13
	v_mov_b32_e32 v1, 0xfffffbff
	s_or_b64 vcc, vcc, s[2:3]
	v_cndmask_b32_e32 v2, v1, v13, vcc
	v_cmp_u_f16_e32 vcc, v12, v12
	v_cmp_lt_f16_e64 s[2:3], v2, v12
	s_or_b64 vcc, vcc, s[2:3]
	v_cndmask_b32_e32 v2, v2, v12, vcc
	v_cmp_u_f16_e32 vcc, v9, v9
	v_cmp_lt_f16_e64 s[2:3], v2, v9
	;; [unrolled: 4-line block ×3, first 2 shown]
	s_or_b64 vcc, vcc, s[2:3]
	v_cndmask_b32_e32 v3, v2, v7, vcc
	v_mbcnt_lo_u32_b32 v2, -1, 0
	v_mbcnt_hi_u32_b32 v7, -1, v2
	v_mov_b32_e32 v2, 0x80
	v_and_b32_e32 v4, 0xffff, v3
	v_lshl_or_b32 v2, v7, 2, v2
	ds_bpermute_b32 v4, v2, v4
	v_and_b32_e32 v10, 63, v7
	s_waitcnt lgkmcnt(0)
	s_barrier
	v_cmp_u_f16_e32 vcc, v4, v4
	v_cmp_lt_f16_e64 s[2:3], v3, v4
	s_or_b64 vcc, vcc, s[2:3]
	v_cndmask_b32_e32 v4, v3, v4, vcc
	v_cmp_gt_u32_e32 vcc, 48, v10
	v_and_b32_e32 v5, 0xffff, v4
	s_nop 0
	v_cndmask_b32_e64 v3, 0, 16, vcc
	v_add_lshl_u32 v3, v3, v7, 2
	ds_bpermute_b32 v5, v3, v5
	s_waitcnt lgkmcnt(0)
	v_cmp_u_f16_e32 vcc, v5, v5
	v_cmp_lt_f16_e64 s[2:3], v4, v5
	s_or_b64 vcc, vcc, s[2:3]
	v_cndmask_b32_e32 v5, v4, v5, vcc
	v_cmp_gt_u32_e32 vcc, 56, v10
	v_and_b32_e32 v6, 0xffff, v5
	s_nop 0
	v_cndmask_b32_e64 v4, 0, 8, vcc
	v_add_lshl_u32 v4, v4, v7, 2
	ds_bpermute_b32 v6, v4, v6
	s_waitcnt lgkmcnt(0)
	;; [unrolled: 11-line block ×3, first 2 shown]
	v_cmp_u_f16_e32 vcc, v8, v8
	v_cmp_lt_f16_e64 s[2:3], v6, v8
	s_or_b64 vcc, vcc, s[2:3]
	v_cndmask_b32_e32 v9, v6, v8, vcc
	v_cmp_gt_u32_e32 vcc, 62, v10
	v_and_b32_e32 v8, 0xffff, v9
	s_nop 0
	v_cndmask_b32_e64 v6, 0, 2, vcc
	v_add_lshl_u32 v6, v6, v7, 2
	ds_bpermute_b32 v11, v6, v8
	v_and_b32_e32 v8, 63, v0
	s_waitcnt lgkmcnt(0)
	v_cmp_u_f16_e32 vcc, v11, v11
	v_cmp_lt_f16_e64 s[2:3], v9, v11
	s_or_b64 vcc, vcc, s[2:3]
	v_cndmask_b32_e32 v9, v9, v11, vcc
	v_cmp_ne_u32_e32 vcc, 63, v10
	v_and_b32_e32 v11, 0xffff, v9
	s_nop 0
	v_addc_co_u32_e32 v7, vcc, 0, v7, vcc
	v_lshlrev_b32_e32 v7, 2, v7
	ds_bpermute_b32 v10, v7, v11
	v_cmp_eq_u32_e32 vcc, 0, v8
	s_and_saveexec_b64 s[4:5], vcc
	s_cbranch_execz .LBB14_22
; %bb.21:
	s_waitcnt lgkmcnt(0)
	v_cmp_u_f16_e32 vcc, v10, v10
	v_cmp_lt_f16_e64 s[2:3], v9, v10
	s_or_b64 vcc, vcc, s[2:3]
	v_lshrrev_b32_e32 v11, 5, v0
	v_cndmask_b32_e32 v9, v9, v10, vcc
	ds_write_b16 v11, v9
.LBB14_22:
	s_or_b64 exec, exec, s[4:5]
	s_waitcnt lgkmcnt(0)
	s_barrier
	s_load_dword s2, s[0:1], 0xd4c
	s_waitcnt lgkmcnt(0)
	s_bfe_u32 s2, s2, 0xa0006
	v_cmp_gt_u32_e32 vcc, s2, v0
	s_and_saveexec_b64 s[2:3], vcc
	s_cbranch_execnz .LBB14_26
; %bb.23:
	s_or_b64 exec, exec, s[2:3]
	v_cmp_gt_u32_e32 vcc, 64, v0
	s_and_saveexec_b64 s[4:5], vcc
	s_cbranch_execnz .LBB14_27
.LBB14_24:
	s_or_b64 exec, exec, s[4:5]
	v_cmp_eq_u32_e32 vcc, 0, v0
	s_and_saveexec_b64 s[2:3], vcc
	s_cbranch_execnz .LBB14_28
.LBB14_25:
	s_endpgm
.LBB14_26:
	v_lshlrev_b32_e32 v1, 1, v8
	ds_read_u16 v1, v1
	s_or_b64 exec, exec, s[2:3]
	v_cmp_gt_u32_e32 vcc, 64, v0
	s_and_saveexec_b64 s[4:5], vcc
	s_cbranch_execz .LBB14_24
.LBB14_27:
	s_waitcnt lgkmcnt(0)
	v_and_b32_e32 v8, 0xffff, v1
	ds_bpermute_b32 v2, v2, v8
	s_waitcnt lgkmcnt(0)
	v_cmp_u_f16_e32 vcc, v2, v2
	v_cmp_lt_f16_e64 s[2:3], v1, v2
	s_or_b64 vcc, vcc, s[2:3]
	v_cndmask_b32_e32 v1, v1, v2, vcc
	v_and_b32_e32 v2, 0xffff, v1
	ds_bpermute_b32 v2, v3, v2
	s_waitcnt lgkmcnt(0)
	v_cmp_u_f16_e32 vcc, v2, v2
	v_cmp_lt_f16_e64 s[2:3], v1, v2
	s_or_b64 vcc, vcc, s[2:3]
	v_cndmask_b32_e32 v1, v1, v2, vcc
	;; [unrolled: 7-line block ×6, first 2 shown]
	s_or_b64 exec, exec, s[4:5]
	v_cmp_eq_u32_e32 vcc, 0, v0
	s_and_saveexec_b64 s[2:3], vcc
	s_cbranch_execz .LBB14_25
.LBB14_28:
	s_load_dword s4, s[0:1], 0xd20
	s_load_dword s5, s[0:1], 0xd38
	s_load_dwordx2 s[2:3], s[0:1], 0xd30
	v_mov_b32_e32 v0, 0
	s_waitcnt lgkmcnt(0)
	s_add_i32 s0, s4, s22
	s_mul_i32 s0, s0, s5
	s_add_i32 s0, s0, s10
	s_ashr_i32 s1, s0, 31
	s_lshl_b64 s[0:1], s[0:1], 1
	s_add_u32 s0, s2, s0
	s_addc_u32 s1, s3, s1
	global_store_short v0, v1, s[0:1]
	s_endpgm
	.section	.rodata,"a",@progbits
	.p2align	6, 0x0
	.amdhsa_kernel _ZN2at6native12_GLOBAL__N_125multi_tensor_apply_kernelINS1_18TensorListMetadataILi1EEENS0_12LpMaxFunctorIN3c104HalfELi1ELi1ELi0EEEJPS7_iEEEvT_T0_DpT1_
		.amdhsa_group_segment_fixed_size 1024
		.amdhsa_private_segment_fixed_size 0
		.amdhsa_kernarg_size 3648
		.amdhsa_user_sgpr_count 2
		.amdhsa_user_sgpr_dispatch_ptr 0
		.amdhsa_user_sgpr_queue_ptr 0
		.amdhsa_user_sgpr_kernarg_segment_ptr 1
		.amdhsa_user_sgpr_dispatch_id 0
		.amdhsa_user_sgpr_kernarg_preload_length 0
		.amdhsa_user_sgpr_kernarg_preload_offset 0
		.amdhsa_user_sgpr_private_segment_size 0
		.amdhsa_uses_dynamic_stack 0
		.amdhsa_enable_private_segment 0
		.amdhsa_system_sgpr_workgroup_id_x 1
		.amdhsa_system_sgpr_workgroup_id_y 0
		.amdhsa_system_sgpr_workgroup_id_z 0
		.amdhsa_system_sgpr_workgroup_info 0
		.amdhsa_system_vgpr_workitem_id 0
		.amdhsa_next_free_vgpr 16
		.amdhsa_next_free_sgpr 23
		.amdhsa_accum_offset 16
		.amdhsa_reserve_vcc 1
		.amdhsa_float_round_mode_32 0
		.amdhsa_float_round_mode_16_64 0
		.amdhsa_float_denorm_mode_32 3
		.amdhsa_float_denorm_mode_16_64 3
		.amdhsa_dx10_clamp 1
		.amdhsa_ieee_mode 1
		.amdhsa_fp16_overflow 0
		.amdhsa_tg_split 0
		.amdhsa_exception_fp_ieee_invalid_op 0
		.amdhsa_exception_fp_denorm_src 0
		.amdhsa_exception_fp_ieee_div_zero 0
		.amdhsa_exception_fp_ieee_overflow 0
		.amdhsa_exception_fp_ieee_underflow 0
		.amdhsa_exception_fp_ieee_inexact 0
		.amdhsa_exception_int_div_zero 0
	.end_amdhsa_kernel
	.section	.text._ZN2at6native12_GLOBAL__N_125multi_tensor_apply_kernelINS1_18TensorListMetadataILi1EEENS0_12LpMaxFunctorIN3c104HalfELi1ELi1ELi0EEEJPS7_iEEEvT_T0_DpT1_,"axG",@progbits,_ZN2at6native12_GLOBAL__N_125multi_tensor_apply_kernelINS1_18TensorListMetadataILi1EEENS0_12LpMaxFunctorIN3c104HalfELi1ELi1ELi0EEEJPS7_iEEEvT_T0_DpT1_,comdat
.Lfunc_end14:
	.size	_ZN2at6native12_GLOBAL__N_125multi_tensor_apply_kernelINS1_18TensorListMetadataILi1EEENS0_12LpMaxFunctorIN3c104HalfELi1ELi1ELi0EEEJPS7_iEEEvT_T0_DpT1_, .Lfunc_end14-_ZN2at6native12_GLOBAL__N_125multi_tensor_apply_kernelINS1_18TensorListMetadataILi1EEENS0_12LpMaxFunctorIN3c104HalfELi1ELi1ELi0EEEJPS7_iEEEvT_T0_DpT1_
                                        ; -- End function
	.set _ZN2at6native12_GLOBAL__N_125multi_tensor_apply_kernelINS1_18TensorListMetadataILi1EEENS0_12LpMaxFunctorIN3c104HalfELi1ELi1ELi0EEEJPS7_iEEEvT_T0_DpT1_.num_vgpr, 16
	.set _ZN2at6native12_GLOBAL__N_125multi_tensor_apply_kernelINS1_18TensorListMetadataILi1EEENS0_12LpMaxFunctorIN3c104HalfELi1ELi1ELi0EEEJPS7_iEEEvT_T0_DpT1_.num_agpr, 0
	.set _ZN2at6native12_GLOBAL__N_125multi_tensor_apply_kernelINS1_18TensorListMetadataILi1EEENS0_12LpMaxFunctorIN3c104HalfELi1ELi1ELi0EEEJPS7_iEEEvT_T0_DpT1_.numbered_sgpr, 23
	.set _ZN2at6native12_GLOBAL__N_125multi_tensor_apply_kernelINS1_18TensorListMetadataILi1EEENS0_12LpMaxFunctorIN3c104HalfELi1ELi1ELi0EEEJPS7_iEEEvT_T0_DpT1_.num_named_barrier, 0
	.set _ZN2at6native12_GLOBAL__N_125multi_tensor_apply_kernelINS1_18TensorListMetadataILi1EEENS0_12LpMaxFunctorIN3c104HalfELi1ELi1ELi0EEEJPS7_iEEEvT_T0_DpT1_.private_seg_size, 0
	.set _ZN2at6native12_GLOBAL__N_125multi_tensor_apply_kernelINS1_18TensorListMetadataILi1EEENS0_12LpMaxFunctorIN3c104HalfELi1ELi1ELi0EEEJPS7_iEEEvT_T0_DpT1_.uses_vcc, 1
	.set _ZN2at6native12_GLOBAL__N_125multi_tensor_apply_kernelINS1_18TensorListMetadataILi1EEENS0_12LpMaxFunctorIN3c104HalfELi1ELi1ELi0EEEJPS7_iEEEvT_T0_DpT1_.uses_flat_scratch, 0
	.set _ZN2at6native12_GLOBAL__N_125multi_tensor_apply_kernelINS1_18TensorListMetadataILi1EEENS0_12LpMaxFunctorIN3c104HalfELi1ELi1ELi0EEEJPS7_iEEEvT_T0_DpT1_.has_dyn_sized_stack, 0
	.set _ZN2at6native12_GLOBAL__N_125multi_tensor_apply_kernelINS1_18TensorListMetadataILi1EEENS0_12LpMaxFunctorIN3c104HalfELi1ELi1ELi0EEEJPS7_iEEEvT_T0_DpT1_.has_recursion, 0
	.set _ZN2at6native12_GLOBAL__N_125multi_tensor_apply_kernelINS1_18TensorListMetadataILi1EEENS0_12LpMaxFunctorIN3c104HalfELi1ELi1ELi0EEEJPS7_iEEEvT_T0_DpT1_.has_indirect_call, 0
	.section	.AMDGPU.csdata,"",@progbits
; Kernel info:
; codeLenInByte = 1948
; TotalNumSgprs: 29
; NumVgprs: 16
; NumAgprs: 0
; TotalNumVgprs: 16
; ScratchSize: 0
; MemoryBound: 0
; FloatMode: 240
; IeeeMode: 1
; LDSByteSize: 1024 bytes/workgroup (compile time only)
; SGPRBlocks: 3
; VGPRBlocks: 1
; NumSGPRsForWavesPerEU: 29
; NumVGPRsForWavesPerEU: 16
; AccumOffset: 16
; Occupancy: 8
; WaveLimiterHint : 0
; COMPUTE_PGM_RSRC2:SCRATCH_EN: 0
; COMPUTE_PGM_RSRC2:USER_SGPR: 2
; COMPUTE_PGM_RSRC2:TRAP_HANDLER: 0
; COMPUTE_PGM_RSRC2:TGID_X_EN: 1
; COMPUTE_PGM_RSRC2:TGID_Y_EN: 0
; COMPUTE_PGM_RSRC2:TGID_Z_EN: 0
; COMPUTE_PGM_RSRC2:TIDIG_COMP_CNT: 0
; COMPUTE_PGM_RSRC3_GFX90A:ACCUM_OFFSET: 3
; COMPUTE_PGM_RSRC3_GFX90A:TG_SPLIT: 0
	.section	.text._ZN2at6native13lpmax_cleanupIN3c104HalfEEEvPKT_NS0_19TensorListAddressesEi,"axG",@progbits,_ZN2at6native13lpmax_cleanupIN3c104HalfEEEvPKT_NS0_19TensorListAddressesEi,comdat
	.protected	_ZN2at6native13lpmax_cleanupIN3c104HalfEEEvPKT_NS0_19TensorListAddressesEi ; -- Begin function _ZN2at6native13lpmax_cleanupIN3c104HalfEEEvPKT_NS0_19TensorListAddressesEi
	.globl	_ZN2at6native13lpmax_cleanupIN3c104HalfEEEvPKT_NS0_19TensorListAddressesEi
	.p2align	8
	.type	_ZN2at6native13lpmax_cleanupIN3c104HalfEEEvPKT_NS0_19TensorListAddressesEi,@function
_ZN2at6native13lpmax_cleanupIN3c104HalfEEEvPKT_NS0_19TensorListAddressesEi: ; @_ZN2at6native13lpmax_cleanupIN3c104HalfEEEvPKT_NS0_19TensorListAddressesEi
; %bb.0:
	s_load_dword s10, s[0:1], 0xc88
	v_mov_b32_e32 v6, 0xfffffbff
	s_waitcnt lgkmcnt(0)
	v_cmp_gt_u32_e32 vcc, s10, v0
	s_and_saveexec_b64 s[8:9], vcc
	s_cbranch_execz .LBB15_4
; %bb.1:
	s_load_dwordx2 s[4:5], s[0:1], 0x0
	s_load_dword s3, s[0:1], 0xc9c
	s_mul_i32 s12, s10, s2
	s_mov_b32 s13, 0
	s_ashr_i32 s11, s10, 31
	s_lshl_b64 s[6:7], s[12:13], 1
	s_waitcnt lgkmcnt(0)
	s_and_b32 s14, s3, 0xffff
	v_mov_b32_e32 v1, 0
	s_add_u32 s4, s4, s6
	v_lshlrev_b32_e32 v2, 1, v0
	v_mov_b32_e32 v3, v1
	s_addc_u32 s5, s5, s7
	s_mov_b32 s15, s13
	v_lshl_add_u64 v[2:3], s[4:5], 0, v[2:3]
	s_lshl_b32 s12, s14, 1
	v_mov_b32_e32 v6, 0xfffffbff
	s_mov_b64 s[16:17], 0
	v_mov_b64_e32 v[4:5], v[0:1]
.LBB15_2:                               ; =>This Inner Loop Header: Depth=1
	global_load_ushort v1, v[2:3], off
	v_lshl_add_u64 v[4:5], v[4:5], 0, s[14:15]
	v_cmp_le_u64_e32 vcc, s[10:11], v[4:5]
	v_lshl_add_u64 v[2:3], v[2:3], 0, s[12:13]
	s_waitcnt vmcnt(0)
	v_cmp_u_f16_e64 s[4:5], v1, v1
	v_cmp_lt_f16_e64 s[6:7], v6, v1
	s_or_b64 s[4:5], s[4:5], s[6:7]
	s_or_b64 s[16:17], vcc, s[16:17]
	v_cndmask_b32_e64 v6, v6, v1, s[4:5]
	s_andn2_b64 exec, exec, s[16:17]
	s_cbranch_execnz .LBB15_2
; %bb.3:
	s_or_b64 exec, exec, s[16:17]
.LBB15_4:
	s_or_b64 exec, exec, s[8:9]
	v_mbcnt_lo_u32_b32 v1, -1, 0
	v_mbcnt_hi_u32_b32 v9, -1, v1
	v_mov_b32_e32 v1, 0x80
	v_and_b32_e32 v2, 0xffff, v6
	v_lshl_or_b32 v1, v9, 2, v1
	ds_bpermute_b32 v2, v1, v2
	v_and_b32_e32 v10, 63, v9
	v_and_b32_e32 v8, 63, v0
	s_waitcnt lgkmcnt(0)
	s_barrier
	v_cmp_u_f16_e32 vcc, v2, v2
	v_cmp_lt_f16_e64 s[4:5], v6, v2
	s_or_b64 vcc, vcc, s[4:5]
	v_cndmask_b32_e32 v3, v6, v2, vcc
	v_cmp_gt_u32_e32 vcc, 48, v10
	v_and_b32_e32 v4, 0xffff, v3
	s_nop 0
	v_cndmask_b32_e64 v2, 0, 16, vcc
	v_add_lshl_u32 v2, v2, v9, 2
	ds_bpermute_b32 v4, v2, v4
	s_waitcnt lgkmcnt(0)
	v_cmp_u_f16_e32 vcc, v4, v4
	v_cmp_lt_f16_e64 s[4:5], v3, v4
	s_or_b64 vcc, vcc, s[4:5]
	v_cndmask_b32_e32 v4, v3, v4, vcc
	v_cmp_gt_u32_e32 vcc, 56, v10
	v_and_b32_e32 v5, 0xffff, v4
	s_nop 0
	v_cndmask_b32_e64 v3, 0, 8, vcc
	v_add_lshl_u32 v3, v3, v9, 2
	ds_bpermute_b32 v5, v3, v5
	s_waitcnt lgkmcnt(0)
	;; [unrolled: 11-line block ×4, first 2 shown]
	v_cmp_u_f16_e32 vcc, v7, v7
	v_cmp_lt_f16_e64 s[4:5], v6, v7
	s_or_b64 vcc, vcc, s[4:5]
	v_cndmask_b32_e32 v7, v6, v7, vcc
	v_cmp_ne_u32_e32 vcc, 63, v10
	v_and_b32_e32 v11, 0xffff, v7
	s_nop 0
	v_addc_co_u32_e32 v6, vcc, 0, v9, vcc
	v_lshlrev_b32_e32 v6, 2, v6
	ds_bpermute_b32 v9, v6, v11
	v_cmp_eq_u32_e32 vcc, 0, v8
	s_and_saveexec_b64 s[6:7], vcc
	s_cbranch_execz .LBB15_6
; %bb.5:
	s_waitcnt lgkmcnt(0)
	v_cmp_u_f16_e32 vcc, v9, v9
	v_cmp_lt_f16_e64 s[4:5], v7, v9
	s_or_b64 vcc, vcc, s[4:5]
	v_lshrrev_b32_e32 v10, 5, v0
	v_cndmask_b32_e32 v7, v7, v9, vcc
	ds_write_b16 v10, v7
.LBB15_6:
	s_or_b64 exec, exec, s[6:7]
	s_waitcnt lgkmcnt(0)
	s_barrier
	s_load_dword s3, s[0:1], 0xc9c
	v_mov_b32_e32 v7, 0xfffffbff
	s_waitcnt lgkmcnt(0)
	s_bfe_u32 s3, s3, 0xa0006
	v_cmp_gt_u32_e32 vcc, s3, v0
	s_and_saveexec_b64 s[4:5], vcc
; %bb.7:
	v_lshlrev_b32_e32 v7, 1, v8
	ds_read_u16 v7, v7
; %bb.8:
	s_or_b64 exec, exec, s[4:5]
	v_cmp_gt_u32_e32 vcc, 64, v0
	s_and_saveexec_b64 s[6:7], vcc
	s_cbranch_execz .LBB15_10
; %bb.9:
	s_waitcnt lgkmcnt(0)
	v_and_b32_e32 v8, 0xffff, v7
	ds_bpermute_b32 v1, v1, v8
	s_waitcnt lgkmcnt(0)
	v_cmp_u_f16_e32 vcc, v1, v1
	v_cmp_lt_f16_e64 s[4:5], v7, v1
	s_or_b64 vcc, vcc, s[4:5]
	v_cndmask_b32_e32 v1, v7, v1, vcc
	v_and_b32_e32 v7, 0xffff, v1
	ds_bpermute_b32 v2, v2, v7
	s_waitcnt lgkmcnt(0)
	v_cmp_u_f16_e32 vcc, v2, v2
	v_cmp_lt_f16_e64 s[4:5], v1, v2
	s_or_b64 vcc, vcc, s[4:5]
	v_cndmask_b32_e32 v1, v1, v2, vcc
	;; [unrolled: 7-line block ×6, first 2 shown]
.LBB15_10:
	s_or_b64 exec, exec, s[6:7]
	s_mov_b32 s3, 0
	v_cmp_eq_u32_e32 vcc, 0, v0
	s_and_saveexec_b64 s[4:5], vcc
	s_cbranch_execz .LBB15_12
; %bb.11:
	s_lshl_b64 s[2:3], s[2:3], 3
	s_add_u32 s0, s0, s2
	s_addc_u32 s1, s1, s3
	s_load_dwordx2 s[0:1], s[0:1], 0x8
	v_mov_b32_e32 v0, 0
	s_waitcnt lgkmcnt(0)
	global_store_short v0, v7, s[0:1]
.LBB15_12:
	s_endpgm
	.section	.rodata,"a",@progbits
	.p2align	6, 0x0
	.amdhsa_kernel _ZN2at6native13lpmax_cleanupIN3c104HalfEEEvPKT_NS0_19TensorListAddressesEi
		.amdhsa_group_segment_fixed_size 1024
		.amdhsa_private_segment_fixed_size 0
		.amdhsa_kernarg_size 3472
		.amdhsa_user_sgpr_count 2
		.amdhsa_user_sgpr_dispatch_ptr 0
		.amdhsa_user_sgpr_queue_ptr 0
		.amdhsa_user_sgpr_kernarg_segment_ptr 1
		.amdhsa_user_sgpr_dispatch_id 0
		.amdhsa_user_sgpr_kernarg_preload_length 0
		.amdhsa_user_sgpr_kernarg_preload_offset 0
		.amdhsa_user_sgpr_private_segment_size 0
		.amdhsa_uses_dynamic_stack 0
		.amdhsa_enable_private_segment 0
		.amdhsa_system_sgpr_workgroup_id_x 1
		.amdhsa_system_sgpr_workgroup_id_y 0
		.amdhsa_system_sgpr_workgroup_id_z 0
		.amdhsa_system_sgpr_workgroup_info 0
		.amdhsa_system_vgpr_workitem_id 0
		.amdhsa_next_free_vgpr 12
		.amdhsa_next_free_sgpr 18
		.amdhsa_accum_offset 12
		.amdhsa_reserve_vcc 1
		.amdhsa_float_round_mode_32 0
		.amdhsa_float_round_mode_16_64 0
		.amdhsa_float_denorm_mode_32 3
		.amdhsa_float_denorm_mode_16_64 3
		.amdhsa_dx10_clamp 1
		.amdhsa_ieee_mode 1
		.amdhsa_fp16_overflow 0
		.amdhsa_tg_split 0
		.amdhsa_exception_fp_ieee_invalid_op 0
		.amdhsa_exception_fp_denorm_src 0
		.amdhsa_exception_fp_ieee_div_zero 0
		.amdhsa_exception_fp_ieee_overflow 0
		.amdhsa_exception_fp_ieee_underflow 0
		.amdhsa_exception_fp_ieee_inexact 0
		.amdhsa_exception_int_div_zero 0
	.end_amdhsa_kernel
	.section	.text._ZN2at6native13lpmax_cleanupIN3c104HalfEEEvPKT_NS0_19TensorListAddressesEi,"axG",@progbits,_ZN2at6native13lpmax_cleanupIN3c104HalfEEEvPKT_NS0_19TensorListAddressesEi,comdat
.Lfunc_end15:
	.size	_ZN2at6native13lpmax_cleanupIN3c104HalfEEEvPKT_NS0_19TensorListAddressesEi, .Lfunc_end15-_ZN2at6native13lpmax_cleanupIN3c104HalfEEEvPKT_NS0_19TensorListAddressesEi
                                        ; -- End function
	.set _ZN2at6native13lpmax_cleanupIN3c104HalfEEEvPKT_NS0_19TensorListAddressesEi.num_vgpr, 12
	.set _ZN2at6native13lpmax_cleanupIN3c104HalfEEEvPKT_NS0_19TensorListAddressesEi.num_agpr, 0
	.set _ZN2at6native13lpmax_cleanupIN3c104HalfEEEvPKT_NS0_19TensorListAddressesEi.numbered_sgpr, 18
	.set _ZN2at6native13lpmax_cleanupIN3c104HalfEEEvPKT_NS0_19TensorListAddressesEi.num_named_barrier, 0
	.set _ZN2at6native13lpmax_cleanupIN3c104HalfEEEvPKT_NS0_19TensorListAddressesEi.private_seg_size, 0
	.set _ZN2at6native13lpmax_cleanupIN3c104HalfEEEvPKT_NS0_19TensorListAddressesEi.uses_vcc, 1
	.set _ZN2at6native13lpmax_cleanupIN3c104HalfEEEvPKT_NS0_19TensorListAddressesEi.uses_flat_scratch, 0
	.set _ZN2at6native13lpmax_cleanupIN3c104HalfEEEvPKT_NS0_19TensorListAddressesEi.has_dyn_sized_stack, 0
	.set _ZN2at6native13lpmax_cleanupIN3c104HalfEEEvPKT_NS0_19TensorListAddressesEi.has_recursion, 0
	.set _ZN2at6native13lpmax_cleanupIN3c104HalfEEEvPKT_NS0_19TensorListAddressesEi.has_indirect_call, 0
	.section	.AMDGPU.csdata,"",@progbits
; Kernel info:
; codeLenInByte = 1008
; TotalNumSgprs: 24
; NumVgprs: 12
; NumAgprs: 0
; TotalNumVgprs: 12
; ScratchSize: 0
; MemoryBound: 0
; FloatMode: 240
; IeeeMode: 1
; LDSByteSize: 1024 bytes/workgroup (compile time only)
; SGPRBlocks: 2
; VGPRBlocks: 1
; NumSGPRsForWavesPerEU: 24
; NumVGPRsForWavesPerEU: 12
; AccumOffset: 12
; Occupancy: 8
; WaveLimiterHint : 0
; COMPUTE_PGM_RSRC2:SCRATCH_EN: 0
; COMPUTE_PGM_RSRC2:USER_SGPR: 2
; COMPUTE_PGM_RSRC2:TRAP_HANDLER: 0
; COMPUTE_PGM_RSRC2:TGID_X_EN: 1
; COMPUTE_PGM_RSRC2:TGID_Y_EN: 0
; COMPUTE_PGM_RSRC2:TGID_Z_EN: 0
; COMPUTE_PGM_RSRC2:TIDIG_COMP_CNT: 0
; COMPUTE_PGM_RSRC3_GFX90A:ACCUM_OFFSET: 2
; COMPUTE_PGM_RSRC3_GFX90A:TG_SPLIT: 0
	.section	.text._ZN2at6native12_GLOBAL__N_125multi_tensor_apply_kernelINS1_18TensorListMetadataILi1EEENS0_12LpMaxFunctorIN3c108BFloat16ELi1ELi1ELi0EEEJPS7_iEEEvT_T0_DpT1_,"axG",@progbits,_ZN2at6native12_GLOBAL__N_125multi_tensor_apply_kernelINS1_18TensorListMetadataILi1EEENS0_12LpMaxFunctorIN3c108BFloat16ELi1ELi1ELi0EEEJPS7_iEEEvT_T0_DpT1_,comdat
	.globl	_ZN2at6native12_GLOBAL__N_125multi_tensor_apply_kernelINS1_18TensorListMetadataILi1EEENS0_12LpMaxFunctorIN3c108BFloat16ELi1ELi1ELi0EEEJPS7_iEEEvT_T0_DpT1_ ; -- Begin function _ZN2at6native12_GLOBAL__N_125multi_tensor_apply_kernelINS1_18TensorListMetadataILi1EEENS0_12LpMaxFunctorIN3c108BFloat16ELi1ELi1ELi0EEEJPS7_iEEEvT_T0_DpT1_
	.p2align	8
	.type	_ZN2at6native12_GLOBAL__N_125multi_tensor_apply_kernelINS1_18TensorListMetadataILi1EEENS0_12LpMaxFunctorIN3c108BFloat16ELi1ELi1ELi0EEEJPS7_iEEEvT_T0_DpT1_,@function
_ZN2at6native12_GLOBAL__N_125multi_tensor_apply_kernelINS1_18TensorListMetadataILi1EEENS0_12LpMaxFunctorIN3c108BFloat16ELi1ELi1ELi0EEEJPS7_iEEEvT_T0_DpT1_: ; @_ZN2at6native12_GLOBAL__N_125multi_tensor_apply_kernelINS1_18TensorListMetadataILi1EEENS0_12LpMaxFunctorIN3c108BFloat16ELi1ELi1ELi0EEEJPS7_iEEEvT_T0_DpT1_
; %bb.0:
	v_mov_b32_e32 v1, s2
	global_load_ubyte v1, v1, s[0:1] offset:1760
	s_add_u32 s3, s0, s2
	s_mul_hi_u32 s4, s2, 3
	s_mul_i32 s2, s2, 3
	s_addc_u32 s5, s1, 0
	s_add_u32 s2, s3, s2
	s_addc_u32 s3, s5, s4
	s_load_dword s18, s[2:3], 0x820
	s_mov_b32 s13, 0
	s_waitcnt lgkmcnt(0)
	s_ashr_i32 s19, s18, 31
	s_lshl_b64 s[8:9], s[18:19], 16
	s_waitcnt vmcnt(0)
	v_readfirstlane_b32 s2, v1
	s_and_b32 s30, s2, 0xff
	s_lshl_b32 s6, s30, 3
	s_load_dwordx2 s[2:3], s[0:1], s6 offset:0x370
	s_load_dwordx2 s[4:5], s[0:1], s6 offset:0x0
	s_lshl_b64 s[6:7], s[18:19], 17
	s_waitcnt lgkmcnt(0)
	s_add_u32 s10, s4, s6
	s_addc_u32 s11, s5, s7
	s_sub_u32 s8, s2, s8
	s_subb_u32 s9, s3, s9
	s_and_b32 s12, s2, 3
	s_and_b32 s2, s10, 7
	s_mov_b32 s3, s13
	s_or_b64 s[2:3], s[12:13], s[2:3]
	s_cmp_eq_u64 s[2:3], 0
	s_cbranch_scc1 .LBB16_12
; %bb.1:
	v_cmp_lt_i64_e64 s[2:3], s[8:9], 1
	s_and_b64 vcc, exec, s[2:3]
	s_cbranch_vccnz .LBB16_14
; %bb.2:
	s_load_dword s12, s[0:1], 0xd4c
	v_mov_b64_e32 v[2:3], 0x10000
	v_cmp_lt_i64_e32 vcc, s[8:9], v[2:3]
	s_and_b64 s[2:3], vcc, exec
	s_cselect_b32 s3, s9, 0
	s_cselect_b32 s2, s8, 0x10000
	s_waitcnt lgkmcnt(0)
	s_and_b32 s14, s12, 0xffff
	v_mad_u64_u32 v[6:7], s[12:13], s14, 3, v[0:1]
	s_mov_b32 s16, 0x10000
	v_mov_b32_e32 v3, 0
	s_lshl_b32 s17, s14, 2
	v_lshl_add_u32 v4, s14, 1, v0
	v_add_u32_e32 v8, s14, v0
	s_mov_b64 s[12:13], 0
	v_mov_b32_e32 v1, 0xffffff7f
	v_mov_b64_e32 v[10:11], s[2:3]
	v_mov_b32_e32 v5, 0xffffff7f
	v_mov_b32_e32 v7, 0xffffff7f
	;; [unrolled: 1-line block ×3, first 2 shown]
	s_branch .LBB16_4
.LBB16_3:                               ;   in Loop: Header=BB16_4 Depth=1
	s_or_b64 exec, exec, s[14:15]
	s_add_u32 s12, s12, s17
	s_addc_u32 s13, s13, 0
	v_cmp_lt_i64_e32 vcc, s[12:13], v[10:11]
	s_cbranch_vccz .LBB16_13
.LBB16_4:                               ; =>This Inner Loop Header: Depth=1
	v_add_u32_e32 v2, s12, v0
	v_cmp_gt_i64_e32 vcc, s[8:9], v[2:3]
	v_cmp_gt_u32_e64 s[2:3], s16, v2
	s_and_b64 s[2:3], s[2:3], vcc
	s_and_saveexec_b64 s[14:15], s[2:3]
	s_cbranch_execz .LBB16_6
; %bb.5:                                ;   in Loop: Header=BB16_4 Depth=1
	v_lshl_add_u64 v[12:13], v[2:3], 1, s[10:11]
	global_load_ushort v2, v[12:13], off
	v_lshlrev_b32_e32 v12, 16, v9
	s_waitcnt vmcnt(0)
	v_lshlrev_b32_e32 v13, 16, v2
	v_cmp_u_f32_e32 vcc, v13, v13
	v_cmp_lt_f32_e64 s[2:3], v12, v13
	s_or_b64 vcc, vcc, s[2:3]
	v_cndmask_b32_e32 v9, v9, v2, vcc
.LBB16_6:                               ;   in Loop: Header=BB16_4 Depth=1
	s_or_b64 exec, exec, s[14:15]
	v_add_u32_e32 v2, s12, v8
	v_cmp_gt_i64_e32 vcc, s[8:9], v[2:3]
	v_cmp_gt_u32_e64 s[2:3], s16, v2
	s_and_b64 s[2:3], s[2:3], vcc
	s_and_saveexec_b64 s[14:15], s[2:3]
	s_cbranch_execz .LBB16_8
; %bb.7:                                ;   in Loop: Header=BB16_4 Depth=1
	v_lshl_add_u64 v[12:13], v[2:3], 1, s[10:11]
	global_load_ushort v2, v[12:13], off
	v_lshlrev_b32_e32 v12, 16, v7
	s_waitcnt vmcnt(0)
	v_lshlrev_b32_e32 v13, 16, v2
	v_cmp_u_f32_e32 vcc, v13, v13
	v_cmp_lt_f32_e64 s[2:3], v12, v13
	s_or_b64 vcc, vcc, s[2:3]
	v_cndmask_b32_e32 v7, v7, v2, vcc
.LBB16_8:                               ;   in Loop: Header=BB16_4 Depth=1
	s_or_b64 exec, exec, s[14:15]
	v_add_u32_e32 v2, s12, v4
	v_cmp_gt_i64_e32 vcc, s[8:9], v[2:3]
	v_cmp_gt_u32_e64 s[2:3], s16, v2
	s_and_b64 s[2:3], s[2:3], vcc
	s_and_saveexec_b64 s[14:15], s[2:3]
	s_cbranch_execz .LBB16_10
; %bb.9:                                ;   in Loop: Header=BB16_4 Depth=1
	v_lshl_add_u64 v[12:13], v[2:3], 1, s[10:11]
	global_load_ushort v2, v[12:13], off
	v_lshlrev_b32_e32 v12, 16, v5
	s_waitcnt vmcnt(0)
	v_lshlrev_b32_e32 v13, 16, v2
	v_cmp_u_f32_e32 vcc, v13, v13
	v_cmp_lt_f32_e64 s[2:3], v12, v13
	s_or_b64 vcc, vcc, s[2:3]
	v_cndmask_b32_e32 v5, v5, v2, vcc
.LBB16_10:                              ;   in Loop: Header=BB16_4 Depth=1
	s_or_b64 exec, exec, s[14:15]
	v_add_u32_e32 v2, s12, v6
	v_cmp_gt_i64_e32 vcc, s[8:9], v[2:3]
	v_cmp_gt_u32_e64 s[2:3], s16, v2
	s_and_b64 s[2:3], s[2:3], vcc
	s_and_saveexec_b64 s[14:15], s[2:3]
	s_cbranch_execz .LBB16_3
; %bb.11:                               ;   in Loop: Header=BB16_4 Depth=1
	v_lshl_add_u64 v[12:13], v[2:3], 1, s[10:11]
	global_load_ushort v2, v[12:13], off
	v_lshlrev_b32_e32 v12, 16, v1
	s_waitcnt vmcnt(0)
	v_lshlrev_b32_e32 v13, 16, v2
	v_cmp_u_f32_e32 vcc, v13, v13
	v_cmp_lt_f32_e64 s[2:3], v12, v13
	s_or_b64 vcc, vcc, s[2:3]
	v_cndmask_b32_e32 v1, v1, v2, vcc
	s_branch .LBB16_3
.LBB16_12:
                                        ; implicit-def: $vgpr7
                                        ; implicit-def: $vgpr6
	s_branch .LBB16_15
.LBB16_13:
	s_mov_b32 s2, 0x5040100
	v_perm_b32 v7, v9, v7, s2
	v_perm_b32 v6, v5, v1, s2
	s_cbranch_execz .LBB16_15
	s_branch .LBB16_20
.LBB16_14:
	v_mov_b32_e32 v7, 0xff7fff7f
	v_mov_b32_e32 v6, 0xff7fff7f
	s_cbranch_execnz .LBB16_20
.LBB16_15:
	v_mov_b64_e32 v[4:5], 0x10000
	v_cmp_lt_i64_e32 vcc, s[8:9], v[4:5]
	s_and_b64 s[2:3], vcc, exec
	v_mov_b32_e32 v3, 0
	s_cselect_b32 s23, s9, 0
	s_cselect_b32 s22, s8, 0x10000
	v_lshlrev_b32_e32 v2, 2, v0
	s_mov_b32 s21, 0
	v_cmp_gt_i64_e32 vcc, s[22:23], v[2:3]
	v_mov_b32_e32 v7, 0xff7fff7f
	v_mov_b32_e32 v6, 0xff7fff7f
	s_and_saveexec_b64 s[24:25], vcc
	s_cbranch_execz .LBB16_19
; %bb.16:
	s_load_dword s2, s[0:1], 0xd4c
	v_mov_b32_e32 v1, v3
	v_lshlrev_b32_e32 v2, 3, v0
	s_mov_b32 s27, s21
	v_mov_b32_e32 v6, 0xff7fff7f
	s_waitcnt lgkmcnt(0)
	s_and_b32 s20, s2, 0xffff
	s_add_u32 s2, s4, s6
	s_addc_u32 s3, s5, s7
	s_lshl_b32 s26, s20, 3
	v_lshl_add_u64 v[2:3], s[2:3], 0, v[2:3]
	s_mov_b64 s[28:29], 0
	s_mov_b32 s19, 0x5040100
	v_mov_b64_e32 v[4:5], v[0:1]
	v_mov_b32_e32 v7, 0xff7fff7f
.LBB16_17:                              ; =>This Inner Loop Header: Depth=1
	global_load_dwordx2 v[8:9], v[2:3], off
	v_lshl_add_u64 v[4:5], v[4:5], 0, s[20:21]
	v_lshlrev_b32_e32 v12, 16, v7
	v_lshlrev_b64 v[10:11], 2, v[4:5]
	v_and_b32_e32 v1, 0xffff0000, v7
	v_cmp_le_i64_e32 vcc, s[22:23], v[10:11]
	v_and_b32_e32 v14, 0xffff0000, v6
	v_lshlrev_b32_e32 v15, 16, v6
	v_lshrrev_b32_e32 v13, 16, v7
	v_lshl_add_u64 v[2:3], v[2:3], 0, s[26:27]
	s_waitcnt vmcnt(0)
	v_and_b32_e32 v16, 0xffff0000, v8
	v_lshlrev_b32_e32 v11, 16, v8
	v_cmp_u_f32_e64 s[2:3], v16, v16
	v_cmp_lt_f32_e64 s[8:9], v12, v16
	v_lshrrev_b32_e32 v10, 16, v8
	v_lshlrev_b32_e32 v17, 16, v9
	v_and_b32_e32 v18, 0xffff0000, v9
	v_cmp_u_f32_e64 s[4:5], v11, v11
	v_cmp_lt_f32_e64 s[6:7], v1, v11
	s_or_b64 s[2:3], s[2:3], s[8:9]
	v_cmp_u_f32_e64 s[10:11], v18, v18
	v_cmp_u_f32_e64 s[12:13], v17, v17
	v_cmp_lt_f32_e64 s[14:15], v14, v17
	v_cmp_lt_f32_e64 s[16:17], v15, v18
	v_cndmask_b32_e64 v1, v7, v10, s[2:3]
	s_or_b64 s[2:3], s[4:5], s[6:7]
	v_cndmask_b32_e64 v7, v13, v8, s[2:3]
	s_or_b64 s[2:3], s[12:13], s[14:15]
	s_or_b64 s[4:5], s[10:11], s[16:17]
	s_or_b64 s[28:29], vcc, s[28:29]
	s_mov_b64 vcc, s[4:5]
	v_perm_b32 v7, v7, v1, s19
	v_cndmask_b32_sdwa v1, v6, v9, vcc dst_sel:DWORD dst_unused:UNUSED_PAD src0_sel:DWORD src1_sel:WORD_1
	s_mov_b64 vcc, s[2:3]
	v_cndmask_b32_sdwa v6, v6, v9, vcc dst_sel:DWORD dst_unused:UNUSED_PAD src0_sel:WORD_1 src1_sel:DWORD
	v_perm_b32 v6, v6, v1, s19
	s_andn2_b64 exec, exec, s[28:29]
	s_cbranch_execnz .LBB16_17
; %bb.18:
	s_or_b64 exec, exec, s[28:29]
.LBB16_19:
	s_or_b64 exec, exec, s[24:25]
.LBB16_20:
	v_and_b32_e32 v1, 0xffff0000, v7
	s_mov_b32 s2, 0xff7f0000
	v_cmp_lt_f32_e32 vcc, s2, v1
	v_cmp_u_f32_e64 s[2:3], v1, v1
	v_lshrrev_b32_e32 v3, 16, v7
	v_mov_b32_e32 v1, 0xffffff7f
	s_or_b64 vcc, s[2:3], vcc
	v_cndmask_b32_e32 v3, v1, v3, vcc
	v_lshlrev_b32_e32 v2, 16, v7
	v_lshlrev_b32_e32 v4, 16, v3
	v_cmp_u_f32_e64 s[4:5], v2, v2
	v_cmp_gt_f32_e32 vcc, v2, v4
	s_or_b64 vcc, s[4:5], vcc
	v_and_b32_e32 v4, 0xffff0000, v6
	v_cndmask_b32_e32 v2, v3, v7, vcc
	v_lshlrev_b32_e32 v3, 16, v2
	v_cmp_gt_f32_e32 vcc, v4, v3
	v_cmp_u_f32_e64 s[2:3], v4, v4
	v_lshrrev_b32_e32 v3, 16, v6
	s_or_b64 vcc, s[2:3], vcc
	v_cndmask_b32_e32 v2, v2, v3, vcc
	v_lshlrev_b32_e32 v5, 16, v6
	v_lshlrev_b32_e32 v3, 16, v2
	v_cmp_u_f32_e64 s[4:5], v5, v5
	v_cmp_gt_f32_e32 vcc, v5, v3
	s_or_b64 vcc, s[4:5], vcc
	s_movk_i32 s6, 0x7fff
	v_cndmask_b32_e32 v3, v2, v6, vcc
	v_mbcnt_lo_u32_b32 v2, -1, 0
	v_mbcnt_hi_u32_b32 v7, -1, v2
	v_mov_b32_e32 v2, 0x80
	v_lshlrev_b32_e32 v4, 16, v3
	v_lshl_or_b32 v2, v7, 2, v2
	ds_bpermute_b32 v5, v2, v4
	v_mov_b32_e32 v8, 0x7fc0
	v_and_b32_e32 v12, 63, v7
	s_waitcnt lgkmcnt(0)
	s_barrier
	v_bfe_u32 v6, v5, 16, 1
	v_add3_u32 v6, v5, v6, s6
	v_lshrrev_b32_e32 v6, 16, v6
	v_cmp_o_f32_e32 vcc, v5, v5
	s_nop 1
	v_cndmask_b32_e32 v5, v8, v6, vcc
	v_lshlrev_b32_e32 v6, 16, v5
	v_cmp_u_f32_e32 vcc, v6, v6
	v_cmp_lt_f32_e64 s[2:3], v4, v6
	s_or_b64 vcc, vcc, s[2:3]
	v_cndmask_b32_e32 v4, v3, v5, vcc
	v_cmp_gt_u32_e32 vcc, 48, v12
	v_lshlrev_b32_e32 v5, 16, v4
	s_nop 0
	v_cndmask_b32_e64 v3, 0, 16, vcc
	v_add_lshl_u32 v3, v3, v7, 2
	ds_bpermute_b32 v6, v3, v5
	s_waitcnt lgkmcnt(0)
	v_bfe_u32 v9, v6, 16, 1
	v_add3_u32 v9, v6, v9, s6
	v_lshrrev_b32_e32 v9, 16, v9
	v_cmp_o_f32_e32 vcc, v6, v6
	s_nop 1
	v_cndmask_b32_e32 v6, v8, v9, vcc
	v_lshlrev_b32_e32 v9, 16, v6
	v_cmp_u_f32_e32 vcc, v9, v9
	v_cmp_lt_f32_e64 s[2:3], v5, v9
	s_or_b64 vcc, vcc, s[2:3]
	v_cndmask_b32_e32 v5, v4, v6, vcc
	v_cmp_gt_u32_e32 vcc, 56, v12
	v_lshlrev_b32_e32 v6, 16, v5
	s_nop 0
	v_cndmask_b32_e64 v4, 0, 8, vcc
	v_add_lshl_u32 v4, v4, v7, 2
	ds_bpermute_b32 v9, v4, v6
	s_waitcnt lgkmcnt(0)
	;; [unrolled: 18-line block ×3, first 2 shown]
	v_bfe_u32 v11, v10, 16, 1
	v_add3_u32 v11, v10, v11, s6
	v_lshrrev_b32_e32 v11, 16, v11
	v_cmp_o_f32_e32 vcc, v10, v10
	s_nop 1
	v_cndmask_b32_e32 v10, v8, v11, vcc
	v_lshlrev_b32_e32 v11, 16, v10
	v_cmp_u_f32_e32 vcc, v11, v11
	v_cmp_lt_f32_e64 s[2:3], v9, v11
	s_or_b64 vcc, vcc, s[2:3]
	v_cndmask_b32_e32 v10, v6, v10, vcc
	v_cmp_gt_u32_e32 vcc, 62, v12
	v_lshlrev_b32_e32 v11, 16, v10
	v_and_b32_e32 v9, 63, v0
	v_cndmask_b32_e64 v6, 0, 2, vcc
	v_add_lshl_u32 v6, v6, v7, 2
	ds_bpermute_b32 v13, v6, v11
	s_waitcnt lgkmcnt(0)
	v_bfe_u32 v14, v13, 16, 1
	v_add3_u32 v14, v13, v14, s6
	v_lshrrev_b32_e32 v14, 16, v14
	v_cmp_o_f32_e32 vcc, v13, v13
	s_nop 1
	v_cndmask_b32_e32 v13, v8, v14, vcc
	v_lshlrev_b32_e32 v14, 16, v13
	v_cmp_u_f32_e32 vcc, v14, v14
	v_cmp_lt_f32_e64 s[2:3], v11, v14
	s_or_b64 vcc, vcc, s[2:3]
	v_cndmask_b32_e32 v10, v10, v13, vcc
	v_cmp_ne_u32_e32 vcc, 63, v12
	v_lshlrev_b32_e32 v11, 16, v10
	s_nop 0
	v_addc_co_u32_e32 v7, vcc, 0, v7, vcc
	v_lshlrev_b32_e32 v7, 2, v7
	ds_bpermute_b32 v12, v7, v11
	v_cmp_eq_u32_e32 vcc, 0, v9
	s_and_saveexec_b64 s[4:5], vcc
	s_cbranch_execz .LBB16_22
; %bb.21:
	s_waitcnt lgkmcnt(0)
	v_bfe_u32 v14, v12, 16, 1
	v_add3_u32 v14, v12, v14, s6
	v_cmp_o_f32_e32 vcc, v12, v12
	v_lshrrev_b32_e32 v13, 5, v0
	s_nop 0
	v_cndmask_b32_sdwa v8, v8, v14, vcc dst_sel:DWORD dst_unused:UNUSED_PAD src0_sel:DWORD src1_sel:WORD_1
	v_lshlrev_b32_e32 v12, 16, v8
	v_cmp_u_f32_e32 vcc, v12, v12
	v_cmp_lt_f32_e64 s[2:3], v11, v12
	s_or_b64 vcc, vcc, s[2:3]
	v_cndmask_b32_e32 v8, v10, v8, vcc
	ds_write_b16 v13, v8
.LBB16_22:
	s_or_b64 exec, exec, s[4:5]
	s_waitcnt lgkmcnt(0)
	s_barrier
	s_load_dword s2, s[0:1], 0xd4c
	s_waitcnt lgkmcnt(0)
	s_bfe_u32 s2, s2, 0xa0006
	v_cmp_gt_u32_e32 vcc, s2, v0
	s_and_saveexec_b64 s[2:3], vcc
	s_cbranch_execnz .LBB16_26
; %bb.23:
	s_or_b64 exec, exec, s[2:3]
	v_cmp_gt_u32_e32 vcc, 64, v0
	s_and_saveexec_b64 s[4:5], vcc
	s_cbranch_execnz .LBB16_27
.LBB16_24:
	s_or_b64 exec, exec, s[4:5]
	v_cmp_eq_u32_e32 vcc, 0, v0
	s_and_saveexec_b64 s[2:3], vcc
	s_cbranch_execnz .LBB16_28
.LBB16_25:
	s_endpgm
.LBB16_26:
	v_lshlrev_b32_e32 v1, 1, v9
	ds_read_u16 v1, v1
	s_or_b64 exec, exec, s[2:3]
	v_cmp_gt_u32_e32 vcc, 64, v0
	s_and_saveexec_b64 s[4:5], vcc
	s_cbranch_execz .LBB16_24
.LBB16_27:
	s_waitcnt lgkmcnt(0)
	v_lshlrev_b32_e32 v8, 16, v1
	ds_bpermute_b32 v2, v2, v8
	v_mov_b32_e32 v9, 0x7fc0
	s_waitcnt lgkmcnt(0)
	v_bfe_u32 v10, v2, 16, 1
	v_cmp_o_f32_e32 vcc, v2, v2
	v_add3_u32 v2, v2, v10, s6
	s_nop 0
	v_cndmask_b32_sdwa v2, v9, v2, vcc dst_sel:DWORD dst_unused:UNUSED_PAD src0_sel:DWORD src1_sel:WORD_1
	v_lshlrev_b32_e32 v10, 16, v2
	v_cmp_u_f32_e32 vcc, v10, v10
	v_cmp_lt_f32_e64 s[2:3], v8, v10
	s_or_b64 vcc, vcc, s[2:3]
	v_cndmask_b32_e32 v1, v1, v2, vcc
	v_lshlrev_b32_e32 v2, 16, v1
	ds_bpermute_b32 v3, v3, v2
	s_waitcnt lgkmcnt(0)
	v_bfe_u32 v8, v3, 16, 1
	v_add3_u32 v8, v3, v8, s6
	v_lshrrev_b32_e32 v8, 16, v8
	v_cmp_o_f32_e32 vcc, v3, v3
	s_nop 1
	v_cndmask_b32_e32 v3, v9, v8, vcc
	v_lshlrev_b32_e32 v8, 16, v3
	v_cmp_u_f32_e32 vcc, v8, v8
	v_cmp_lt_f32_e64 s[2:3], v2, v8
	s_or_b64 vcc, vcc, s[2:3]
	v_cndmask_b32_e32 v1, v1, v3, vcc
	v_lshlrev_b32_e32 v2, 16, v1
	ds_bpermute_b32 v3, v4, v2
	s_waitcnt lgkmcnt(0)
	v_bfe_u32 v4, v3, 16, 1
	v_add3_u32 v4, v3, v4, s6
	v_lshrrev_b32_e32 v4, 16, v4
	v_cmp_o_f32_e32 vcc, v3, v3
	s_nop 1
	v_cndmask_b32_e32 v3, v9, v4, vcc
	;; [unrolled: 14-line block ×4, first 2 shown]
	v_lshlrev_b32_e32 v4, 16, v3
	v_cmp_u_f32_e32 vcc, v4, v4
	v_cmp_lt_f32_e64 s[2:3], v2, v4
	s_or_b64 vcc, vcc, s[2:3]
	v_cndmask_b32_e32 v1, v1, v3, vcc
	v_lshlrev_b32_e32 v2, 16, v1
	ds_bpermute_b32 v3, v7, v2
	s_waitcnt lgkmcnt(0)
	v_bfe_u32 v4, v3, 16, 1
	v_cmp_o_f32_e32 vcc, v3, v3
	v_add3_u32 v3, v3, v4, s6
	s_nop 0
	v_cndmask_b32_sdwa v3, v9, v3, vcc dst_sel:DWORD dst_unused:UNUSED_PAD src0_sel:DWORD src1_sel:WORD_1
	v_lshlrev_b32_e32 v4, 16, v3
	v_cmp_u_f32_e32 vcc, v4, v4
	v_cmp_lt_f32_e64 s[2:3], v2, v4
	s_or_b64 vcc, vcc, s[2:3]
	v_cndmask_b32_e32 v1, v1, v3, vcc
	s_or_b64 exec, exec, s[4:5]
	v_cmp_eq_u32_e32 vcc, 0, v0
	s_and_saveexec_b64 s[2:3], vcc
	s_cbranch_execz .LBB16_25
.LBB16_28:
	s_load_dword s4, s[0:1], 0xd20
	s_load_dword s5, s[0:1], 0xd38
	s_load_dwordx2 s[2:3], s[0:1], 0xd30
	v_mov_b32_e32 v0, 0
	s_waitcnt lgkmcnt(0)
	s_add_i32 s0, s4, s30
	s_mul_i32 s0, s0, s5
	s_add_i32 s0, s0, s18
	s_ashr_i32 s1, s0, 31
	s_lshl_b64 s[0:1], s[0:1], 1
	s_add_u32 s0, s2, s0
	s_addc_u32 s1, s3, s1
	global_store_short v0, v1, s[0:1]
	s_endpgm
	.section	.rodata,"a",@progbits
	.p2align	6, 0x0
	.amdhsa_kernel _ZN2at6native12_GLOBAL__N_125multi_tensor_apply_kernelINS1_18TensorListMetadataILi1EEENS0_12LpMaxFunctorIN3c108BFloat16ELi1ELi1ELi0EEEJPS7_iEEEvT_T0_DpT1_
		.amdhsa_group_segment_fixed_size 1024
		.amdhsa_private_segment_fixed_size 0
		.amdhsa_kernarg_size 3648
		.amdhsa_user_sgpr_count 2
		.amdhsa_user_sgpr_dispatch_ptr 0
		.amdhsa_user_sgpr_queue_ptr 0
		.amdhsa_user_sgpr_kernarg_segment_ptr 1
		.amdhsa_user_sgpr_dispatch_id 0
		.amdhsa_user_sgpr_kernarg_preload_length 0
		.amdhsa_user_sgpr_kernarg_preload_offset 0
		.amdhsa_user_sgpr_private_segment_size 0
		.amdhsa_uses_dynamic_stack 0
		.amdhsa_enable_private_segment 0
		.amdhsa_system_sgpr_workgroup_id_x 1
		.amdhsa_system_sgpr_workgroup_id_y 0
		.amdhsa_system_sgpr_workgroup_id_z 0
		.amdhsa_system_sgpr_workgroup_info 0
		.amdhsa_system_vgpr_workitem_id 0
		.amdhsa_next_free_vgpr 19
		.amdhsa_next_free_sgpr 31
		.amdhsa_accum_offset 20
		.amdhsa_reserve_vcc 1
		.amdhsa_float_round_mode_32 0
		.amdhsa_float_round_mode_16_64 0
		.amdhsa_float_denorm_mode_32 3
		.amdhsa_float_denorm_mode_16_64 3
		.amdhsa_dx10_clamp 1
		.amdhsa_ieee_mode 1
		.amdhsa_fp16_overflow 0
		.amdhsa_tg_split 0
		.amdhsa_exception_fp_ieee_invalid_op 0
		.amdhsa_exception_fp_denorm_src 0
		.amdhsa_exception_fp_ieee_div_zero 0
		.amdhsa_exception_fp_ieee_overflow 0
		.amdhsa_exception_fp_ieee_underflow 0
		.amdhsa_exception_fp_ieee_inexact 0
		.amdhsa_exception_int_div_zero 0
	.end_amdhsa_kernel
	.section	.text._ZN2at6native12_GLOBAL__N_125multi_tensor_apply_kernelINS1_18TensorListMetadataILi1EEENS0_12LpMaxFunctorIN3c108BFloat16ELi1ELi1ELi0EEEJPS7_iEEEvT_T0_DpT1_,"axG",@progbits,_ZN2at6native12_GLOBAL__N_125multi_tensor_apply_kernelINS1_18TensorListMetadataILi1EEENS0_12LpMaxFunctorIN3c108BFloat16ELi1ELi1ELi0EEEJPS7_iEEEvT_T0_DpT1_,comdat
.Lfunc_end16:
	.size	_ZN2at6native12_GLOBAL__N_125multi_tensor_apply_kernelINS1_18TensorListMetadataILi1EEENS0_12LpMaxFunctorIN3c108BFloat16ELi1ELi1ELi0EEEJPS7_iEEEvT_T0_DpT1_, .Lfunc_end16-_ZN2at6native12_GLOBAL__N_125multi_tensor_apply_kernelINS1_18TensorListMetadataILi1EEENS0_12LpMaxFunctorIN3c108BFloat16ELi1ELi1ELi0EEEJPS7_iEEEvT_T0_DpT1_
                                        ; -- End function
	.set _ZN2at6native12_GLOBAL__N_125multi_tensor_apply_kernelINS1_18TensorListMetadataILi1EEENS0_12LpMaxFunctorIN3c108BFloat16ELi1ELi1ELi0EEEJPS7_iEEEvT_T0_DpT1_.num_vgpr, 19
	.set _ZN2at6native12_GLOBAL__N_125multi_tensor_apply_kernelINS1_18TensorListMetadataILi1EEENS0_12LpMaxFunctorIN3c108BFloat16ELi1ELi1ELi0EEEJPS7_iEEEvT_T0_DpT1_.num_agpr, 0
	.set _ZN2at6native12_GLOBAL__N_125multi_tensor_apply_kernelINS1_18TensorListMetadataILi1EEENS0_12LpMaxFunctorIN3c108BFloat16ELi1ELi1ELi0EEEJPS7_iEEEvT_T0_DpT1_.numbered_sgpr, 31
	.set _ZN2at6native12_GLOBAL__N_125multi_tensor_apply_kernelINS1_18TensorListMetadataILi1EEENS0_12LpMaxFunctorIN3c108BFloat16ELi1ELi1ELi0EEEJPS7_iEEEvT_T0_DpT1_.num_named_barrier, 0
	.set _ZN2at6native12_GLOBAL__N_125multi_tensor_apply_kernelINS1_18TensorListMetadataILi1EEENS0_12LpMaxFunctorIN3c108BFloat16ELi1ELi1ELi0EEEJPS7_iEEEvT_T0_DpT1_.private_seg_size, 0
	.set _ZN2at6native12_GLOBAL__N_125multi_tensor_apply_kernelINS1_18TensorListMetadataILi1EEENS0_12LpMaxFunctorIN3c108BFloat16ELi1ELi1ELi0EEEJPS7_iEEEvT_T0_DpT1_.uses_vcc, 1
	.set _ZN2at6native12_GLOBAL__N_125multi_tensor_apply_kernelINS1_18TensorListMetadataILi1EEENS0_12LpMaxFunctorIN3c108BFloat16ELi1ELi1ELi0EEEJPS7_iEEEvT_T0_DpT1_.uses_flat_scratch, 0
	.set _ZN2at6native12_GLOBAL__N_125multi_tensor_apply_kernelINS1_18TensorListMetadataILi1EEENS0_12LpMaxFunctorIN3c108BFloat16ELi1ELi1ELi0EEEJPS7_iEEEvT_T0_DpT1_.has_dyn_sized_stack, 0
	.set _ZN2at6native12_GLOBAL__N_125multi_tensor_apply_kernelINS1_18TensorListMetadataILi1EEENS0_12LpMaxFunctorIN3c108BFloat16ELi1ELi1ELi0EEEJPS7_iEEEvT_T0_DpT1_.has_recursion, 0
	.set _ZN2at6native12_GLOBAL__N_125multi_tensor_apply_kernelINS1_18TensorListMetadataILi1EEENS0_12LpMaxFunctorIN3c108BFloat16ELi1ELi1ELi0EEEJPS7_iEEEvT_T0_DpT1_.has_indirect_call, 0
	.section	.AMDGPU.csdata,"",@progbits
; Kernel info:
; codeLenInByte = 2488
; TotalNumSgprs: 37
; NumVgprs: 19
; NumAgprs: 0
; TotalNumVgprs: 19
; ScratchSize: 0
; MemoryBound: 0
; FloatMode: 240
; IeeeMode: 1
; LDSByteSize: 1024 bytes/workgroup (compile time only)
; SGPRBlocks: 4
; VGPRBlocks: 2
; NumSGPRsForWavesPerEU: 37
; NumVGPRsForWavesPerEU: 19
; AccumOffset: 20
; Occupancy: 8
; WaveLimiterHint : 0
; COMPUTE_PGM_RSRC2:SCRATCH_EN: 0
; COMPUTE_PGM_RSRC2:USER_SGPR: 2
; COMPUTE_PGM_RSRC2:TRAP_HANDLER: 0
; COMPUTE_PGM_RSRC2:TGID_X_EN: 1
; COMPUTE_PGM_RSRC2:TGID_Y_EN: 0
; COMPUTE_PGM_RSRC2:TGID_Z_EN: 0
; COMPUTE_PGM_RSRC2:TIDIG_COMP_CNT: 0
; COMPUTE_PGM_RSRC3_GFX90A:ACCUM_OFFSET: 4
; COMPUTE_PGM_RSRC3_GFX90A:TG_SPLIT: 0
	.section	.text._ZN2at6native13lpmax_cleanupIN3c108BFloat16EEEvPKT_NS0_19TensorListAddressesEi,"axG",@progbits,_ZN2at6native13lpmax_cleanupIN3c108BFloat16EEEvPKT_NS0_19TensorListAddressesEi,comdat
	.protected	_ZN2at6native13lpmax_cleanupIN3c108BFloat16EEEvPKT_NS0_19TensorListAddressesEi ; -- Begin function _ZN2at6native13lpmax_cleanupIN3c108BFloat16EEEvPKT_NS0_19TensorListAddressesEi
	.globl	_ZN2at6native13lpmax_cleanupIN3c108BFloat16EEEvPKT_NS0_19TensorListAddressesEi
	.p2align	8
	.type	_ZN2at6native13lpmax_cleanupIN3c108BFloat16EEEvPKT_NS0_19TensorListAddressesEi,@function
_ZN2at6native13lpmax_cleanupIN3c108BFloat16EEEvPKT_NS0_19TensorListAddressesEi: ; @_ZN2at6native13lpmax_cleanupIN3c108BFloat16EEEvPKT_NS0_19TensorListAddressesEi
; %bb.0:
	s_load_dword s10, s[0:1], 0xc88
	v_mov_b32_e32 v6, 0xffffff7f
	s_waitcnt lgkmcnt(0)
	v_cmp_gt_u32_e32 vcc, s10, v0
	s_and_saveexec_b64 s[8:9], vcc
	s_cbranch_execz .LBB17_4
; %bb.1:
	s_load_dwordx2 s[4:5], s[0:1], 0x0
	s_load_dword s3, s[0:1], 0xc9c
	s_mul_i32 s12, s10, s2
	s_mov_b32 s13, 0
	s_ashr_i32 s11, s10, 31
	s_lshl_b64 s[6:7], s[12:13], 1
	s_waitcnt lgkmcnt(0)
	s_and_b32 s14, s3, 0xffff
	v_mov_b32_e32 v1, 0
	s_add_u32 s4, s4, s6
	v_lshlrev_b32_e32 v2, 1, v0
	v_mov_b32_e32 v3, v1
	s_addc_u32 s5, s5, s7
	s_mov_b32 s15, s13
	v_lshl_add_u64 v[2:3], s[4:5], 0, v[2:3]
	s_lshl_b32 s12, s14, 1
	v_mov_b32_e32 v6, 0xffffff7f
	s_mov_b64 s[16:17], 0
	v_mov_b64_e32 v[4:5], v[0:1]
.LBB17_2:                               ; =>This Inner Loop Header: Depth=1
	global_load_ushort v1, v[2:3], off
	v_lshlrev_b32_e32 v7, 16, v6
	v_lshl_add_u64 v[4:5], v[4:5], 0, s[14:15]
	v_cmp_le_u64_e32 vcc, s[10:11], v[4:5]
	v_lshl_add_u64 v[2:3], v[2:3], 0, s[12:13]
	s_waitcnt vmcnt(0)
	v_lshlrev_b32_e32 v8, 16, v1
	v_cmp_u_f32_e64 s[4:5], v8, v8
	v_cmp_lt_f32_e64 s[6:7], v7, v8
	s_or_b64 s[4:5], s[4:5], s[6:7]
	s_or_b64 s[16:17], vcc, s[16:17]
	v_cndmask_b32_e64 v6, v6, v1, s[4:5]
	s_andn2_b64 exec, exec, s[16:17]
	s_cbranch_execnz .LBB17_2
; %bb.3:
	s_or_b64 exec, exec, s[16:17]
.LBB17_4:
	s_or_b64 exec, exec, s[8:9]
	v_mbcnt_lo_u32_b32 v1, -1, 0
	v_mbcnt_hi_u32_b32 v11, -1, v1
	v_mov_b32_e32 v1, 0x80
	v_lshlrev_b32_e32 v2, 16, v6
	v_lshl_or_b32 v1, v11, 2, v1
	ds_bpermute_b32 v3, v1, v2
	s_movk_i32 s3, 0x7fff
	v_mov_b32_e32 v7, 0x7fc0
	v_and_b32_e32 v12, 63, v11
	s_waitcnt lgkmcnt(0)
	v_bfe_u32 v4, v3, 16, 1
	v_add3_u32 v4, v3, v4, s3
	v_lshrrev_b32_e32 v4, 16, v4
	v_cmp_o_f32_e32 vcc, v3, v3
	s_barrier
	s_nop 0
	v_cndmask_b32_e32 v3, v7, v4, vcc
	v_lshlrev_b32_e32 v4, 16, v3
	v_cmp_u_f32_e32 vcc, v4, v4
	v_cmp_lt_f32_e64 s[4:5], v2, v4
	s_or_b64 vcc, vcc, s[4:5]
	v_cndmask_b32_e32 v3, v6, v3, vcc
	v_cmp_gt_u32_e32 vcc, 48, v12
	v_lshlrev_b32_e32 v4, 16, v3
	s_nop 0
	v_cndmask_b32_e64 v2, 0, 16, vcc
	v_add_lshl_u32 v2, v2, v11, 2
	ds_bpermute_b32 v5, v2, v4
	s_waitcnt lgkmcnt(0)
	v_bfe_u32 v6, v5, 16, 1
	v_add3_u32 v6, v5, v6, s3
	v_lshrrev_b32_e32 v6, 16, v6
	v_cmp_o_f32_e32 vcc, v5, v5
	s_nop 1
	v_cndmask_b32_e32 v5, v7, v6, vcc
	v_lshlrev_b32_e32 v6, 16, v5
	v_cmp_u_f32_e32 vcc, v6, v6
	v_cmp_lt_f32_e64 s[4:5], v4, v6
	s_or_b64 vcc, vcc, s[4:5]
	v_cndmask_b32_e32 v4, v3, v5, vcc
	v_cmp_gt_u32_e32 vcc, 56, v12
	v_lshlrev_b32_e32 v5, 16, v4
	s_nop 0
	v_cndmask_b32_e64 v3, 0, 8, vcc
	v_add_lshl_u32 v3, v3, v11, 2
	ds_bpermute_b32 v6, v3, v5
	s_waitcnt lgkmcnt(0)
	v_bfe_u32 v8, v6, 16, 1
	v_add3_u32 v8, v6, v8, s3
	v_lshrrev_b32_e32 v8, 16, v8
	v_cmp_o_f32_e32 vcc, v6, v6
	;; [unrolled: 18-line block ×3, first 2 shown]
	s_nop 1
	v_cndmask_b32_e32 v8, v7, v9, vcc
	v_lshlrev_b32_e32 v9, 16, v8
	v_cmp_u_f32_e32 vcc, v9, v9
	v_cmp_lt_f32_e64 s[4:5], v6, v9
	s_or_b64 vcc, vcc, s[4:5]
	v_cndmask_b32_e32 v6, v5, v8, vcc
	v_cmp_gt_u32_e32 vcc, 62, v12
	v_lshlrev_b32_e32 v9, 16, v6
	v_and_b32_e32 v8, 63, v0
	v_cndmask_b32_e64 v5, 0, 2, vcc
	v_add_lshl_u32 v5, v5, v11, 2
	ds_bpermute_b32 v10, v5, v9
	s_waitcnt lgkmcnt(0)
	v_bfe_u32 v13, v10, 16, 1
	v_add3_u32 v13, v10, v13, s3
	v_lshrrev_b32_e32 v13, 16, v13
	v_cmp_o_f32_e32 vcc, v10, v10
	s_nop 1
	v_cndmask_b32_e32 v10, v7, v13, vcc
	v_lshlrev_b32_e32 v13, 16, v10
	v_cmp_u_f32_e32 vcc, v13, v13
	v_cmp_lt_f32_e64 s[4:5], v9, v13
	s_or_b64 vcc, vcc, s[4:5]
	v_cndmask_b32_e32 v9, v6, v10, vcc
	v_cmp_ne_u32_e32 vcc, 63, v12
	v_lshlrev_b32_e32 v10, 16, v9
	s_nop 0
	v_addc_co_u32_e32 v6, vcc, 0, v11, vcc
	v_lshlrev_b32_e32 v6, 2, v6
	ds_bpermute_b32 v11, v6, v10
	v_cmp_eq_u32_e32 vcc, 0, v8
	s_and_saveexec_b64 s[6:7], vcc
	s_cbranch_execz .LBB17_6
; %bb.5:
	s_waitcnt lgkmcnt(0)
	v_bfe_u32 v13, v11, 16, 1
	v_add3_u32 v13, v11, v13, s3
	v_cmp_o_f32_e32 vcc, v11, v11
	v_lshrrev_b32_e32 v12, 5, v0
	s_nop 0
	v_cndmask_b32_sdwa v7, v7, v13, vcc dst_sel:DWORD dst_unused:UNUSED_PAD src0_sel:DWORD src1_sel:WORD_1
	v_lshlrev_b32_e32 v11, 16, v7
	v_cmp_u_f32_e32 vcc, v11, v11
	v_cmp_lt_f32_e64 s[4:5], v10, v11
	s_or_b64 vcc, vcc, s[4:5]
	v_cndmask_b32_e32 v7, v9, v7, vcc
	ds_write_b16 v12, v7
.LBB17_6:
	s_or_b64 exec, exec, s[6:7]
	s_waitcnt lgkmcnt(0)
	s_barrier
	s_load_dword s3, s[0:1], 0xc9c
	v_mov_b32_e32 v7, 0xffffff7f
	s_waitcnt lgkmcnt(0)
	s_bfe_u32 s3, s3, 0xa0006
	v_cmp_gt_u32_e32 vcc, s3, v0
	s_and_saveexec_b64 s[4:5], vcc
; %bb.7:
	v_lshlrev_b32_e32 v7, 1, v8
	ds_read_u16 v7, v7
; %bb.8:
	s_or_b64 exec, exec, s[4:5]
	v_cmp_gt_u32_e32 vcc, 64, v0
	s_and_saveexec_b64 s[6:7], vcc
	s_cbranch_execz .LBB17_10
; %bb.9:
	s_waitcnt lgkmcnt(0)
	v_lshlrev_b32_e32 v8, 16, v7
	ds_bpermute_b32 v1, v1, v8
	s_movk_i32 s3, 0x7fff
	v_mov_b32_e32 v9, 0x7fc0
	s_waitcnt lgkmcnt(0)
	v_bfe_u32 v10, v1, 16, 1
	v_cmp_o_f32_e32 vcc, v1, v1
	v_add3_u32 v1, v1, v10, s3
	s_nop 0
	v_cndmask_b32_sdwa v1, v9, v1, vcc dst_sel:DWORD dst_unused:UNUSED_PAD src0_sel:DWORD src1_sel:WORD_1
	v_lshlrev_b32_e32 v10, 16, v1
	v_cmp_u_f32_e32 vcc, v10, v10
	v_cmp_lt_f32_e64 s[4:5], v8, v10
	s_or_b64 vcc, vcc, s[4:5]
	v_cndmask_b32_e32 v1, v7, v1, vcc
	v_lshlrev_b32_e32 v7, 16, v1
	ds_bpermute_b32 v2, v2, v7
	s_waitcnt lgkmcnt(0)
	v_bfe_u32 v8, v2, 16, 1
	v_add3_u32 v8, v2, v8, s3
	v_lshrrev_b32_e32 v8, 16, v8
	v_cmp_o_f32_e32 vcc, v2, v2
	s_nop 1
	v_cndmask_b32_e32 v2, v9, v8, vcc
	v_lshlrev_b32_e32 v8, 16, v2
	v_cmp_u_f32_e32 vcc, v8, v8
	v_cmp_lt_f32_e64 s[4:5], v7, v8
	s_or_b64 vcc, vcc, s[4:5]
	v_cndmask_b32_e32 v1, v1, v2, vcc
	v_lshlrev_b32_e32 v2, 16, v1
	ds_bpermute_b32 v3, v3, v2
	s_waitcnt lgkmcnt(0)
	v_bfe_u32 v7, v3, 16, 1
	v_add3_u32 v7, v3, v7, s3
	v_lshrrev_b32_e32 v7, 16, v7
	v_cmp_o_f32_e32 vcc, v3, v3
	s_nop 1
	v_cndmask_b32_e32 v3, v9, v7, vcc
	;; [unrolled: 14-line block ×4, first 2 shown]
	v_lshlrev_b32_e32 v4, 16, v3
	v_cmp_u_f32_e32 vcc, v4, v4
	v_cmp_lt_f32_e64 s[4:5], v2, v4
	s_or_b64 vcc, vcc, s[4:5]
	v_cndmask_b32_e32 v1, v1, v3, vcc
	v_lshlrev_b32_e32 v2, 16, v1
	ds_bpermute_b32 v3, v6, v2
	s_waitcnt lgkmcnt(0)
	v_bfe_u32 v4, v3, 16, 1
	v_cmp_o_f32_e32 vcc, v3, v3
	v_add3_u32 v3, v3, v4, s3
	s_nop 0
	v_cndmask_b32_sdwa v3, v9, v3, vcc dst_sel:DWORD dst_unused:UNUSED_PAD src0_sel:DWORD src1_sel:WORD_1
	v_lshlrev_b32_e32 v4, 16, v3
	v_cmp_u_f32_e32 vcc, v4, v4
	v_cmp_lt_f32_e64 s[4:5], v2, v4
	s_or_b64 vcc, vcc, s[4:5]
	v_cndmask_b32_e32 v7, v1, v3, vcc
.LBB17_10:
	s_or_b64 exec, exec, s[6:7]
	s_mov_b32 s3, 0
	v_cmp_eq_u32_e32 vcc, 0, v0
	s_and_saveexec_b64 s[4:5], vcc
	s_cbranch_execz .LBB17_12
; %bb.11:
	s_lshl_b64 s[2:3], s[2:3], 3
	s_add_u32 s0, s0, s2
	s_addc_u32 s1, s1, s3
	s_load_dwordx2 s[0:1], s[0:1], 0x8
	v_mov_b32_e32 v0, 0
	s_waitcnt lgkmcnt(0)
	global_store_short v0, v7, s[0:1]
.LBB17_12:
	s_endpgm
	.section	.rodata,"a",@progbits
	.p2align	6, 0x0
	.amdhsa_kernel _ZN2at6native13lpmax_cleanupIN3c108BFloat16EEEvPKT_NS0_19TensorListAddressesEi
		.amdhsa_group_segment_fixed_size 1024
		.amdhsa_private_segment_fixed_size 0
		.amdhsa_kernarg_size 3472
		.amdhsa_user_sgpr_count 2
		.amdhsa_user_sgpr_dispatch_ptr 0
		.amdhsa_user_sgpr_queue_ptr 0
		.amdhsa_user_sgpr_kernarg_segment_ptr 1
		.amdhsa_user_sgpr_dispatch_id 0
		.amdhsa_user_sgpr_kernarg_preload_length 0
		.amdhsa_user_sgpr_kernarg_preload_offset 0
		.amdhsa_user_sgpr_private_segment_size 0
		.amdhsa_uses_dynamic_stack 0
		.amdhsa_enable_private_segment 0
		.amdhsa_system_sgpr_workgroup_id_x 1
		.amdhsa_system_sgpr_workgroup_id_y 0
		.amdhsa_system_sgpr_workgroup_id_z 0
		.amdhsa_system_sgpr_workgroup_info 0
		.amdhsa_system_vgpr_workitem_id 0
		.amdhsa_next_free_vgpr 14
		.amdhsa_next_free_sgpr 18
		.amdhsa_accum_offset 16
		.amdhsa_reserve_vcc 1
		.amdhsa_float_round_mode_32 0
		.amdhsa_float_round_mode_16_64 0
		.amdhsa_float_denorm_mode_32 3
		.amdhsa_float_denorm_mode_16_64 3
		.amdhsa_dx10_clamp 1
		.amdhsa_ieee_mode 1
		.amdhsa_fp16_overflow 0
		.amdhsa_tg_split 0
		.amdhsa_exception_fp_ieee_invalid_op 0
		.amdhsa_exception_fp_denorm_src 0
		.amdhsa_exception_fp_ieee_div_zero 0
		.amdhsa_exception_fp_ieee_overflow 0
		.amdhsa_exception_fp_ieee_underflow 0
		.amdhsa_exception_fp_ieee_inexact 0
		.amdhsa_exception_int_div_zero 0
	.end_amdhsa_kernel
	.section	.text._ZN2at6native13lpmax_cleanupIN3c108BFloat16EEEvPKT_NS0_19TensorListAddressesEi,"axG",@progbits,_ZN2at6native13lpmax_cleanupIN3c108BFloat16EEEvPKT_NS0_19TensorListAddressesEi,comdat
.Lfunc_end17:
	.size	_ZN2at6native13lpmax_cleanupIN3c108BFloat16EEEvPKT_NS0_19TensorListAddressesEi, .Lfunc_end17-_ZN2at6native13lpmax_cleanupIN3c108BFloat16EEEvPKT_NS0_19TensorListAddressesEi
                                        ; -- End function
	.set _ZN2at6native13lpmax_cleanupIN3c108BFloat16EEEvPKT_NS0_19TensorListAddressesEi.num_vgpr, 14
	.set _ZN2at6native13lpmax_cleanupIN3c108BFloat16EEEvPKT_NS0_19TensorListAddressesEi.num_agpr, 0
	.set _ZN2at6native13lpmax_cleanupIN3c108BFloat16EEEvPKT_NS0_19TensorListAddressesEi.numbered_sgpr, 18
	.set _ZN2at6native13lpmax_cleanupIN3c108BFloat16EEEvPKT_NS0_19TensorListAddressesEi.num_named_barrier, 0
	.set _ZN2at6native13lpmax_cleanupIN3c108BFloat16EEEvPKT_NS0_19TensorListAddressesEi.private_seg_size, 0
	.set _ZN2at6native13lpmax_cleanupIN3c108BFloat16EEEvPKT_NS0_19TensorListAddressesEi.uses_vcc, 1
	.set _ZN2at6native13lpmax_cleanupIN3c108BFloat16EEEvPKT_NS0_19TensorListAddressesEi.uses_flat_scratch, 0
	.set _ZN2at6native13lpmax_cleanupIN3c108BFloat16EEEvPKT_NS0_19TensorListAddressesEi.has_dyn_sized_stack, 0
	.set _ZN2at6native13lpmax_cleanupIN3c108BFloat16EEEvPKT_NS0_19TensorListAddressesEi.has_recursion, 0
	.set _ZN2at6native13lpmax_cleanupIN3c108BFloat16EEEvPKT_NS0_19TensorListAddressesEi.has_indirect_call, 0
	.section	.AMDGPU.csdata,"",@progbits
; Kernel info:
; codeLenInByte = 1420
; TotalNumSgprs: 24
; NumVgprs: 14
; NumAgprs: 0
; TotalNumVgprs: 14
; ScratchSize: 0
; MemoryBound: 0
; FloatMode: 240
; IeeeMode: 1
; LDSByteSize: 1024 bytes/workgroup (compile time only)
; SGPRBlocks: 2
; VGPRBlocks: 1
; NumSGPRsForWavesPerEU: 24
; NumVGPRsForWavesPerEU: 14
; AccumOffset: 16
; Occupancy: 8
; WaveLimiterHint : 0
; COMPUTE_PGM_RSRC2:SCRATCH_EN: 0
; COMPUTE_PGM_RSRC2:USER_SGPR: 2
; COMPUTE_PGM_RSRC2:TRAP_HANDLER: 0
; COMPUTE_PGM_RSRC2:TGID_X_EN: 1
; COMPUTE_PGM_RSRC2:TGID_Y_EN: 0
; COMPUTE_PGM_RSRC2:TGID_Z_EN: 0
; COMPUTE_PGM_RSRC2:TIDIG_COMP_CNT: 0
; COMPUTE_PGM_RSRC3_GFX90A:ACCUM_OFFSET: 3
; COMPUTE_PGM_RSRC3_GFX90A:TG_SPLIT: 0
	.section	.text._ZN2at6native12_GLOBAL__N_125multi_tensor_apply_kernelINS1_18TensorListMetadataILi1EEENS0_12LpMaxFunctorIbLi1ELi1ELi0EEEJPbiEEEvT_T0_DpT1_,"axG",@progbits,_ZN2at6native12_GLOBAL__N_125multi_tensor_apply_kernelINS1_18TensorListMetadataILi1EEENS0_12LpMaxFunctorIbLi1ELi1ELi0EEEJPbiEEEvT_T0_DpT1_,comdat
	.globl	_ZN2at6native12_GLOBAL__N_125multi_tensor_apply_kernelINS1_18TensorListMetadataILi1EEENS0_12LpMaxFunctorIbLi1ELi1ELi0EEEJPbiEEEvT_T0_DpT1_ ; -- Begin function _ZN2at6native12_GLOBAL__N_125multi_tensor_apply_kernelINS1_18TensorListMetadataILi1EEENS0_12LpMaxFunctorIbLi1ELi1ELi0EEEJPbiEEEvT_T0_DpT1_
	.p2align	8
	.type	_ZN2at6native12_GLOBAL__N_125multi_tensor_apply_kernelINS1_18TensorListMetadataILi1EEENS0_12LpMaxFunctorIbLi1ELi1ELi0EEEJPbiEEEvT_T0_DpT1_,@function
_ZN2at6native12_GLOBAL__N_125multi_tensor_apply_kernelINS1_18TensorListMetadataILi1EEENS0_12LpMaxFunctorIbLi1ELi1ELi0EEEJPbiEEEvT_T0_DpT1_: ; @_ZN2at6native12_GLOBAL__N_125multi_tensor_apply_kernelINS1_18TensorListMetadataILi1EEENS0_12LpMaxFunctorIbLi1ELi1ELi0EEEJPbiEEEvT_T0_DpT1_
; %bb.0:
	v_mov_b32_e32 v1, s2
	global_load_ubyte v1, v1, s[0:1] offset:1760
	s_add_u32 s3, s0, s2
	s_mul_hi_u32 s4, s2, 3
	s_mul_i32 s2, s2, 3
	s_addc_u32 s5, s1, 0
	s_add_u32 s2, s3, s2
	s_addc_u32 s3, s5, s4
	s_load_dword s4, s[2:3], 0x820
	s_waitcnt vmcnt(0)
	v_readfirstlane_b32 s2, v1
	s_and_b32 s18, s2, 0xff
	s_lshl_b32 s5, s18, 3
	s_load_dwordx2 s[6:7], s[0:1], s5 offset:0x0
	s_load_dwordx2 s[2:3], s[0:1], s5 offset:0x370
	s_waitcnt lgkmcnt(0)
	s_ashr_i32 s5, s4, 31
	s_lshl_b64 s[8:9], s[4:5], 16
	s_add_u32 s12, s6, s8
	s_addc_u32 s13, s7, s9
	s_sub_u32 s10, s2, s8
	s_subb_u32 s11, s3, s9
	s_or_b32 s2, s2, s12
	s_and_b32 s2, s2, 3
	s_cmp_eq_u32 s2, 0
	s_cbranch_scc1 .LBB18_12
; %bb.1:
	v_cmp_lt_i64_e64 s[2:3], s[10:11], 1
	s_and_b64 vcc, exec, s[2:3]
	s_cbranch_vccnz .LBB18_13
; %bb.2:
	s_load_dword s14, s[0:1], 0xd4c
	v_mov_b64_e32 v[2:3], 0x10000
	v_cmp_lt_i64_e32 vcc, s[10:11], v[2:3]
	s_and_b64 s[2:3], vcc, exec
	s_cselect_b32 s3, s11, 0
	s_cselect_b32 s2, s10, 0x10000
	s_waitcnt lgkmcnt(0)
	s_and_b32 s17, s14, 0xffff
	v_mad_u64_u32 v[6:7], s[14:15], s17, 3, v[0:1]
	s_mov_b32 s5, 0x10000
	v_mov_b32_e32 v5, 0
	s_lshl_b32 s16, s17, 2
	v_lshl_add_u32 v2, s17, 1, v0
	v_add_u32_e32 v8, s17, v0
	s_mov_b64 s[14:15], 0
	v_mov_b64_e32 v[10:11], s[2:3]
	v_mov_b32_e32 v3, 0
	v_mov_b32_e32 v9, 0
	;; [unrolled: 1-line block ×4, first 2 shown]
	s_branch .LBB18_4
.LBB18_3:                               ;   in Loop: Header=BB18_4 Depth=1
	s_or_b64 exec, exec, s[2:3]
	s_add_u32 s14, s14, s16
	s_addc_u32 s15, s15, 0
	v_cmp_lt_i64_e32 vcc, s[14:15], v[10:11]
	s_cbranch_vccz .LBB18_14
.LBB18_4:                               ; =>This Inner Loop Header: Depth=1
	v_add_u32_e32 v4, s14, v0
	v_cmp_gt_i64_e32 vcc, s[10:11], v[4:5]
	v_cmp_gt_u32_e64 s[2:3], s5, v4
	s_and_b64 s[20:21], s[2:3], vcc
	s_and_saveexec_b64 s[2:3], s[20:21]
	s_cbranch_execz .LBB18_6
; %bb.5:                                ;   in Loop: Header=BB18_4 Depth=1
	v_lshl_add_u64 v[14:15], s[12:13], 0, v[4:5]
	global_load_ubyte v4, v[14:15], off
	s_waitcnt vmcnt(0)
	v_or_b32_e32 v3, v4, v3
.LBB18_6:                               ;   in Loop: Header=BB18_4 Depth=1
	s_or_b64 exec, exec, s[2:3]
	v_add_u32_e32 v4, s14, v8
	v_cmp_gt_i64_e32 vcc, s[10:11], v[4:5]
	v_cmp_gt_u32_e64 s[2:3], s5, v4
	s_and_b64 s[20:21], s[2:3], vcc
	s_and_saveexec_b64 s[2:3], s[20:21]
	s_cbranch_execz .LBB18_8
; %bb.7:                                ;   in Loop: Header=BB18_4 Depth=1
	v_lshl_add_u64 v[14:15], s[12:13], 0, v[4:5]
	global_load_ubyte v4, v[14:15], off
	s_waitcnt vmcnt(0)
	v_or_b32_e32 v9, v4, v9
.LBB18_8:                               ;   in Loop: Header=BB18_4 Depth=1
	s_or_b64 exec, exec, s[2:3]
	v_add_u32_e32 v4, s14, v2
	v_cmp_gt_i64_e32 vcc, s[10:11], v[4:5]
	v_cmp_gt_u32_e64 s[2:3], s5, v4
	s_and_b64 s[20:21], s[2:3], vcc
	s_and_saveexec_b64 s[2:3], s[20:21]
	s_cbranch_execz .LBB18_10
; %bb.9:                                ;   in Loop: Header=BB18_4 Depth=1
	v_lshl_add_u64 v[14:15], s[12:13], 0, v[4:5]
	global_load_ubyte v4, v[14:15], off
	s_waitcnt vmcnt(0)
	v_or_b32_e32 v1, v4, v1
.LBB18_10:                              ;   in Loop: Header=BB18_4 Depth=1
	s_or_b64 exec, exec, s[2:3]
	v_add_u32_e32 v4, s14, v6
	v_cmp_gt_i64_e32 vcc, s[10:11], v[4:5]
	v_cmp_gt_u32_e64 s[2:3], s5, v4
	s_and_b64 s[20:21], s[2:3], vcc
	s_and_saveexec_b64 s[2:3], s[20:21]
	s_cbranch_execz .LBB18_3
; %bb.11:                               ;   in Loop: Header=BB18_4 Depth=1
	v_lshl_add_u64 v[14:15], s[12:13], 0, v[4:5]
	global_load_ubyte v4, v[14:15], off
	s_waitcnt vmcnt(0)
	v_or_b32_e32 v12, v4, v12
	s_branch .LBB18_3
.LBB18_12:
                                        ; implicit-def: $vgpr3
                                        ; implicit-def: $vgpr9
                                        ; implicit-def: $vgpr1
                                        ; implicit-def: $vgpr12
	s_branch .LBB18_15
.LBB18_13:
	v_mov_b32_e32 v3, 0
	v_mov_b32_e32 v9, 0
	;; [unrolled: 1-line block ×4, first 2 shown]
.LBB18_14:
	s_cbranch_execnz .LBB18_20
.LBB18_15:
	v_mov_b64_e32 v[4:5], 0x10000
	v_cmp_lt_i64_e32 vcc, s[10:11], v[4:5]
	s_and_b64 s[12:13], vcc, exec
	v_mov_b32_e32 v3, 0
	s_cselect_b32 s11, s11, 0
	s_cselect_b32 s10, s10, 0x10000
	v_lshlrev_b32_e32 v2, 2, v0
	s_mov_b32 s3, 0
	v_cmp_gt_i64_e32 vcc, s[10:11], v[2:3]
	v_mov_b32_e32 v9, v3
	v_mov_b32_e32 v1, v3
	;; [unrolled: 1-line block ×3, first 2 shown]
	s_and_saveexec_b64 s[12:13], vcc
	s_cbranch_execz .LBB18_19
; %bb.16:
	s_load_dword s2, s[0:1], 0xd4c
	v_mov_b32_e32 v1, v3
	s_mov_b32 s17, s3
	s_mov_b64 s[14:15], 0
	s_movk_i32 s5, 0xff
	s_waitcnt lgkmcnt(0)
	s_and_b32 s2, s2, 0xffff
	s_add_u32 s6, s6, s8
	s_addc_u32 s7, s7, s9
	s_lshl_b32 s16, s2, 2
	v_lshl_add_u64 v[4:5], s[6:7], 0, v[2:3]
	v_mov_b64_e32 v[6:7], v[0:1]
	v_mov_b32_e32 v9, v3
	v_mov_b32_e32 v12, v3
.LBB18_17:                              ; =>This Inner Loop Header: Depth=1
	global_load_dword v2, v[4:5], off
	v_lshl_add_u64 v[6:7], v[6:7], 0, s[2:3]
	v_lshlrev_b64 v[10:11], 2, v[6:7]
	v_cmp_le_i64_e32 vcc, s[10:11], v[10:11]
	v_lshl_add_u64 v[4:5], v[4:5], 0, s[16:17]
	s_or_b64 s[14:15], vcc, s[14:15]
	s_waitcnt vmcnt(0)
	v_or_b32_e32 v3, v2, v3
	v_or_b32_sdwa v8, v2, v9 dst_sel:BYTE_1 dst_unused:UNUSED_PAD src0_sel:BYTE_1 src1_sel:DWORD
	v_or_b32_sdwa v1, v2, v1 dst_sel:DWORD dst_unused:UNUSED_PAD src0_sel:WORD_1 src1_sel:DWORD
	v_or_b32_sdwa v2, v2, v12 dst_sel:BYTE_1 dst_unused:UNUSED_PAD src0_sel:BYTE_3 src1_sel:DWORD
	v_bitop3_b16 v3, v3, v8, s5 bitop3:0xec
	v_bitop3_b16 v1, v1, v2, s5 bitop3:0xec
	v_lshlrev_b32_e32 v2, 16, v1
	v_lshrrev_b32_e32 v12, 24, v2
	v_or_b32_e32 v2, v8, v2
	v_lshrrev_b32_e32 v9, 8, v2
	s_andn2_b64 exec, exec, s[14:15]
	s_cbranch_execnz .LBB18_17
; %bb.18:
	s_or_b64 exec, exec, s[14:15]
.LBB18_19:
	s_or_b64 exec, exec, s[12:13]
.LBB18_20:
	v_or_b32_e32 v2, v3, v9
	v_bitop3_b16 v1, v12, v1, v2 bitop3:0xfe
	v_and_b32_e32 v2, 1, v1
	v_mbcnt_lo_u32_b32 v1, -1, 0
	v_mbcnt_hi_u32_b32 v6, -1, v1
	v_mov_b32_e32 v1, 0x80
	v_lshl_or_b32 v1, v6, 2, v1
	ds_bpermute_b32 v3, v1, v2
	v_cmp_eq_u32_e32 vcc, 1, v2
	v_and_b32_e32 v8, 63, v6
	s_waitcnt lgkmcnt(0)
	s_barrier
	v_cmp_ne_u32_e64 s[2:3], 0, v3
	s_or_b64 s[2:3], s[2:3], vcc
	v_cmp_gt_u32_e32 vcc, 48, v8
	v_cndmask_b32_e64 v3, 0, 1, s[2:3]
	s_nop 0
	v_cndmask_b32_e64 v2, 0, 16, vcc
	v_add_lshl_u32 v2, v2, v6, 2
	ds_bpermute_b32 v3, v2, v3
	s_waitcnt lgkmcnt(0)
	v_cmp_ne_u32_e32 vcc, 0, v3
	s_or_b64 s[2:3], vcc, s[2:3]
	v_cmp_gt_u32_e32 vcc, 56, v8
	v_cndmask_b32_e64 v4, 0, 1, s[2:3]
	s_nop 0
	v_cndmask_b32_e64 v3, 0, 8, vcc
	v_add_lshl_u32 v3, v3, v6, 2
	ds_bpermute_b32 v4, v3, v4
	s_waitcnt lgkmcnt(0)
	v_cmp_ne_u32_e32 vcc, 0, v4
	s_or_b64 s[2:3], vcc, s[2:3]
	v_cmp_gt_u32_e32 vcc, 60, v8
	v_cndmask_b32_e64 v5, 0, 1, s[2:3]
	s_nop 0
	v_cndmask_b32_e64 v4, 0, 4, vcc
	v_add_lshl_u32 v4, v4, v6, 2
	ds_bpermute_b32 v5, v4, v5
	s_waitcnt lgkmcnt(0)
	v_cmp_ne_u32_e32 vcc, 0, v5
	s_or_b64 s[2:3], vcc, s[2:3]
	v_cmp_gt_u32_e32 vcc, 62, v8
	v_cndmask_b32_e64 v7, 0, 1, s[2:3]
	s_nop 0
	v_cndmask_b32_e64 v5, 0, 2, vcc
	v_add_lshl_u32 v5, v5, v6, 2
	ds_bpermute_b32 v9, v5, v7
	v_and_b32_e32 v7, 63, v0
	s_waitcnt lgkmcnt(0)
	v_cmp_ne_u32_e32 vcc, 0, v9
	s_or_b64 s[2:3], vcc, s[2:3]
	v_cmp_ne_u32_e32 vcc, 63, v8
	v_cndmask_b32_e64 v9, 0, 1, s[2:3]
	s_nop 0
	v_addc_co_u32_e32 v6, vcc, 0, v6, vcc
	v_lshlrev_b32_e32 v6, 2, v6
	ds_bpermute_b32 v8, v6, v9
	v_cmp_eq_u32_e32 vcc, 0, v7
	s_and_saveexec_b64 s[6:7], vcc
	s_cbranch_execz .LBB18_22
; %bb.21:
	s_waitcnt lgkmcnt(0)
	v_cmp_ne_u32_e32 vcc, 0, v8
	s_or_b64 s[2:3], vcc, s[2:3]
	v_lshrrev_b32_e32 v9, 6, v0
	v_cndmask_b32_e64 v8, 0, 1, s[2:3]
	ds_write_b8 v9, v8
.LBB18_22:
	s_or_b64 exec, exec, s[6:7]
	s_waitcnt lgkmcnt(0)
	s_barrier
	s_load_dword s2, s[0:1], 0xd4c
	s_waitcnt lgkmcnt(0)
	s_bfe_u32 s2, s2, 0xa0006
	v_cmp_gt_u32_e32 vcc, s2, v0
	s_mov_b64 s[2:3], 0
	s_and_saveexec_b64 s[6:7], vcc
	s_cbranch_execnz .LBB18_26
; %bb.23:
	s_or_b64 exec, exec, s[6:7]
	v_cmp_gt_u32_e32 vcc, 64, v0
	s_and_saveexec_b64 s[6:7], vcc
	s_cbranch_execnz .LBB18_27
.LBB18_24:
	s_or_b64 exec, exec, s[6:7]
	v_cmp_eq_u32_e32 vcc, 0, v0
	s_and_saveexec_b64 s[6:7], vcc
	s_cbranch_execnz .LBB18_28
.LBB18_25:
	s_endpgm
.LBB18_26:
	ds_read_u8 v7, v7
	s_waitcnt lgkmcnt(0)
	v_and_b32_e32 v7, 1, v7
	v_cmp_eq_u32_e32 vcc, 1, v7
	s_and_b64 s[2:3], vcc, exec
	s_or_b64 exec, exec, s[6:7]
	v_cmp_gt_u32_e32 vcc, 64, v0
	s_and_saveexec_b64 s[6:7], vcc
	s_cbranch_execz .LBB18_24
.LBB18_27:
	v_cndmask_b32_e64 v7, 0, 1, s[2:3]
	ds_bpermute_b32 v1, v1, v7
	s_waitcnt lgkmcnt(0)
	v_cmp_ne_u32_e32 vcc, 0, v1
	s_or_b64 s[8:9], s[2:3], vcc
	v_cndmask_b32_e64 v1, 0, 1, s[8:9]
	ds_bpermute_b32 v1, v2, v1
	s_andn2_b64 s[2:3], s[2:3], exec
	s_waitcnt lgkmcnt(0)
	v_cmp_ne_u32_e32 vcc, 0, v1
	s_or_b64 s[8:9], s[8:9], vcc
	v_cndmask_b32_e64 v1, 0, 1, s[8:9]
	ds_bpermute_b32 v1, v3, v1
	s_waitcnt lgkmcnt(0)
	v_cmp_ne_u32_e32 vcc, 0, v1
	s_or_b64 s[8:9], s[8:9], vcc
	v_cndmask_b32_e64 v1, 0, 1, s[8:9]
	ds_bpermute_b32 v1, v4, v1
	;; [unrolled: 5-line block ×4, first 2 shown]
	s_waitcnt lgkmcnt(0)
	v_cmp_ne_u32_e32 vcc, 0, v1
	s_or_b64 s[8:9], s[8:9], vcc
	s_and_b64 s[8:9], s[8:9], exec
	s_or_b64 s[2:3], s[2:3], s[8:9]
	s_or_b64 exec, exec, s[6:7]
	v_cmp_eq_u32_e32 vcc, 0, v0
	s_and_saveexec_b64 s[6:7], vcc
	s_cbranch_execz .LBB18_25
.LBB18_28:
	s_load_dword s5, s[0:1], 0xd20
	s_load_dword s8, s[0:1], 0xd38
	s_load_dwordx2 s[6:7], s[0:1], 0xd30
	v_cndmask_b32_e64 v0, 0, 1, s[2:3]
	v_mov_b32_e32 v1, 0
	s_waitcnt lgkmcnt(0)
	s_add_i32 s0, s5, s18
	s_mul_i32 s0, s0, s8
	s_add_i32 s0, s0, s4
	s_ashr_i32 s1, s0, 31
	s_add_u32 s0, s6, s0
	s_addc_u32 s1, s7, s1
	global_store_byte v1, v0, s[0:1]
	s_endpgm
	.section	.rodata,"a",@progbits
	.p2align	6, 0x0
	.amdhsa_kernel _ZN2at6native12_GLOBAL__N_125multi_tensor_apply_kernelINS1_18TensorListMetadataILi1EEENS0_12LpMaxFunctorIbLi1ELi1ELi0EEEJPbiEEEvT_T0_DpT1_
		.amdhsa_group_segment_fixed_size 512
		.amdhsa_private_segment_fixed_size 0
		.amdhsa_kernarg_size 3648
		.amdhsa_user_sgpr_count 2
		.amdhsa_user_sgpr_dispatch_ptr 0
		.amdhsa_user_sgpr_queue_ptr 0
		.amdhsa_user_sgpr_kernarg_segment_ptr 1
		.amdhsa_user_sgpr_dispatch_id 0
		.amdhsa_user_sgpr_kernarg_preload_length 0
		.amdhsa_user_sgpr_kernarg_preload_offset 0
		.amdhsa_user_sgpr_private_segment_size 0
		.amdhsa_uses_dynamic_stack 0
		.amdhsa_enable_private_segment 0
		.amdhsa_system_sgpr_workgroup_id_x 1
		.amdhsa_system_sgpr_workgroup_id_y 0
		.amdhsa_system_sgpr_workgroup_id_z 0
		.amdhsa_system_sgpr_workgroup_info 0
		.amdhsa_system_vgpr_workitem_id 0
		.amdhsa_next_free_vgpr 16
		.amdhsa_next_free_sgpr 22
		.amdhsa_accum_offset 16
		.amdhsa_reserve_vcc 1
		.amdhsa_float_round_mode_32 0
		.amdhsa_float_round_mode_16_64 0
		.amdhsa_float_denorm_mode_32 3
		.amdhsa_float_denorm_mode_16_64 3
		.amdhsa_dx10_clamp 1
		.amdhsa_ieee_mode 1
		.amdhsa_fp16_overflow 0
		.amdhsa_tg_split 0
		.amdhsa_exception_fp_ieee_invalid_op 0
		.amdhsa_exception_fp_denorm_src 0
		.amdhsa_exception_fp_ieee_div_zero 0
		.amdhsa_exception_fp_ieee_overflow 0
		.amdhsa_exception_fp_ieee_underflow 0
		.amdhsa_exception_fp_ieee_inexact 0
		.amdhsa_exception_int_div_zero 0
	.end_amdhsa_kernel
	.section	.text._ZN2at6native12_GLOBAL__N_125multi_tensor_apply_kernelINS1_18TensorListMetadataILi1EEENS0_12LpMaxFunctorIbLi1ELi1ELi0EEEJPbiEEEvT_T0_DpT1_,"axG",@progbits,_ZN2at6native12_GLOBAL__N_125multi_tensor_apply_kernelINS1_18TensorListMetadataILi1EEENS0_12LpMaxFunctorIbLi1ELi1ELi0EEEJPbiEEEvT_T0_DpT1_,comdat
.Lfunc_end18:
	.size	_ZN2at6native12_GLOBAL__N_125multi_tensor_apply_kernelINS1_18TensorListMetadataILi1EEENS0_12LpMaxFunctorIbLi1ELi1ELi0EEEJPbiEEEvT_T0_DpT1_, .Lfunc_end18-_ZN2at6native12_GLOBAL__N_125multi_tensor_apply_kernelINS1_18TensorListMetadataILi1EEENS0_12LpMaxFunctorIbLi1ELi1ELi0EEEJPbiEEEvT_T0_DpT1_
                                        ; -- End function
	.set _ZN2at6native12_GLOBAL__N_125multi_tensor_apply_kernelINS1_18TensorListMetadataILi1EEENS0_12LpMaxFunctorIbLi1ELi1ELi0EEEJPbiEEEvT_T0_DpT1_.num_vgpr, 16
	.set _ZN2at6native12_GLOBAL__N_125multi_tensor_apply_kernelINS1_18TensorListMetadataILi1EEENS0_12LpMaxFunctorIbLi1ELi1ELi0EEEJPbiEEEvT_T0_DpT1_.num_agpr, 0
	.set _ZN2at6native12_GLOBAL__N_125multi_tensor_apply_kernelINS1_18TensorListMetadataILi1EEENS0_12LpMaxFunctorIbLi1ELi1ELi0EEEJPbiEEEvT_T0_DpT1_.numbered_sgpr, 22
	.set _ZN2at6native12_GLOBAL__N_125multi_tensor_apply_kernelINS1_18TensorListMetadataILi1EEENS0_12LpMaxFunctorIbLi1ELi1ELi0EEEJPbiEEEvT_T0_DpT1_.num_named_barrier, 0
	.set _ZN2at6native12_GLOBAL__N_125multi_tensor_apply_kernelINS1_18TensorListMetadataILi1EEENS0_12LpMaxFunctorIbLi1ELi1ELi0EEEJPbiEEEvT_T0_DpT1_.private_seg_size, 0
	.set _ZN2at6native12_GLOBAL__N_125multi_tensor_apply_kernelINS1_18TensorListMetadataILi1EEENS0_12LpMaxFunctorIbLi1ELi1ELi0EEEJPbiEEEvT_T0_DpT1_.uses_vcc, 1
	.set _ZN2at6native12_GLOBAL__N_125multi_tensor_apply_kernelINS1_18TensorListMetadataILi1EEENS0_12LpMaxFunctorIbLi1ELi1ELi0EEEJPbiEEEvT_T0_DpT1_.uses_flat_scratch, 0
	.set _ZN2at6native12_GLOBAL__N_125multi_tensor_apply_kernelINS1_18TensorListMetadataILi1EEENS0_12LpMaxFunctorIbLi1ELi1ELi0EEEJPbiEEEvT_T0_DpT1_.has_dyn_sized_stack, 0
	.set _ZN2at6native12_GLOBAL__N_125multi_tensor_apply_kernelINS1_18TensorListMetadataILi1EEENS0_12LpMaxFunctorIbLi1ELi1ELi0EEEJPbiEEEvT_T0_DpT1_.has_recursion, 0
	.set _ZN2at6native12_GLOBAL__N_125multi_tensor_apply_kernelINS1_18TensorListMetadataILi1EEENS0_12LpMaxFunctorIbLi1ELi1ELi0EEEJPbiEEEvT_T0_DpT1_.has_indirect_call, 0
	.section	.AMDGPU.csdata,"",@progbits
; Kernel info:
; codeLenInByte = 1540
; TotalNumSgprs: 28
; NumVgprs: 16
; NumAgprs: 0
; TotalNumVgprs: 16
; ScratchSize: 0
; MemoryBound: 0
; FloatMode: 240
; IeeeMode: 1
; LDSByteSize: 512 bytes/workgroup (compile time only)
; SGPRBlocks: 3
; VGPRBlocks: 1
; NumSGPRsForWavesPerEU: 28
; NumVGPRsForWavesPerEU: 16
; AccumOffset: 16
; Occupancy: 8
; WaveLimiterHint : 0
; COMPUTE_PGM_RSRC2:SCRATCH_EN: 0
; COMPUTE_PGM_RSRC2:USER_SGPR: 2
; COMPUTE_PGM_RSRC2:TRAP_HANDLER: 0
; COMPUTE_PGM_RSRC2:TGID_X_EN: 1
; COMPUTE_PGM_RSRC2:TGID_Y_EN: 0
; COMPUTE_PGM_RSRC2:TGID_Z_EN: 0
; COMPUTE_PGM_RSRC2:TIDIG_COMP_CNT: 0
; COMPUTE_PGM_RSRC3_GFX90A:ACCUM_OFFSET: 3
; COMPUTE_PGM_RSRC3_GFX90A:TG_SPLIT: 0
	.section	.text._ZN2at6native13lpmax_cleanupIbEEvPKT_NS0_19TensorListAddressesEi,"axG",@progbits,_ZN2at6native13lpmax_cleanupIbEEvPKT_NS0_19TensorListAddressesEi,comdat
	.protected	_ZN2at6native13lpmax_cleanupIbEEvPKT_NS0_19TensorListAddressesEi ; -- Begin function _ZN2at6native13lpmax_cleanupIbEEvPKT_NS0_19TensorListAddressesEi
	.globl	_ZN2at6native13lpmax_cleanupIbEEvPKT_NS0_19TensorListAddressesEi
	.p2align	8
	.type	_ZN2at6native13lpmax_cleanupIbEEvPKT_NS0_19TensorListAddressesEi,@function
_ZN2at6native13lpmax_cleanupIbEEvPKT_NS0_19TensorListAddressesEi: ; @_ZN2at6native13lpmax_cleanupIbEEvPKT_NS0_19TensorListAddressesEi
; %bb.0:
	s_load_dword s8, s[0:1], 0xc88
	s_mov_b64 s[4:5], 0
	s_waitcnt lgkmcnt(0)
	v_cmp_gt_u32_e32 vcc, s8, v0
	s_and_saveexec_b64 s[6:7], vcc
	s_cbranch_execz .LBB19_4
; %bb.1:
	s_load_dwordx2 s[4:5], s[0:1], 0x0
	s_load_dword s10, s[0:1], 0xc9c
	s_mul_i32 s3, s8, s2
	v_mov_b32_e32 v1, 0
	s_mov_b32 s11, 0
	s_waitcnt lgkmcnt(0)
	s_add_u32 s12, s4, s3
	s_addc_u32 s13, s5, 0
	s_ashr_i32 s9, s8, 31
	s_and_b32 s10, s10, 0xffff
	s_mov_b64 s[16:17], 0
	s_mov_b64 s[14:15], 0
	v_mov_b64_e32 v[2:3], v[0:1]
                                        ; implicit-def: $sgpr18_sgpr19
.LBB19_2:                               ; =>This Inner Loop Header: Depth=1
	v_lshl_add_u64 v[4:5], s[12:13], 0, v[2:3]
	global_load_ubyte v1, v[4:5], off
	v_lshl_add_u64 v[2:3], v[2:3], 0, s[10:11]
	v_cmp_le_u64_e32 vcc, s[8:9], v[2:3]
	s_waitcnt vmcnt(0)
	v_and_b32_e32 v1, 1, v1
	v_cmp_eq_u32_e64 s[4:5], 1, v1
	s_or_b64 s[16:17], s[16:17], s[4:5]
	s_or_b64 s[14:15], vcc, s[14:15]
	s_andn2_b64 s[4:5], s[18:19], exec
	s_and_b64 s[18:19], s[16:17], exec
	s_or_b64 s[18:19], s[4:5], s[18:19]
	s_andn2_b64 exec, exec, s[14:15]
	s_cbranch_execnz .LBB19_2
; %bb.3:
	s_or_b64 exec, exec, s[14:15]
	s_and_b64 s[4:5], s[18:19], exec
.LBB19_4:
	s_or_b64 exec, exec, s[6:7]
	v_mbcnt_lo_u32_b32 v1, -1, 0
	v_mbcnt_hi_u32_b32 v6, -1, v1
	v_mov_b32_e32 v1, 0x80
	v_cndmask_b32_e64 v2, 0, 1, s[4:5]
	v_lshl_or_b32 v1, v6, 2, v1
	ds_bpermute_b32 v2, v1, v2
	v_and_b32_e32 v8, 63, v6
	s_waitcnt lgkmcnt(0)
	s_barrier
	v_cmp_ne_u32_e32 vcc, 0, v2
	s_or_b64 s[4:5], s[4:5], vcc
	v_cmp_gt_u32_e32 vcc, 48, v8
	v_cndmask_b32_e64 v3, 0, 1, s[4:5]
	s_nop 0
	v_cndmask_b32_e64 v2, 0, 16, vcc
	v_add_lshl_u32 v2, v2, v6, 2
	ds_bpermute_b32 v3, v2, v3
	s_waitcnt lgkmcnt(0)
	v_cmp_ne_u32_e32 vcc, 0, v3
	s_or_b64 s[4:5], s[4:5], vcc
	v_cmp_gt_u32_e32 vcc, 56, v8
	v_cndmask_b32_e64 v4, 0, 1, s[4:5]
	s_nop 0
	v_cndmask_b32_e64 v3, 0, 8, vcc
	v_add_lshl_u32 v3, v3, v6, 2
	ds_bpermute_b32 v4, v3, v4
	s_waitcnt lgkmcnt(0)
	;; [unrolled: 9-line block ×3, first 2 shown]
	v_cmp_ne_u32_e32 vcc, 0, v5
	s_or_b64 s[4:5], s[4:5], vcc
	v_cmp_gt_u32_e32 vcc, 62, v8
	v_cndmask_b32_e64 v7, 0, 1, s[4:5]
	s_nop 0
	v_cndmask_b32_e64 v5, 0, 2, vcc
	v_add_lshl_u32 v5, v5, v6, 2
	ds_bpermute_b32 v9, v5, v7
	v_and_b32_e32 v7, 63, v0
	s_waitcnt lgkmcnt(0)
	v_cmp_ne_u32_e32 vcc, 0, v9
	s_or_b64 s[4:5], s[4:5], vcc
	v_cmp_ne_u32_e32 vcc, 63, v8
	v_cndmask_b32_e64 v9, 0, 1, s[4:5]
	s_nop 0
	v_addc_co_u32_e32 v6, vcc, 0, v6, vcc
	v_lshlrev_b32_e32 v6, 2, v6
	ds_bpermute_b32 v8, v6, v9
	v_cmp_eq_u32_e32 vcc, 0, v7
	s_and_saveexec_b64 s[6:7], vcc
	s_cbranch_execz .LBB19_6
; %bb.5:
	s_waitcnt lgkmcnt(0)
	v_cmp_ne_u32_e32 vcc, 0, v8
	s_or_b64 s[4:5], s[4:5], vcc
	v_cndmask_b32_e64 v8, 0, 1, s[4:5]
	v_lshrrev_b32_e32 v9, 6, v0
	ds_write_b8 v9, v8
.LBB19_6:
	s_or_b64 exec, exec, s[6:7]
	s_waitcnt lgkmcnt(0)
	s_barrier
	s_load_dword s3, s[0:1], 0xc9c
	s_mov_b64 s[4:5], 0
	s_waitcnt lgkmcnt(0)
	s_bfe_u32 s3, s3, 0xa0006
	v_cmp_gt_u32_e32 vcc, s3, v0
	s_and_saveexec_b64 s[6:7], vcc
	s_cbranch_execz .LBB19_8
; %bb.7:
	ds_read_u8 v7, v7
	s_waitcnt lgkmcnt(0)
	v_and_b32_e32 v7, 1, v7
	v_cmp_eq_u32_e32 vcc, 1, v7
	s_and_b64 s[4:5], vcc, exec
.LBB19_8:
	s_or_b64 exec, exec, s[6:7]
	v_cmp_gt_u32_e32 vcc, 64, v0
	s_and_saveexec_b64 s[6:7], vcc
	s_cbranch_execz .LBB19_10
; %bb.9:
	v_cndmask_b32_e64 v7, 0, 1, s[4:5]
	ds_bpermute_b32 v1, v1, v7
	s_waitcnt lgkmcnt(0)
	v_cmp_ne_u32_e32 vcc, 0, v1
	s_or_b64 s[8:9], s[4:5], vcc
	v_cndmask_b32_e64 v1, 0, 1, s[8:9]
	ds_bpermute_b32 v1, v2, v1
	s_andn2_b64 s[4:5], s[4:5], exec
	s_waitcnt lgkmcnt(0)
	v_cmp_ne_u32_e32 vcc, 0, v1
	s_or_b64 s[8:9], s[8:9], vcc
	v_cndmask_b32_e64 v1, 0, 1, s[8:9]
	ds_bpermute_b32 v1, v3, v1
	s_waitcnt lgkmcnt(0)
	v_cmp_ne_u32_e32 vcc, 0, v1
	s_or_b64 s[8:9], s[8:9], vcc
	v_cndmask_b32_e64 v1, 0, 1, s[8:9]
	ds_bpermute_b32 v1, v4, v1
	;; [unrolled: 5-line block ×4, first 2 shown]
	s_waitcnt lgkmcnt(0)
	v_cmp_ne_u32_e32 vcc, 0, v1
	s_or_b64 s[8:9], s[8:9], vcc
	s_and_b64 s[8:9], s[8:9], exec
	s_or_b64 s[4:5], s[4:5], s[8:9]
.LBB19_10:
	s_or_b64 exec, exec, s[6:7]
	s_mov_b32 s3, 0
	v_cmp_eq_u32_e32 vcc, 0, v0
	s_and_saveexec_b64 s[6:7], vcc
	s_cbranch_execz .LBB19_12
; %bb.11:
	s_lshl_b64 s[2:3], s[2:3], 3
	s_add_u32 s0, s0, s2
	s_addc_u32 s1, s1, s3
	s_load_dwordx2 s[0:1], s[0:1], 0x8
	v_cndmask_b32_e64 v0, 0, 1, s[4:5]
	v_mov_b32_e32 v1, 0
	s_waitcnt lgkmcnt(0)
	global_store_byte v1, v0, s[0:1]
.LBB19_12:
	s_endpgm
	.section	.rodata,"a",@progbits
	.p2align	6, 0x0
	.amdhsa_kernel _ZN2at6native13lpmax_cleanupIbEEvPKT_NS0_19TensorListAddressesEi
		.amdhsa_group_segment_fixed_size 512
		.amdhsa_private_segment_fixed_size 0
		.amdhsa_kernarg_size 3472
		.amdhsa_user_sgpr_count 2
		.amdhsa_user_sgpr_dispatch_ptr 0
		.amdhsa_user_sgpr_queue_ptr 0
		.amdhsa_user_sgpr_kernarg_segment_ptr 1
		.amdhsa_user_sgpr_dispatch_id 0
		.amdhsa_user_sgpr_kernarg_preload_length 0
		.amdhsa_user_sgpr_kernarg_preload_offset 0
		.amdhsa_user_sgpr_private_segment_size 0
		.amdhsa_uses_dynamic_stack 0
		.amdhsa_enable_private_segment 0
		.amdhsa_system_sgpr_workgroup_id_x 1
		.amdhsa_system_sgpr_workgroup_id_y 0
		.amdhsa_system_sgpr_workgroup_id_z 0
		.amdhsa_system_sgpr_workgroup_info 0
		.amdhsa_system_vgpr_workitem_id 0
		.amdhsa_next_free_vgpr 10
		.amdhsa_next_free_sgpr 20
		.amdhsa_accum_offset 12
		.amdhsa_reserve_vcc 1
		.amdhsa_float_round_mode_32 0
		.amdhsa_float_round_mode_16_64 0
		.amdhsa_float_denorm_mode_32 3
		.amdhsa_float_denorm_mode_16_64 3
		.amdhsa_dx10_clamp 1
		.amdhsa_ieee_mode 1
		.amdhsa_fp16_overflow 0
		.amdhsa_tg_split 0
		.amdhsa_exception_fp_ieee_invalid_op 0
		.amdhsa_exception_fp_denorm_src 0
		.amdhsa_exception_fp_ieee_div_zero 0
		.amdhsa_exception_fp_ieee_overflow 0
		.amdhsa_exception_fp_ieee_underflow 0
		.amdhsa_exception_fp_ieee_inexact 0
		.amdhsa_exception_int_div_zero 0
	.end_amdhsa_kernel
	.section	.text._ZN2at6native13lpmax_cleanupIbEEvPKT_NS0_19TensorListAddressesEi,"axG",@progbits,_ZN2at6native13lpmax_cleanupIbEEvPKT_NS0_19TensorListAddressesEi,comdat
.Lfunc_end19:
	.size	_ZN2at6native13lpmax_cleanupIbEEvPKT_NS0_19TensorListAddressesEi, .Lfunc_end19-_ZN2at6native13lpmax_cleanupIbEEvPKT_NS0_19TensorListAddressesEi
                                        ; -- End function
	.set _ZN2at6native13lpmax_cleanupIbEEvPKT_NS0_19TensorListAddressesEi.num_vgpr, 10
	.set _ZN2at6native13lpmax_cleanupIbEEvPKT_NS0_19TensorListAddressesEi.num_agpr, 0
	.set _ZN2at6native13lpmax_cleanupIbEEvPKT_NS0_19TensorListAddressesEi.numbered_sgpr, 20
	.set _ZN2at6native13lpmax_cleanupIbEEvPKT_NS0_19TensorListAddressesEi.num_named_barrier, 0
	.set _ZN2at6native13lpmax_cleanupIbEEvPKT_NS0_19TensorListAddressesEi.private_seg_size, 0
	.set _ZN2at6native13lpmax_cleanupIbEEvPKT_NS0_19TensorListAddressesEi.uses_vcc, 1
	.set _ZN2at6native13lpmax_cleanupIbEEvPKT_NS0_19TensorListAddressesEi.uses_flat_scratch, 0
	.set _ZN2at6native13lpmax_cleanupIbEEvPKT_NS0_19TensorListAddressesEi.has_dyn_sized_stack, 0
	.set _ZN2at6native13lpmax_cleanupIbEEvPKT_NS0_19TensorListAddressesEi.has_recursion, 0
	.set _ZN2at6native13lpmax_cleanupIbEEvPKT_NS0_19TensorListAddressesEi.has_indirect_call, 0
	.section	.AMDGPU.csdata,"",@progbits
; Kernel info:
; codeLenInByte = 868
; TotalNumSgprs: 26
; NumVgprs: 10
; NumAgprs: 0
; TotalNumVgprs: 10
; ScratchSize: 0
; MemoryBound: 0
; FloatMode: 240
; IeeeMode: 1
; LDSByteSize: 512 bytes/workgroup (compile time only)
; SGPRBlocks: 3
; VGPRBlocks: 1
; NumSGPRsForWavesPerEU: 26
; NumVGPRsForWavesPerEU: 10
; AccumOffset: 12
; Occupancy: 8
; WaveLimiterHint : 0
; COMPUTE_PGM_RSRC2:SCRATCH_EN: 0
; COMPUTE_PGM_RSRC2:USER_SGPR: 2
; COMPUTE_PGM_RSRC2:TRAP_HANDLER: 0
; COMPUTE_PGM_RSRC2:TGID_X_EN: 1
; COMPUTE_PGM_RSRC2:TGID_Y_EN: 0
; COMPUTE_PGM_RSRC2:TGID_Z_EN: 0
; COMPUTE_PGM_RSRC2:TIDIG_COMP_CNT: 0
; COMPUTE_PGM_RSRC3_GFX90A:ACCUM_OFFSET: 2
; COMPUTE_PGM_RSRC3_GFX90A:TG_SPLIT: 0
	.section	.text._ZN2at6native12_GLOBAL__N_125multi_tensor_apply_kernelINS1_18TensorListMetadataILi1EEENS0_13LpNormFunctorIdLNS0_8NormTypeE0EdLi1ELi1ELi0EEEJPdiEEEvT_T0_DpT1_,"axG",@progbits,_ZN2at6native12_GLOBAL__N_125multi_tensor_apply_kernelINS1_18TensorListMetadataILi1EEENS0_13LpNormFunctorIdLNS0_8NormTypeE0EdLi1ELi1ELi0EEEJPdiEEEvT_T0_DpT1_,comdat
	.globl	_ZN2at6native12_GLOBAL__N_125multi_tensor_apply_kernelINS1_18TensorListMetadataILi1EEENS0_13LpNormFunctorIdLNS0_8NormTypeE0EdLi1ELi1ELi0EEEJPdiEEEvT_T0_DpT1_ ; -- Begin function _ZN2at6native12_GLOBAL__N_125multi_tensor_apply_kernelINS1_18TensorListMetadataILi1EEENS0_13LpNormFunctorIdLNS0_8NormTypeE0EdLi1ELi1ELi0EEEJPdiEEEvT_T0_DpT1_
	.p2align	8
	.type	_ZN2at6native12_GLOBAL__N_125multi_tensor_apply_kernelINS1_18TensorListMetadataILi1EEENS0_13LpNormFunctorIdLNS0_8NormTypeE0EdLi1ELi1ELi0EEEJPdiEEEvT_T0_DpT1_,@function
_ZN2at6native12_GLOBAL__N_125multi_tensor_apply_kernelINS1_18TensorListMetadataILi1EEENS0_13LpNormFunctorIdLNS0_8NormTypeE0EdLi1ELi1ELi0EEEJPdiEEEvT_T0_DpT1_: ; @_ZN2at6native12_GLOBAL__N_125multi_tensor_apply_kernelINS1_18TensorListMetadataILi1EEENS0_13LpNormFunctorIdLNS0_8NormTypeE0EdLi1ELi1ELi0EEEJPdiEEEvT_T0_DpT1_
; %bb.0:
	v_mov_b32_e32 v1, s2
	global_load_ubyte v1, v1, s[0:1] offset:1760
	s_add_u32 s3, s0, s2
	s_mul_hi_u32 s4, s2, 3
	s_mul_i32 s2, s2, 3
	s_addc_u32 s5, s1, 0
	s_add_u32 s2, s3, s2
	s_addc_u32 s3, s5, s4
	s_load_dword s6, s[2:3], 0x820
	s_mov_b32 s15, 0
	s_waitcnt vmcnt(0)
	v_readfirstlane_b32 s2, v1
	s_and_b32 s18, s2, 0xff
	s_lshl_b32 s7, s18, 3
	s_load_dwordx2 s[2:3], s[0:1], s7 offset:0x370
	s_load_dwordx2 s[4:5], s[0:1], s7 offset:0x0
	s_waitcnt lgkmcnt(0)
	s_ashr_i32 s7, s6, 31
	s_lshl_b64 s[10:11], s[6:7], 16
	s_lshl_b64 s[8:9], s[6:7], 19
	s_add_u32 s12, s4, s8
	s_addc_u32 s13, s5, s9
	s_sub_u32 s10, s2, s10
	s_subb_u32 s11, s3, s11
	s_and_b32 s14, s2, 3
	s_and_b32 s2, s12, 31
	s_mov_b32 s3, s15
	s_or_b64 s[2:3], s[14:15], s[2:3]
	s_cmp_eq_u64 s[2:3], 0
	s_cbranch_scc1 .LBB20_12
; %bb.1:
	v_cmp_lt_i64_e64 s[2:3], s[10:11], 1
	s_and_b64 vcc, exec, s[2:3]
	s_cbranch_vccnz .LBB20_13
; %bb.2:
	v_mov_b64_e32 v[2:3], 0x10000
	v_cmp_lt_i64_e32 vcc, s[10:11], v[2:3]
	s_and_b64 s[2:3], vcc, exec
	s_load_dword s2, s[0:1], 0xd4c
	v_mov_b32_e32 v11, 0
	v_mov_b32_e32 v10, v11
	s_cselect_b32 s15, s11, 0
	s_cselect_b32 s14, s10, 0x10000
	s_waitcnt lgkmcnt(0)
	s_and_b32 s16, s2, 0xffff
	v_mov_b32_e32 v12, v11
	v_mov_b32_e32 v13, v11
	;; [unrolled: 1-line block ×6, first 2 shown]
	v_mov_b64_e32 v[2:3], v[10:11]
	s_mov_b32 s7, 0x10000
	s_lshl_b32 s19, s16, 2
	v_lshl_add_u32 v18, s16, 1, v0
	v_mad_u64_u32 v[20:21], s[2:3], s16, 3, v[0:1]
	v_add_u32_e32 v22, s16, v0
	s_mov_b64 s[16:17], 0
	v_mov_b32_e32 v1, 0x3ff00000
	v_mov_b64_e32 v[4:5], v[12:13]
	v_mov_b64_e32 v[6:7], v[14:15]
	;; [unrolled: 1-line block ×3, first 2 shown]
	s_branch .LBB20_4
.LBB20_3:                               ;   in Loop: Header=BB20_4 Depth=1
	s_or_b64 exec, exec, s[2:3]
	s_add_u32 s16, s16, s19
	s_addc_u32 s17, s17, 0
	v_mov_b64_e32 v[12:13], s[14:15]
	v_cmp_lt_i64_e32 vcc, s[16:17], v[12:13]
	s_cbranch_vccz .LBB20_14
.LBB20_4:                               ; =>This Inner Loop Header: Depth=1
	v_add_u32_e32 v10, s16, v0
	v_cmp_gt_i64_e32 vcc, s[10:11], v[10:11]
	v_cmp_gt_u32_e64 s[2:3], s7, v10
	s_and_b64 s[20:21], s[2:3], vcc
	s_and_saveexec_b64 s[2:3], s[20:21]
	s_cbranch_execz .LBB20_6
; %bb.5:                                ;   in Loop: Header=BB20_4 Depth=1
	v_lshl_add_u64 v[12:13], v[10:11], 3, s[12:13]
	global_load_dwordx2 v[12:13], v[12:13], off
	s_waitcnt vmcnt(0)
	v_cmp_neq_f64_e32 vcc, 0, v[12:13]
	s_nop 1
	v_cndmask_b32_e32 v13, 0, v1, vcc
	v_mov_b32_e32 v12, v11
	v_add_f64 v[2:3], v[2:3], v[12:13]
.LBB20_6:                               ;   in Loop: Header=BB20_4 Depth=1
	s_or_b64 exec, exec, s[2:3]
	v_add_u32_e32 v10, s16, v22
	v_cmp_gt_i64_e32 vcc, s[10:11], v[10:11]
	v_cmp_gt_u32_e64 s[2:3], s7, v10
	s_and_b64 s[20:21], s[2:3], vcc
	s_and_saveexec_b64 s[2:3], s[20:21]
	s_cbranch_execz .LBB20_8
; %bb.7:                                ;   in Loop: Header=BB20_4 Depth=1
	v_lshl_add_u64 v[12:13], v[10:11], 3, s[12:13]
	global_load_dwordx2 v[12:13], v[12:13], off
	s_waitcnt vmcnt(0)
	v_cmp_neq_f64_e32 vcc, 0, v[12:13]
	s_nop 1
	v_cndmask_b32_e32 v13, 0, v1, vcc
	v_mov_b32_e32 v12, v11
	v_add_f64 v[4:5], v[4:5], v[12:13]
.LBB20_8:                               ;   in Loop: Header=BB20_4 Depth=1
	s_or_b64 exec, exec, s[2:3]
	v_add_u32_e32 v10, s16, v18
	v_cmp_gt_i64_e32 vcc, s[10:11], v[10:11]
	v_cmp_gt_u32_e64 s[2:3], s7, v10
	s_and_b64 s[20:21], s[2:3], vcc
	s_and_saveexec_b64 s[2:3], s[20:21]
	s_cbranch_execz .LBB20_10
; %bb.9:                                ;   in Loop: Header=BB20_4 Depth=1
	v_lshl_add_u64 v[12:13], v[10:11], 3, s[12:13]
	global_load_dwordx2 v[12:13], v[12:13], off
	s_waitcnt vmcnt(0)
	v_cmp_neq_f64_e32 vcc, 0, v[12:13]
	s_nop 1
	v_cndmask_b32_e32 v13, 0, v1, vcc
	v_mov_b32_e32 v12, v11
	v_add_f64 v[6:7], v[6:7], v[12:13]
.LBB20_10:                              ;   in Loop: Header=BB20_4 Depth=1
	s_or_b64 exec, exec, s[2:3]
	v_add_u32_e32 v10, s16, v20
	v_cmp_gt_i64_e32 vcc, s[10:11], v[10:11]
	v_cmp_gt_u32_e64 s[2:3], s7, v10
	s_and_b64 s[20:21], s[2:3], vcc
	s_and_saveexec_b64 s[2:3], s[20:21]
	s_cbranch_execz .LBB20_3
; %bb.11:                               ;   in Loop: Header=BB20_4 Depth=1
	v_lshl_add_u64 v[12:13], v[10:11], 3, s[12:13]
	global_load_dwordx2 v[12:13], v[12:13], off
	s_waitcnt vmcnt(0)
	v_cmp_neq_f64_e32 vcc, 0, v[12:13]
	s_nop 1
	v_cndmask_b32_e32 v13, 0, v1, vcc
	v_mov_b32_e32 v12, v11
	v_add_f64 v[8:9], v[8:9], v[12:13]
	s_branch .LBB20_3
.LBB20_12:
                                        ; implicit-def: $vgpr2_vgpr3_vgpr4_vgpr5_vgpr6_vgpr7_vgpr8_vgpr9
	s_branch .LBB20_15
.LBB20_13:
	v_mov_b32_e32 v2, 0
	v_mov_b32_e32 v3, v2
	;; [unrolled: 1-line block ×8, first 2 shown]
.LBB20_14:
	s_cbranch_execnz .LBB20_20
.LBB20_15:
	v_mov_b64_e32 v[4:5], 0x10000
	v_cmp_lt_i64_e32 vcc, s[10:11], v[4:5]
	v_mov_b32_e32 v2, 0
	s_and_b64 s[2:3], vcc, exec
	s_cselect_b32 s11, s11, 0
	s_cselect_b32 s10, s10, 0x10000
	v_lshlrev_b32_e32 v4, 2, v0
	v_mov_b32_e32 v5, v2
	s_mov_b32 s13, 0
	v_cmp_gt_i64_e32 vcc, s[10:11], v[4:5]
	v_mov_b32_e32 v3, v2
	v_mov_b32_e32 v4, v2
	v_mov_b32_e32 v6, v2
	v_mov_b32_e32 v7, v2
	v_mov_b32_e32 v8, v2
	v_mov_b32_e32 v9, v2
	s_and_saveexec_b64 s[14:15], vcc
	s_cbranch_execz .LBB20_19
; %bb.16:
	s_load_dword s2, s[0:1], 0xd4c
	v_lshlrev_b32_e32 v4, 5, v0
	v_mov_b32_e32 v5, v2
	v_mov_b32_e32 v1, v2
	s_mov_b64 s[16:17], 0
	s_waitcnt lgkmcnt(0)
	s_and_b32 s12, s2, 0xffff
	s_add_u32 s2, s4, s8
	s_addc_u32 s3, s5, s9
	v_lshl_add_u64 v[4:5], s[2:3], 0, v[4:5]
	s_lshl_b32 s8, s12, 5
	v_lshl_add_u64 v[12:13], v[4:5], 0, 16
	s_mov_b32 s9, s13
	v_mov_b64_e32 v[4:5], 0
	v_mov_b32_e32 v16, 0x3ff00000
	v_mov_b64_e32 v[14:15], v[0:1]
	v_mov_b64_e32 v[6:7], 0
	;; [unrolled: 1-line block ×4, first 2 shown]
.LBB20_17:                              ; =>This Inner Loop Header: Depth=1
	global_load_dwordx4 v[18:21], v[12:13], off offset:-16
	global_load_dwordx4 v[22:25], v[12:13], off
	v_lshl_add_u64 v[14:15], v[14:15], 0, s[12:13]
	v_lshlrev_b64 v[26:27], 2, v[14:15]
	v_cmp_le_i64_e32 vcc, s[10:11], v[26:27]
	s_or_b64 s[16:17], vcc, s[16:17]
	v_lshl_add_u64 v[12:13], v[12:13], 0, s[8:9]
	s_waitcnt vmcnt(1)
	v_cmp_neq_f64_e32 vcc, 0, v[18:19]
	s_nop 1
	v_cndmask_b32_e32 v3, 0, v16, vcc
	v_cmp_neq_f64_e32 vcc, 0, v[20:21]
	s_waitcnt vmcnt(0)
	v_cmp_neq_f64_e64 s[2:3], 0, v[22:23]
	v_add_f64 v[4:5], v[4:5], v[2:3]
	v_cndmask_b32_e32 v3, 0, v16, vcc
	v_cmp_neq_f64_e64 s[4:5], 0, v[24:25]
	v_add_f64 v[6:7], v[6:7], v[2:3]
	v_cndmask_b32_e64 v3, 0, v16, s[2:3]
	v_add_f64 v[8:9], v[8:9], v[2:3]
	v_cndmask_b32_e64 v3, 0, v16, s[4:5]
	v_add_f64 v[10:11], v[10:11], v[2:3]
	s_andn2_b64 exec, exec, s[16:17]
	s_cbranch_execnz .LBB20_17
; %bb.18:
	s_or_b64 exec, exec, s[16:17]
	v_mov_b64_e32 v[2:3], v[4:5]
	v_mov_b64_e32 v[4:5], v[6:7]
	;; [unrolled: 1-line block ×4, first 2 shown]
.LBB20_19:
	s_or_b64 exec, exec, s[14:15]
.LBB20_20:
	v_add_f64 v[2:3], v[2:3], 0
	v_add_f64 v[2:3], v[4:5], v[2:3]
	v_mbcnt_lo_u32_b32 v1, -1, 0
	v_add_f64 v[2:3], v[6:7], v[2:3]
	v_mbcnt_hi_u32_b32 v10, -1, v1
	v_mov_b32_e32 v1, 0x80
	v_add_f64 v[2:3], v[8:9], v[2:3]
	v_lshl_or_b32 v1, v10, 2, v1
	ds_bpermute_b32 v4, v1, v2
	ds_bpermute_b32 v5, v1, v3
	v_and_b32_e32 v12, 63, v10
	v_cmp_gt_u32_e32 vcc, 48, v12
	v_and_b32_e32 v11, 63, v0
	s_waitcnt lgkmcnt(0)
	v_add_f64 v[2:3], v[2:3], v[4:5]
	v_cndmask_b32_e64 v4, 0, 16, vcc
	v_add_lshl_u32 v6, v4, v10, 2
	ds_bpermute_b32 v4, v6, v2
	ds_bpermute_b32 v5, v6, v3
	v_cmp_gt_u32_e32 vcc, 56, v12
	s_barrier
	s_waitcnt lgkmcnt(0)
	v_add_f64 v[2:3], v[2:3], v[4:5]
	v_cndmask_b32_e64 v4, 0, 8, vcc
	v_add_lshl_u32 v7, v4, v10, 2
	ds_bpermute_b32 v4, v7, v2
	ds_bpermute_b32 v5, v7, v3
	v_cmp_gt_u32_e32 vcc, 60, v12
	s_waitcnt lgkmcnt(0)
	v_add_f64 v[2:3], v[2:3], v[4:5]
	v_cndmask_b32_e64 v4, 0, 4, vcc
	v_add_lshl_u32 v8, v4, v10, 2
	ds_bpermute_b32 v4, v8, v2
	ds_bpermute_b32 v5, v8, v3
	v_cmp_gt_u32_e32 vcc, 62, v12
	s_waitcnt lgkmcnt(0)
	v_add_f64 v[2:3], v[2:3], v[4:5]
	v_cndmask_b32_e64 v4, 0, 2, vcc
	v_add_lshl_u32 v9, v4, v10, 2
	ds_bpermute_b32 v4, v9, v2
	ds_bpermute_b32 v5, v9, v3
	v_cmp_ne_u32_e32 vcc, 63, v12
	s_waitcnt lgkmcnt(0)
	v_add_f64 v[2:3], v[2:3], v[4:5]
	v_addc_co_u32_e32 v4, vcc, 0, v10, vcc
	v_lshlrev_b32_e32 v10, 2, v4
	ds_bpermute_b32 v4, v10, v2
	ds_bpermute_b32 v5, v10, v3
	v_cmp_eq_u32_e32 vcc, 0, v11
	s_and_saveexec_b64 s[2:3], vcc
	s_cbranch_execz .LBB20_22
; %bb.21:
	v_lshrrev_b32_e32 v12, 3, v0
	s_waitcnt lgkmcnt(0)
	v_add_f64 v[2:3], v[2:3], v[4:5]
	ds_write_b64 v12, v[2:3]
.LBB20_22:
	s_or_b64 exec, exec, s[2:3]
	s_waitcnt lgkmcnt(0)
	s_barrier
	s_load_dword s2, s[0:1], 0xd4c
	v_mov_b64_e32 v[2:3], 0
	s_waitcnt lgkmcnt(0)
	s_bfe_u32 s2, s2, 0xa0006
	v_cmp_gt_u32_e32 vcc, s2, v0
	s_and_saveexec_b64 s[2:3], vcc
	s_cbranch_execnz .LBB20_26
; %bb.23:
	s_or_b64 exec, exec, s[2:3]
	v_cmp_gt_u32_e32 vcc, 64, v0
	s_and_saveexec_b64 s[2:3], vcc
	s_cbranch_execnz .LBB20_27
.LBB20_24:
	s_or_b64 exec, exec, s[2:3]
	v_cmp_eq_u32_e32 vcc, 0, v0
	s_and_saveexec_b64 s[2:3], vcc
	s_cbranch_execnz .LBB20_28
.LBB20_25:
	s_endpgm
.LBB20_26:
	v_lshlrev_b32_e32 v2, 3, v11
	ds_read_b64 v[2:3], v2
	s_or_b64 exec, exec, s[2:3]
	v_cmp_gt_u32_e32 vcc, 64, v0
	s_and_saveexec_b64 s[2:3], vcc
	s_cbranch_execz .LBB20_24
.LBB20_27:
	s_waitcnt lgkmcnt(0)
	ds_bpermute_b32 v4, v1, v2
	ds_bpermute_b32 v5, v1, v3
	s_waitcnt lgkmcnt(0)
	v_add_f64 v[2:3], v[2:3], v[4:5]
	ds_bpermute_b32 v4, v6, v2
	ds_bpermute_b32 v5, v6, v3
	s_waitcnt lgkmcnt(0)
	v_add_f64 v[2:3], v[2:3], v[4:5]
	ds_bpermute_b32 v4, v7, v2
	ds_bpermute_b32 v5, v7, v3
	s_waitcnt lgkmcnt(0)
	v_add_f64 v[2:3], v[2:3], v[4:5]
	ds_bpermute_b32 v4, v8, v2
	ds_bpermute_b32 v5, v8, v3
	s_waitcnt lgkmcnt(0)
	v_add_f64 v[2:3], v[2:3], v[4:5]
	ds_bpermute_b32 v4, v9, v2
	ds_bpermute_b32 v5, v9, v3
	s_waitcnt lgkmcnt(0)
	v_add_f64 v[2:3], v[2:3], v[4:5]
	ds_bpermute_b32 v4, v10, v2
	ds_bpermute_b32 v5, v10, v3
	s_waitcnt lgkmcnt(0)
	v_add_f64 v[2:3], v[2:3], v[4:5]
	s_or_b64 exec, exec, s[2:3]
	v_cmp_eq_u32_e32 vcc, 0, v0
	s_and_saveexec_b64 s[2:3], vcc
	s_cbranch_execz .LBB20_25
.LBB20_28:
	s_load_dword s4, s[0:1], 0xd20
	s_load_dword s5, s[0:1], 0xd38
	s_load_dwordx2 s[2:3], s[0:1], 0xd30
	v_mov_b32_e32 v0, 0
	s_waitcnt lgkmcnt(0)
	s_add_i32 s0, s4, s18
	s_mul_i32 s0, s0, s5
	s_add_i32 s0, s0, s6
	s_ashr_i32 s1, s0, 31
	s_lshl_b64 s[0:1], s[0:1], 3
	s_add_u32 s0, s2, s0
	s_addc_u32 s1, s3, s1
	global_store_dwordx2 v0, v[2:3], s[0:1]
	s_endpgm
	.section	.rodata,"a",@progbits
	.p2align	6, 0x0
	.amdhsa_kernel _ZN2at6native12_GLOBAL__N_125multi_tensor_apply_kernelINS1_18TensorListMetadataILi1EEENS0_13LpNormFunctorIdLNS0_8NormTypeE0EdLi1ELi1ELi0EEEJPdiEEEvT_T0_DpT1_
		.amdhsa_group_segment_fixed_size 4096
		.amdhsa_private_segment_fixed_size 0
		.amdhsa_kernarg_size 3648
		.amdhsa_user_sgpr_count 2
		.amdhsa_user_sgpr_dispatch_ptr 0
		.amdhsa_user_sgpr_queue_ptr 0
		.amdhsa_user_sgpr_kernarg_segment_ptr 1
		.amdhsa_user_sgpr_dispatch_id 0
		.amdhsa_user_sgpr_kernarg_preload_length 0
		.amdhsa_user_sgpr_kernarg_preload_offset 0
		.amdhsa_user_sgpr_private_segment_size 0
		.amdhsa_uses_dynamic_stack 0
		.amdhsa_enable_private_segment 0
		.amdhsa_system_sgpr_workgroup_id_x 1
		.amdhsa_system_sgpr_workgroup_id_y 0
		.amdhsa_system_sgpr_workgroup_id_z 0
		.amdhsa_system_sgpr_workgroup_info 0
		.amdhsa_system_vgpr_workitem_id 0
		.amdhsa_next_free_vgpr 28
		.amdhsa_next_free_sgpr 22
		.amdhsa_accum_offset 28
		.amdhsa_reserve_vcc 1
		.amdhsa_float_round_mode_32 0
		.amdhsa_float_round_mode_16_64 0
		.amdhsa_float_denorm_mode_32 3
		.amdhsa_float_denorm_mode_16_64 3
		.amdhsa_dx10_clamp 1
		.amdhsa_ieee_mode 1
		.amdhsa_fp16_overflow 0
		.amdhsa_tg_split 0
		.amdhsa_exception_fp_ieee_invalid_op 0
		.amdhsa_exception_fp_denorm_src 0
		.amdhsa_exception_fp_ieee_div_zero 0
		.amdhsa_exception_fp_ieee_overflow 0
		.amdhsa_exception_fp_ieee_underflow 0
		.amdhsa_exception_fp_ieee_inexact 0
		.amdhsa_exception_int_div_zero 0
	.end_amdhsa_kernel
	.section	.text._ZN2at6native12_GLOBAL__N_125multi_tensor_apply_kernelINS1_18TensorListMetadataILi1EEENS0_13LpNormFunctorIdLNS0_8NormTypeE0EdLi1ELi1ELi0EEEJPdiEEEvT_T0_DpT1_,"axG",@progbits,_ZN2at6native12_GLOBAL__N_125multi_tensor_apply_kernelINS1_18TensorListMetadataILi1EEENS0_13LpNormFunctorIdLNS0_8NormTypeE0EdLi1ELi1ELi0EEEJPdiEEEvT_T0_DpT1_,comdat
.Lfunc_end20:
	.size	_ZN2at6native12_GLOBAL__N_125multi_tensor_apply_kernelINS1_18TensorListMetadataILi1EEENS0_13LpNormFunctorIdLNS0_8NormTypeE0EdLi1ELi1ELi0EEEJPdiEEEvT_T0_DpT1_, .Lfunc_end20-_ZN2at6native12_GLOBAL__N_125multi_tensor_apply_kernelINS1_18TensorListMetadataILi1EEENS0_13LpNormFunctorIdLNS0_8NormTypeE0EdLi1ELi1ELi0EEEJPdiEEEvT_T0_DpT1_
                                        ; -- End function
	.set _ZN2at6native12_GLOBAL__N_125multi_tensor_apply_kernelINS1_18TensorListMetadataILi1EEENS0_13LpNormFunctorIdLNS0_8NormTypeE0EdLi1ELi1ELi0EEEJPdiEEEvT_T0_DpT1_.num_vgpr, 28
	.set _ZN2at6native12_GLOBAL__N_125multi_tensor_apply_kernelINS1_18TensorListMetadataILi1EEENS0_13LpNormFunctorIdLNS0_8NormTypeE0EdLi1ELi1ELi0EEEJPdiEEEvT_T0_DpT1_.num_agpr, 0
	.set _ZN2at6native12_GLOBAL__N_125multi_tensor_apply_kernelINS1_18TensorListMetadataILi1EEENS0_13LpNormFunctorIdLNS0_8NormTypeE0EdLi1ELi1ELi0EEEJPdiEEEvT_T0_DpT1_.numbered_sgpr, 22
	.set _ZN2at6native12_GLOBAL__N_125multi_tensor_apply_kernelINS1_18TensorListMetadataILi1EEENS0_13LpNormFunctorIdLNS0_8NormTypeE0EdLi1ELi1ELi0EEEJPdiEEEvT_T0_DpT1_.num_named_barrier, 0
	.set _ZN2at6native12_GLOBAL__N_125multi_tensor_apply_kernelINS1_18TensorListMetadataILi1EEENS0_13LpNormFunctorIdLNS0_8NormTypeE0EdLi1ELi1ELi0EEEJPdiEEEvT_T0_DpT1_.private_seg_size, 0
	.set _ZN2at6native12_GLOBAL__N_125multi_tensor_apply_kernelINS1_18TensorListMetadataILi1EEENS0_13LpNormFunctorIdLNS0_8NormTypeE0EdLi1ELi1ELi0EEEJPdiEEEvT_T0_DpT1_.uses_vcc, 1
	.set _ZN2at6native12_GLOBAL__N_125multi_tensor_apply_kernelINS1_18TensorListMetadataILi1EEENS0_13LpNormFunctorIdLNS0_8NormTypeE0EdLi1ELi1ELi0EEEJPdiEEEvT_T0_DpT1_.uses_flat_scratch, 0
	.set _ZN2at6native12_GLOBAL__N_125multi_tensor_apply_kernelINS1_18TensorListMetadataILi1EEENS0_13LpNormFunctorIdLNS0_8NormTypeE0EdLi1ELi1ELi0EEEJPdiEEEvT_T0_DpT1_.has_dyn_sized_stack, 0
	.set _ZN2at6native12_GLOBAL__N_125multi_tensor_apply_kernelINS1_18TensorListMetadataILi1EEENS0_13LpNormFunctorIdLNS0_8NormTypeE0EdLi1ELi1ELi0EEEJPdiEEEvT_T0_DpT1_.has_recursion, 0
	.set _ZN2at6native12_GLOBAL__N_125multi_tensor_apply_kernelINS1_18TensorListMetadataILi1EEENS0_13LpNormFunctorIdLNS0_8NormTypeE0EdLi1ELi1ELi0EEEJPdiEEEvT_T0_DpT1_.has_indirect_call, 0
	.section	.AMDGPU.csdata,"",@progbits
; Kernel info:
; codeLenInByte = 1748
; TotalNumSgprs: 28
; NumVgprs: 28
; NumAgprs: 0
; TotalNumVgprs: 28
; ScratchSize: 0
; MemoryBound: 0
; FloatMode: 240
; IeeeMode: 1
; LDSByteSize: 4096 bytes/workgroup (compile time only)
; SGPRBlocks: 3
; VGPRBlocks: 3
; NumSGPRsForWavesPerEU: 28
; NumVGPRsForWavesPerEU: 28
; AccumOffset: 28
; Occupancy: 8
; WaveLimiterHint : 0
; COMPUTE_PGM_RSRC2:SCRATCH_EN: 0
; COMPUTE_PGM_RSRC2:USER_SGPR: 2
; COMPUTE_PGM_RSRC2:TRAP_HANDLER: 0
; COMPUTE_PGM_RSRC2:TGID_X_EN: 1
; COMPUTE_PGM_RSRC2:TGID_Y_EN: 0
; COMPUTE_PGM_RSRC2:TGID_Z_EN: 0
; COMPUTE_PGM_RSRC2:TIDIG_COMP_CNT: 0
; COMPUTE_PGM_RSRC3_GFX90A:ACCUM_OFFSET: 6
; COMPUTE_PGM_RSRC3_GFX90A:TG_SPLIT: 0
	.section	.text._ZN2at6native12_GLOBAL__N_125multi_tensor_apply_kernelINS1_18TensorListMetadataILi1EEENS0_13LpNormFunctorIdLNS0_8NormTypeE1EdLi1ELi1ELi0EEEJPdiEEEvT_T0_DpT1_,"axG",@progbits,_ZN2at6native12_GLOBAL__N_125multi_tensor_apply_kernelINS1_18TensorListMetadataILi1EEENS0_13LpNormFunctorIdLNS0_8NormTypeE1EdLi1ELi1ELi0EEEJPdiEEEvT_T0_DpT1_,comdat
	.globl	_ZN2at6native12_GLOBAL__N_125multi_tensor_apply_kernelINS1_18TensorListMetadataILi1EEENS0_13LpNormFunctorIdLNS0_8NormTypeE1EdLi1ELi1ELi0EEEJPdiEEEvT_T0_DpT1_ ; -- Begin function _ZN2at6native12_GLOBAL__N_125multi_tensor_apply_kernelINS1_18TensorListMetadataILi1EEENS0_13LpNormFunctorIdLNS0_8NormTypeE1EdLi1ELi1ELi0EEEJPdiEEEvT_T0_DpT1_
	.p2align	8
	.type	_ZN2at6native12_GLOBAL__N_125multi_tensor_apply_kernelINS1_18TensorListMetadataILi1EEENS0_13LpNormFunctorIdLNS0_8NormTypeE1EdLi1ELi1ELi0EEEJPdiEEEvT_T0_DpT1_,@function
_ZN2at6native12_GLOBAL__N_125multi_tensor_apply_kernelINS1_18TensorListMetadataILi1EEENS0_13LpNormFunctorIdLNS0_8NormTypeE1EdLi1ELi1ELi0EEEJPdiEEEvT_T0_DpT1_: ; @_ZN2at6native12_GLOBAL__N_125multi_tensor_apply_kernelINS1_18TensorListMetadataILi1EEENS0_13LpNormFunctorIdLNS0_8NormTypeE1EdLi1ELi1ELi0EEEJPdiEEEvT_T0_DpT1_
; %bb.0:
	v_mov_b32_e32 v1, s2
	global_load_ubyte v1, v1, s[0:1] offset:1760
	s_add_u32 s3, s0, s2
	s_mul_hi_u32 s4, s2, 3
	s_mul_i32 s2, s2, 3
	s_addc_u32 s5, s1, 0
	s_add_u32 s2, s3, s2
	s_addc_u32 s3, s5, s4
	s_load_dword s4, s[2:3], 0x820
	s_mov_b32 s15, 0
	s_waitcnt vmcnt(0)
	v_readfirstlane_b32 s2, v1
	s_and_b32 s18, s2, 0xff
	s_lshl_b32 s5, s18, 3
	s_load_dwordx2 s[2:3], s[0:1], s5 offset:0x370
	s_load_dwordx2 s[6:7], s[0:1], s5 offset:0x0
	s_waitcnt lgkmcnt(0)
	s_ashr_i32 s5, s4, 31
	s_lshl_b64 s[10:11], s[4:5], 16
	s_lshl_b64 s[8:9], s[4:5], 19
	s_add_u32 s12, s6, s8
	s_addc_u32 s13, s7, s9
	s_sub_u32 s10, s2, s10
	s_subb_u32 s11, s3, s11
	s_and_b32 s14, s2, 3
	s_and_b32 s2, s12, 31
	s_mov_b32 s3, s15
	s_or_b64 s[2:3], s[14:15], s[2:3]
	s_cmp_eq_u64 s[2:3], 0
	s_cbranch_scc1 .LBB21_12
; %bb.1:
	v_cmp_lt_i64_e64 s[2:3], s[10:11], 1
	s_and_b64 vcc, exec, s[2:3]
	s_cbranch_vccnz .LBB21_13
; %bb.2:
	v_mov_b64_e32 v[2:3], 0x10000
	v_cmp_lt_i64_e32 vcc, s[10:11], v[2:3]
	s_and_b64 s[2:3], vcc, exec
	s_load_dword s2, s[0:1], 0xd4c
	v_mov_b32_e32 v11, 0
	v_mov_b32_e32 v10, v11
	s_cselect_b32 s15, s11, 0
	s_cselect_b32 s14, s10, 0x10000
	s_waitcnt lgkmcnt(0)
	s_and_b32 s16, s2, 0xffff
	v_mov_b32_e32 v12, v11
	v_mov_b32_e32 v13, v11
	;; [unrolled: 1-line block ×6, first 2 shown]
	v_mov_b64_e32 v[2:3], v[10:11]
	s_mov_b32 s5, 0x10000
	s_lshl_b32 s19, s16, 2
	v_lshl_add_u32 v18, s16, 1, v0
	v_mad_u64_u32 v[20:21], s[2:3], s16, 3, v[0:1]
	v_add_u32_e32 v22, s16, v0
	s_mov_b64 s[16:17], 0
	v_mov_b64_e32 v[4:5], v[12:13]
	v_mov_b64_e32 v[6:7], v[14:15]
	;; [unrolled: 1-line block ×3, first 2 shown]
	s_branch .LBB21_4
.LBB21_3:                               ;   in Loop: Header=BB21_4 Depth=1
	s_or_b64 exec, exec, s[2:3]
	s_add_u32 s16, s16, s19
	s_addc_u32 s17, s17, 0
	v_mov_b64_e32 v[12:13], s[14:15]
	v_cmp_lt_i64_e32 vcc, s[16:17], v[12:13]
	s_cbranch_vccz .LBB21_14
.LBB21_4:                               ; =>This Inner Loop Header: Depth=1
	v_add_u32_e32 v10, s16, v0
	v_cmp_gt_i64_e32 vcc, s[10:11], v[10:11]
	v_cmp_gt_u32_e64 s[2:3], s5, v10
	s_and_b64 s[20:21], s[2:3], vcc
	s_and_saveexec_b64 s[2:3], s[20:21]
	s_cbranch_execz .LBB21_6
; %bb.5:                                ;   in Loop: Header=BB21_4 Depth=1
	v_lshl_add_u64 v[12:13], v[10:11], 3, s[12:13]
	global_load_dwordx2 v[12:13], v[12:13], off
	s_waitcnt vmcnt(0)
	v_add_f64 v[2:3], v[2:3], |v[12:13]|
.LBB21_6:                               ;   in Loop: Header=BB21_4 Depth=1
	s_or_b64 exec, exec, s[2:3]
	v_add_u32_e32 v10, s16, v22
	v_cmp_gt_i64_e32 vcc, s[10:11], v[10:11]
	v_cmp_gt_u32_e64 s[2:3], s5, v10
	s_and_b64 s[20:21], s[2:3], vcc
	s_and_saveexec_b64 s[2:3], s[20:21]
	s_cbranch_execz .LBB21_8
; %bb.7:                                ;   in Loop: Header=BB21_4 Depth=1
	v_lshl_add_u64 v[12:13], v[10:11], 3, s[12:13]
	global_load_dwordx2 v[12:13], v[12:13], off
	s_waitcnt vmcnt(0)
	v_add_f64 v[4:5], v[4:5], |v[12:13]|
.LBB21_8:                               ;   in Loop: Header=BB21_4 Depth=1
	s_or_b64 exec, exec, s[2:3]
	v_add_u32_e32 v10, s16, v18
	v_cmp_gt_i64_e32 vcc, s[10:11], v[10:11]
	v_cmp_gt_u32_e64 s[2:3], s5, v10
	s_and_b64 s[20:21], s[2:3], vcc
	s_and_saveexec_b64 s[2:3], s[20:21]
	s_cbranch_execz .LBB21_10
; %bb.9:                                ;   in Loop: Header=BB21_4 Depth=1
	v_lshl_add_u64 v[12:13], v[10:11], 3, s[12:13]
	global_load_dwordx2 v[12:13], v[12:13], off
	s_waitcnt vmcnt(0)
	v_add_f64 v[6:7], v[6:7], |v[12:13]|
.LBB21_10:                              ;   in Loop: Header=BB21_4 Depth=1
	s_or_b64 exec, exec, s[2:3]
	v_add_u32_e32 v10, s16, v20
	v_cmp_gt_i64_e32 vcc, s[10:11], v[10:11]
	v_cmp_gt_u32_e64 s[2:3], s5, v10
	s_and_b64 s[20:21], s[2:3], vcc
	s_and_saveexec_b64 s[2:3], s[20:21]
	s_cbranch_execz .LBB21_3
; %bb.11:                               ;   in Loop: Header=BB21_4 Depth=1
	v_lshl_add_u64 v[12:13], v[10:11], 3, s[12:13]
	global_load_dwordx2 v[12:13], v[12:13], off
	s_waitcnt vmcnt(0)
	v_add_f64 v[8:9], v[8:9], |v[12:13]|
	s_branch .LBB21_3
.LBB21_12:
                                        ; implicit-def: $vgpr2_vgpr3_vgpr4_vgpr5_vgpr6_vgpr7_vgpr8_vgpr9
	s_branch .LBB21_15
.LBB21_13:
	v_mov_b32_e32 v2, 0
	v_mov_b32_e32 v3, v2
	;; [unrolled: 1-line block ×8, first 2 shown]
.LBB21_14:
	s_cbranch_execnz .LBB21_20
.LBB21_15:
	v_mov_b64_e32 v[4:5], 0x10000
	v_cmp_lt_i64_e32 vcc, s[10:11], v[4:5]
	s_and_b64 s[12:13], vcc, exec
	v_mov_b32_e32 v3, 0
	s_cselect_b32 s11, s11, 0
	s_cselect_b32 s10, s10, 0x10000
	v_lshlrev_b32_e32 v2, 2, v0
	s_mov_b32 s3, 0
	v_cmp_gt_i64_e32 vcc, s[10:11], v[2:3]
	v_mov_b32_e32 v2, v3
	v_mov_b32_e32 v4, v3
	;; [unrolled: 1-line block ×7, first 2 shown]
	s_and_saveexec_b64 s[12:13], vcc
	s_cbranch_execz .LBB21_19
; %bb.16:
	s_load_dword s2, s[0:1], 0xd4c
	v_lshlrev_b32_e32 v2, 5, v0
	v_mov_b32_e32 v1, v3
	s_mov_b32 s15, s3
	v_mov_b64_e32 v[12:13], v[0:1]
	s_waitcnt lgkmcnt(0)
	s_and_b32 s2, s2, 0xffff
	s_add_u32 s6, s6, s8
	s_addc_u32 s7, s7, s9
	v_lshl_add_u64 v[2:3], s[6:7], 0, v[2:3]
	s_lshl_b32 s14, s2, 5
	v_lshl_add_u64 v[10:11], v[2:3], 0, 16
	v_mov_b64_e32 v[2:3], 0
	s_mov_b64 s[6:7], 0
	v_mov_b64_e32 v[4:5], 0
	v_mov_b64_e32 v[6:7], 0
	;; [unrolled: 1-line block ×3, first 2 shown]
.LBB21_17:                              ; =>This Inner Loop Header: Depth=1
	global_load_dwordx4 v[14:17], v[10:11], off offset:-16
	global_load_dwordx4 v[18:21], v[10:11], off
	v_lshl_add_u64 v[12:13], v[12:13], 0, s[2:3]
	v_lshlrev_b64 v[22:23], 2, v[12:13]
	v_cmp_le_i64_e32 vcc, s[10:11], v[22:23]
	v_lshl_add_u64 v[10:11], v[10:11], 0, s[14:15]
	s_or_b64 s[6:7], vcc, s[6:7]
	s_waitcnt vmcnt(1)
	v_add_f64 v[2:3], v[2:3], |v[14:15]|
	v_add_f64 v[4:5], v[4:5], |v[16:17]|
	s_waitcnt vmcnt(0)
	v_add_f64 v[6:7], v[6:7], |v[18:19]|
	v_add_f64 v[8:9], v[8:9], |v[20:21]|
	s_andn2_b64 exec, exec, s[6:7]
	s_cbranch_execnz .LBB21_17
; %bb.18:
	s_or_b64 exec, exec, s[6:7]
.LBB21_19:
	s_or_b64 exec, exec, s[12:13]
.LBB21_20:
	v_add_f64 v[2:3], v[2:3], 0
	v_add_f64 v[2:3], v[4:5], v[2:3]
	v_mbcnt_lo_u32_b32 v1, -1, 0
	v_add_f64 v[2:3], v[6:7], v[2:3]
	v_mbcnt_hi_u32_b32 v10, -1, v1
	v_mov_b32_e32 v1, 0x80
	v_add_f64 v[2:3], v[8:9], v[2:3]
	v_lshl_or_b32 v1, v10, 2, v1
	ds_bpermute_b32 v4, v1, v2
	ds_bpermute_b32 v5, v1, v3
	v_and_b32_e32 v12, 63, v10
	v_cmp_gt_u32_e32 vcc, 48, v12
	v_and_b32_e32 v11, 63, v0
	s_waitcnt lgkmcnt(0)
	v_add_f64 v[2:3], v[2:3], v[4:5]
	v_cndmask_b32_e64 v4, 0, 16, vcc
	v_add_lshl_u32 v6, v4, v10, 2
	ds_bpermute_b32 v4, v6, v2
	ds_bpermute_b32 v5, v6, v3
	v_cmp_gt_u32_e32 vcc, 56, v12
	s_barrier
	s_waitcnt lgkmcnt(0)
	v_add_f64 v[2:3], v[2:3], v[4:5]
	v_cndmask_b32_e64 v4, 0, 8, vcc
	v_add_lshl_u32 v7, v4, v10, 2
	ds_bpermute_b32 v4, v7, v2
	ds_bpermute_b32 v5, v7, v3
	v_cmp_gt_u32_e32 vcc, 60, v12
	s_waitcnt lgkmcnt(0)
	v_add_f64 v[2:3], v[2:3], v[4:5]
	v_cndmask_b32_e64 v4, 0, 4, vcc
	v_add_lshl_u32 v8, v4, v10, 2
	ds_bpermute_b32 v4, v8, v2
	ds_bpermute_b32 v5, v8, v3
	v_cmp_gt_u32_e32 vcc, 62, v12
	s_waitcnt lgkmcnt(0)
	v_add_f64 v[2:3], v[2:3], v[4:5]
	v_cndmask_b32_e64 v4, 0, 2, vcc
	v_add_lshl_u32 v9, v4, v10, 2
	ds_bpermute_b32 v4, v9, v2
	ds_bpermute_b32 v5, v9, v3
	v_cmp_ne_u32_e32 vcc, 63, v12
	s_waitcnt lgkmcnt(0)
	v_add_f64 v[2:3], v[2:3], v[4:5]
	v_addc_co_u32_e32 v4, vcc, 0, v10, vcc
	v_lshlrev_b32_e32 v10, 2, v4
	ds_bpermute_b32 v4, v10, v2
	ds_bpermute_b32 v5, v10, v3
	v_cmp_eq_u32_e32 vcc, 0, v11
	s_and_saveexec_b64 s[2:3], vcc
	s_cbranch_execz .LBB21_22
; %bb.21:
	v_lshrrev_b32_e32 v12, 3, v0
	s_waitcnt lgkmcnt(0)
	v_add_f64 v[2:3], v[2:3], v[4:5]
	ds_write_b64 v12, v[2:3]
.LBB21_22:
	s_or_b64 exec, exec, s[2:3]
	s_waitcnt lgkmcnt(0)
	s_barrier
	s_load_dword s2, s[0:1], 0xd4c
	v_mov_b64_e32 v[2:3], 0
	s_waitcnt lgkmcnt(0)
	s_bfe_u32 s2, s2, 0xa0006
	v_cmp_gt_u32_e32 vcc, s2, v0
	s_and_saveexec_b64 s[2:3], vcc
	s_cbranch_execnz .LBB21_26
; %bb.23:
	s_or_b64 exec, exec, s[2:3]
	v_cmp_gt_u32_e32 vcc, 64, v0
	s_and_saveexec_b64 s[2:3], vcc
	s_cbranch_execnz .LBB21_27
.LBB21_24:
	s_or_b64 exec, exec, s[2:3]
	v_cmp_eq_u32_e32 vcc, 0, v0
	s_and_saveexec_b64 s[2:3], vcc
	s_cbranch_execnz .LBB21_28
.LBB21_25:
	s_endpgm
.LBB21_26:
	v_lshlrev_b32_e32 v2, 3, v11
	ds_read_b64 v[2:3], v2
	s_or_b64 exec, exec, s[2:3]
	v_cmp_gt_u32_e32 vcc, 64, v0
	s_and_saveexec_b64 s[2:3], vcc
	s_cbranch_execz .LBB21_24
.LBB21_27:
	s_waitcnt lgkmcnt(0)
	ds_bpermute_b32 v4, v1, v2
	ds_bpermute_b32 v5, v1, v3
	s_waitcnt lgkmcnt(0)
	v_add_f64 v[2:3], v[2:3], v[4:5]
	ds_bpermute_b32 v4, v6, v2
	ds_bpermute_b32 v5, v6, v3
	s_waitcnt lgkmcnt(0)
	v_add_f64 v[2:3], v[2:3], v[4:5]
	;; [unrolled: 4-line block ×6, first 2 shown]
	s_or_b64 exec, exec, s[2:3]
	v_cmp_eq_u32_e32 vcc, 0, v0
	s_and_saveexec_b64 s[2:3], vcc
	s_cbranch_execz .LBB21_25
.LBB21_28:
	s_load_dword s5, s[0:1], 0xd20
	s_load_dword s6, s[0:1], 0xd38
	s_load_dwordx2 s[2:3], s[0:1], 0xd30
	v_mov_b32_e32 v0, 0
	s_waitcnt lgkmcnt(0)
	s_add_i32 s0, s5, s18
	s_mul_i32 s0, s0, s6
	s_add_i32 s0, s0, s4
	s_ashr_i32 s1, s0, 31
	s_lshl_b64 s[0:1], s[0:1], 3
	s_add_u32 s0, s2, s0
	s_addc_u32 s1, s3, s1
	global_store_dwordx2 v0, v[2:3], s[0:1]
	s_endpgm
	.section	.rodata,"a",@progbits
	.p2align	6, 0x0
	.amdhsa_kernel _ZN2at6native12_GLOBAL__N_125multi_tensor_apply_kernelINS1_18TensorListMetadataILi1EEENS0_13LpNormFunctorIdLNS0_8NormTypeE1EdLi1ELi1ELi0EEEJPdiEEEvT_T0_DpT1_
		.amdhsa_group_segment_fixed_size 4096
		.amdhsa_private_segment_fixed_size 0
		.amdhsa_kernarg_size 3648
		.amdhsa_user_sgpr_count 2
		.amdhsa_user_sgpr_dispatch_ptr 0
		.amdhsa_user_sgpr_queue_ptr 0
		.amdhsa_user_sgpr_kernarg_segment_ptr 1
		.amdhsa_user_sgpr_dispatch_id 0
		.amdhsa_user_sgpr_kernarg_preload_length 0
		.amdhsa_user_sgpr_kernarg_preload_offset 0
		.amdhsa_user_sgpr_private_segment_size 0
		.amdhsa_uses_dynamic_stack 0
		.amdhsa_enable_private_segment 0
		.amdhsa_system_sgpr_workgroup_id_x 1
		.amdhsa_system_sgpr_workgroup_id_y 0
		.amdhsa_system_sgpr_workgroup_id_z 0
		.amdhsa_system_sgpr_workgroup_info 0
		.amdhsa_system_vgpr_workitem_id 0
		.amdhsa_next_free_vgpr 24
		.amdhsa_next_free_sgpr 22
		.amdhsa_accum_offset 24
		.amdhsa_reserve_vcc 1
		.amdhsa_float_round_mode_32 0
		.amdhsa_float_round_mode_16_64 0
		.amdhsa_float_denorm_mode_32 3
		.amdhsa_float_denorm_mode_16_64 3
		.amdhsa_dx10_clamp 1
		.amdhsa_ieee_mode 1
		.amdhsa_fp16_overflow 0
		.amdhsa_tg_split 0
		.amdhsa_exception_fp_ieee_invalid_op 0
		.amdhsa_exception_fp_denorm_src 0
		.amdhsa_exception_fp_ieee_div_zero 0
		.amdhsa_exception_fp_ieee_overflow 0
		.amdhsa_exception_fp_ieee_underflow 0
		.amdhsa_exception_fp_ieee_inexact 0
		.amdhsa_exception_int_div_zero 0
	.end_amdhsa_kernel
	.section	.text._ZN2at6native12_GLOBAL__N_125multi_tensor_apply_kernelINS1_18TensorListMetadataILi1EEENS0_13LpNormFunctorIdLNS0_8NormTypeE1EdLi1ELi1ELi0EEEJPdiEEEvT_T0_DpT1_,"axG",@progbits,_ZN2at6native12_GLOBAL__N_125multi_tensor_apply_kernelINS1_18TensorListMetadataILi1EEENS0_13LpNormFunctorIdLNS0_8NormTypeE1EdLi1ELi1ELi0EEEJPdiEEEvT_T0_DpT1_,comdat
.Lfunc_end21:
	.size	_ZN2at6native12_GLOBAL__N_125multi_tensor_apply_kernelINS1_18TensorListMetadataILi1EEENS0_13LpNormFunctorIdLNS0_8NormTypeE1EdLi1ELi1ELi0EEEJPdiEEEvT_T0_DpT1_, .Lfunc_end21-_ZN2at6native12_GLOBAL__N_125multi_tensor_apply_kernelINS1_18TensorListMetadataILi1EEENS0_13LpNormFunctorIdLNS0_8NormTypeE1EdLi1ELi1ELi0EEEJPdiEEEvT_T0_DpT1_
                                        ; -- End function
	.set _ZN2at6native12_GLOBAL__N_125multi_tensor_apply_kernelINS1_18TensorListMetadataILi1EEENS0_13LpNormFunctorIdLNS0_8NormTypeE1EdLi1ELi1ELi0EEEJPdiEEEvT_T0_DpT1_.num_vgpr, 24
	.set _ZN2at6native12_GLOBAL__N_125multi_tensor_apply_kernelINS1_18TensorListMetadataILi1EEENS0_13LpNormFunctorIdLNS0_8NormTypeE1EdLi1ELi1ELi0EEEJPdiEEEvT_T0_DpT1_.num_agpr, 0
	.set _ZN2at6native12_GLOBAL__N_125multi_tensor_apply_kernelINS1_18TensorListMetadataILi1EEENS0_13LpNormFunctorIdLNS0_8NormTypeE1EdLi1ELi1ELi0EEEJPdiEEEvT_T0_DpT1_.numbered_sgpr, 22
	.set _ZN2at6native12_GLOBAL__N_125multi_tensor_apply_kernelINS1_18TensorListMetadataILi1EEENS0_13LpNormFunctorIdLNS0_8NormTypeE1EdLi1ELi1ELi0EEEJPdiEEEvT_T0_DpT1_.num_named_barrier, 0
	.set _ZN2at6native12_GLOBAL__N_125multi_tensor_apply_kernelINS1_18TensorListMetadataILi1EEENS0_13LpNormFunctorIdLNS0_8NormTypeE1EdLi1ELi1ELi0EEEJPdiEEEvT_T0_DpT1_.private_seg_size, 0
	.set _ZN2at6native12_GLOBAL__N_125multi_tensor_apply_kernelINS1_18TensorListMetadataILi1EEENS0_13LpNormFunctorIdLNS0_8NormTypeE1EdLi1ELi1ELi0EEEJPdiEEEvT_T0_DpT1_.uses_vcc, 1
	.set _ZN2at6native12_GLOBAL__N_125multi_tensor_apply_kernelINS1_18TensorListMetadataILi1EEENS0_13LpNormFunctorIdLNS0_8NormTypeE1EdLi1ELi1ELi0EEEJPdiEEEvT_T0_DpT1_.uses_flat_scratch, 0
	.set _ZN2at6native12_GLOBAL__N_125multi_tensor_apply_kernelINS1_18TensorListMetadataILi1EEENS0_13LpNormFunctorIdLNS0_8NormTypeE1EdLi1ELi1ELi0EEEJPdiEEEvT_T0_DpT1_.has_dyn_sized_stack, 0
	.set _ZN2at6native12_GLOBAL__N_125multi_tensor_apply_kernelINS1_18TensorListMetadataILi1EEENS0_13LpNormFunctorIdLNS0_8NormTypeE1EdLi1ELi1ELi0EEEJPdiEEEvT_T0_DpT1_.has_recursion, 0
	.set _ZN2at6native12_GLOBAL__N_125multi_tensor_apply_kernelINS1_18TensorListMetadataILi1EEENS0_13LpNormFunctorIdLNS0_8NormTypeE1EdLi1ELi1ELi0EEEJPdiEEEvT_T0_DpT1_.has_indirect_call, 0
	.section	.AMDGPU.csdata,"",@progbits
; Kernel info:
; codeLenInByte = 1596
; TotalNumSgprs: 28
; NumVgprs: 24
; NumAgprs: 0
; TotalNumVgprs: 24
; ScratchSize: 0
; MemoryBound: 0
; FloatMode: 240
; IeeeMode: 1
; LDSByteSize: 4096 bytes/workgroup (compile time only)
; SGPRBlocks: 3
; VGPRBlocks: 2
; NumSGPRsForWavesPerEU: 28
; NumVGPRsForWavesPerEU: 24
; AccumOffset: 24
; Occupancy: 8
; WaveLimiterHint : 0
; COMPUTE_PGM_RSRC2:SCRATCH_EN: 0
; COMPUTE_PGM_RSRC2:USER_SGPR: 2
; COMPUTE_PGM_RSRC2:TRAP_HANDLER: 0
; COMPUTE_PGM_RSRC2:TGID_X_EN: 1
; COMPUTE_PGM_RSRC2:TGID_Y_EN: 0
; COMPUTE_PGM_RSRC2:TGID_Z_EN: 0
; COMPUTE_PGM_RSRC2:TIDIG_COMP_CNT: 0
; COMPUTE_PGM_RSRC3_GFX90A:ACCUM_OFFSET: 5
; COMPUTE_PGM_RSRC3_GFX90A:TG_SPLIT: 0
	.section	.text._ZN2at6native12_GLOBAL__N_125multi_tensor_apply_kernelINS1_18TensorListMetadataILi1EEENS0_13LpNormFunctorIdLNS0_8NormTypeE2EdLi1ELi1ELi0EEEJPdiEEEvT_T0_DpT1_,"axG",@progbits,_ZN2at6native12_GLOBAL__N_125multi_tensor_apply_kernelINS1_18TensorListMetadataILi1EEENS0_13LpNormFunctorIdLNS0_8NormTypeE2EdLi1ELi1ELi0EEEJPdiEEEvT_T0_DpT1_,comdat
	.globl	_ZN2at6native12_GLOBAL__N_125multi_tensor_apply_kernelINS1_18TensorListMetadataILi1EEENS0_13LpNormFunctorIdLNS0_8NormTypeE2EdLi1ELi1ELi0EEEJPdiEEEvT_T0_DpT1_ ; -- Begin function _ZN2at6native12_GLOBAL__N_125multi_tensor_apply_kernelINS1_18TensorListMetadataILi1EEENS0_13LpNormFunctorIdLNS0_8NormTypeE2EdLi1ELi1ELi0EEEJPdiEEEvT_T0_DpT1_
	.p2align	8
	.type	_ZN2at6native12_GLOBAL__N_125multi_tensor_apply_kernelINS1_18TensorListMetadataILi1EEENS0_13LpNormFunctorIdLNS0_8NormTypeE2EdLi1ELi1ELi0EEEJPdiEEEvT_T0_DpT1_,@function
_ZN2at6native12_GLOBAL__N_125multi_tensor_apply_kernelINS1_18TensorListMetadataILi1EEENS0_13LpNormFunctorIdLNS0_8NormTypeE2EdLi1ELi1ELi0EEEJPdiEEEvT_T0_DpT1_: ; @_ZN2at6native12_GLOBAL__N_125multi_tensor_apply_kernelINS1_18TensorListMetadataILi1EEENS0_13LpNormFunctorIdLNS0_8NormTypeE2EdLi1ELi1ELi0EEEJPdiEEEvT_T0_DpT1_
; %bb.0:
	v_mov_b32_e32 v1, s2
	global_load_ubyte v1, v1, s[0:1] offset:1760
	s_add_u32 s3, s0, s2
	s_mul_hi_u32 s4, s2, 3
	s_mul_i32 s2, s2, 3
	s_addc_u32 s5, s1, 0
	s_add_u32 s2, s3, s2
	s_addc_u32 s3, s5, s4
	s_load_dword s4, s[2:3], 0x820
	s_mov_b32 s15, 0
	s_waitcnt vmcnt(0)
	v_readfirstlane_b32 s2, v1
	s_and_b32 s18, s2, 0xff
	s_lshl_b32 s5, s18, 3
	s_load_dwordx2 s[2:3], s[0:1], s5 offset:0x370
	s_load_dwordx2 s[6:7], s[0:1], s5 offset:0x0
	s_waitcnt lgkmcnt(0)
	s_ashr_i32 s5, s4, 31
	s_lshl_b64 s[10:11], s[4:5], 16
	s_lshl_b64 s[8:9], s[4:5], 19
	s_add_u32 s12, s6, s8
	s_addc_u32 s13, s7, s9
	s_sub_u32 s10, s2, s10
	s_subb_u32 s11, s3, s11
	s_and_b32 s14, s2, 3
	s_and_b32 s2, s12, 31
	s_mov_b32 s3, s15
	s_or_b64 s[2:3], s[14:15], s[2:3]
	s_cmp_eq_u64 s[2:3], 0
	s_cbranch_scc1 .LBB22_12
; %bb.1:
	v_cmp_lt_i64_e64 s[2:3], s[10:11], 1
	s_and_b64 vcc, exec, s[2:3]
	s_cbranch_vccnz .LBB22_13
; %bb.2:
	v_mov_b64_e32 v[2:3], 0x10000
	v_cmp_lt_i64_e32 vcc, s[10:11], v[2:3]
	s_and_b64 s[2:3], vcc, exec
	s_load_dword s2, s[0:1], 0xd4c
	v_mov_b32_e32 v11, 0
	v_mov_b32_e32 v10, v11
	s_cselect_b32 s15, s11, 0
	s_cselect_b32 s14, s10, 0x10000
	s_waitcnt lgkmcnt(0)
	s_and_b32 s16, s2, 0xffff
	v_mov_b32_e32 v12, v11
	v_mov_b32_e32 v13, v11
	;; [unrolled: 1-line block ×6, first 2 shown]
	v_mov_b64_e32 v[2:3], v[10:11]
	s_mov_b32 s5, 0x10000
	s_lshl_b32 s19, s16, 2
	v_lshl_add_u32 v18, s16, 1, v0
	v_mad_u64_u32 v[20:21], s[2:3], s16, 3, v[0:1]
	v_add_u32_e32 v22, s16, v0
	s_mov_b64 s[16:17], 0
	v_mov_b64_e32 v[4:5], v[12:13]
	v_mov_b64_e32 v[6:7], v[14:15]
	v_mov_b64_e32 v[8:9], v[16:17]
	s_branch .LBB22_4
.LBB22_3:                               ;   in Loop: Header=BB22_4 Depth=1
	s_or_b64 exec, exec, s[2:3]
	s_add_u32 s16, s16, s19
	s_addc_u32 s17, s17, 0
	v_mov_b64_e32 v[12:13], s[14:15]
	v_cmp_lt_i64_e32 vcc, s[16:17], v[12:13]
	s_cbranch_vccz .LBB22_14
.LBB22_4:                               ; =>This Inner Loop Header: Depth=1
	v_add_u32_e32 v10, s16, v0
	v_cmp_gt_i64_e32 vcc, s[10:11], v[10:11]
	v_cmp_gt_u32_e64 s[2:3], s5, v10
	s_and_b64 s[20:21], s[2:3], vcc
	s_and_saveexec_b64 s[2:3], s[20:21]
	s_cbranch_execz .LBB22_6
; %bb.5:                                ;   in Loop: Header=BB22_4 Depth=1
	v_lshl_add_u64 v[12:13], v[10:11], 3, s[12:13]
	global_load_dwordx2 v[12:13], v[12:13], off
	s_waitcnt vmcnt(0)
	v_fmac_f64_e32 v[2:3], v[12:13], v[12:13]
.LBB22_6:                               ;   in Loop: Header=BB22_4 Depth=1
	s_or_b64 exec, exec, s[2:3]
	v_add_u32_e32 v10, s16, v22
	v_cmp_gt_i64_e32 vcc, s[10:11], v[10:11]
	v_cmp_gt_u32_e64 s[2:3], s5, v10
	s_and_b64 s[20:21], s[2:3], vcc
	s_and_saveexec_b64 s[2:3], s[20:21]
	s_cbranch_execz .LBB22_8
; %bb.7:                                ;   in Loop: Header=BB22_4 Depth=1
	v_lshl_add_u64 v[12:13], v[10:11], 3, s[12:13]
	global_load_dwordx2 v[12:13], v[12:13], off
	s_waitcnt vmcnt(0)
	v_fmac_f64_e32 v[4:5], v[12:13], v[12:13]
.LBB22_8:                               ;   in Loop: Header=BB22_4 Depth=1
	s_or_b64 exec, exec, s[2:3]
	v_add_u32_e32 v10, s16, v18
	v_cmp_gt_i64_e32 vcc, s[10:11], v[10:11]
	v_cmp_gt_u32_e64 s[2:3], s5, v10
	s_and_b64 s[20:21], s[2:3], vcc
	s_and_saveexec_b64 s[2:3], s[20:21]
	s_cbranch_execz .LBB22_10
; %bb.9:                                ;   in Loop: Header=BB22_4 Depth=1
	v_lshl_add_u64 v[12:13], v[10:11], 3, s[12:13]
	global_load_dwordx2 v[12:13], v[12:13], off
	s_waitcnt vmcnt(0)
	v_fmac_f64_e32 v[6:7], v[12:13], v[12:13]
.LBB22_10:                              ;   in Loop: Header=BB22_4 Depth=1
	s_or_b64 exec, exec, s[2:3]
	v_add_u32_e32 v10, s16, v20
	v_cmp_gt_i64_e32 vcc, s[10:11], v[10:11]
	v_cmp_gt_u32_e64 s[2:3], s5, v10
	s_and_b64 s[20:21], s[2:3], vcc
	s_and_saveexec_b64 s[2:3], s[20:21]
	s_cbranch_execz .LBB22_3
; %bb.11:                               ;   in Loop: Header=BB22_4 Depth=1
	v_lshl_add_u64 v[12:13], v[10:11], 3, s[12:13]
	global_load_dwordx2 v[12:13], v[12:13], off
	s_waitcnt vmcnt(0)
	v_fmac_f64_e32 v[8:9], v[12:13], v[12:13]
	s_branch .LBB22_3
.LBB22_12:
                                        ; implicit-def: $vgpr2_vgpr3_vgpr4_vgpr5_vgpr6_vgpr7_vgpr8_vgpr9
	s_branch .LBB22_15
.LBB22_13:
	v_mov_b32_e32 v2, 0
	v_mov_b32_e32 v3, v2
	;; [unrolled: 1-line block ×8, first 2 shown]
.LBB22_14:
	s_cbranch_execnz .LBB22_20
.LBB22_15:
	v_mov_b64_e32 v[4:5], 0x10000
	v_cmp_lt_i64_e32 vcc, s[10:11], v[4:5]
	s_and_b64 s[12:13], vcc, exec
	v_mov_b32_e32 v3, 0
	s_cselect_b32 s11, s11, 0
	s_cselect_b32 s10, s10, 0x10000
	v_lshlrev_b32_e32 v2, 2, v0
	s_mov_b32 s3, 0
	v_cmp_gt_i64_e32 vcc, s[10:11], v[2:3]
	v_mov_b32_e32 v2, v3
	v_mov_b32_e32 v4, v3
	;; [unrolled: 1-line block ×7, first 2 shown]
	s_and_saveexec_b64 s[12:13], vcc
	s_cbranch_execz .LBB22_19
; %bb.16:
	s_load_dword s2, s[0:1], 0xd4c
	v_lshlrev_b32_e32 v2, 5, v0
	v_mov_b32_e32 v1, v3
	s_mov_b32 s15, s3
	v_mov_b64_e32 v[12:13], v[0:1]
	s_waitcnt lgkmcnt(0)
	s_and_b32 s2, s2, 0xffff
	s_add_u32 s6, s6, s8
	s_addc_u32 s7, s7, s9
	v_lshl_add_u64 v[2:3], s[6:7], 0, v[2:3]
	s_lshl_b32 s14, s2, 5
	v_lshl_add_u64 v[10:11], v[2:3], 0, 16
	v_mov_b64_e32 v[2:3], 0
	s_mov_b64 s[6:7], 0
	v_mov_b64_e32 v[4:5], 0
	v_mov_b64_e32 v[6:7], 0
	;; [unrolled: 1-line block ×3, first 2 shown]
.LBB22_17:                              ; =>This Inner Loop Header: Depth=1
	global_load_dwordx4 v[14:17], v[10:11], off offset:-16
	global_load_dwordx4 v[18:21], v[10:11], off
	v_lshl_add_u64 v[12:13], v[12:13], 0, s[2:3]
	v_lshlrev_b64 v[22:23], 2, v[12:13]
	v_cmp_le_i64_e32 vcc, s[10:11], v[22:23]
	v_lshl_add_u64 v[10:11], v[10:11], 0, s[14:15]
	s_or_b64 s[6:7], vcc, s[6:7]
	s_waitcnt vmcnt(1)
	v_fmac_f64_e32 v[2:3], v[14:15], v[14:15]
	v_fmac_f64_e32 v[4:5], v[16:17], v[16:17]
	s_waitcnt vmcnt(0)
	v_fmac_f64_e32 v[6:7], v[18:19], v[18:19]
	v_fmac_f64_e32 v[8:9], v[20:21], v[20:21]
	s_andn2_b64 exec, exec, s[6:7]
	s_cbranch_execnz .LBB22_17
; %bb.18:
	s_or_b64 exec, exec, s[6:7]
.LBB22_19:
	s_or_b64 exec, exec, s[12:13]
.LBB22_20:
	v_add_f64 v[2:3], v[2:3], 0
	v_add_f64 v[2:3], v[4:5], v[2:3]
	v_mbcnt_lo_u32_b32 v1, -1, 0
	v_add_f64 v[2:3], v[6:7], v[2:3]
	v_mbcnt_hi_u32_b32 v10, -1, v1
	v_mov_b32_e32 v1, 0x80
	v_add_f64 v[2:3], v[8:9], v[2:3]
	v_lshl_or_b32 v1, v10, 2, v1
	ds_bpermute_b32 v4, v1, v2
	ds_bpermute_b32 v5, v1, v3
	v_and_b32_e32 v12, 63, v10
	v_cmp_gt_u32_e32 vcc, 48, v12
	v_and_b32_e32 v11, 63, v0
	s_waitcnt lgkmcnt(0)
	v_add_f64 v[2:3], v[2:3], v[4:5]
	v_cndmask_b32_e64 v4, 0, 16, vcc
	v_add_lshl_u32 v6, v4, v10, 2
	ds_bpermute_b32 v4, v6, v2
	ds_bpermute_b32 v5, v6, v3
	v_cmp_gt_u32_e32 vcc, 56, v12
	s_barrier
	s_waitcnt lgkmcnt(0)
	v_add_f64 v[2:3], v[2:3], v[4:5]
	v_cndmask_b32_e64 v4, 0, 8, vcc
	v_add_lshl_u32 v7, v4, v10, 2
	ds_bpermute_b32 v4, v7, v2
	ds_bpermute_b32 v5, v7, v3
	v_cmp_gt_u32_e32 vcc, 60, v12
	s_waitcnt lgkmcnt(0)
	v_add_f64 v[2:3], v[2:3], v[4:5]
	v_cndmask_b32_e64 v4, 0, 4, vcc
	v_add_lshl_u32 v8, v4, v10, 2
	ds_bpermute_b32 v4, v8, v2
	ds_bpermute_b32 v5, v8, v3
	v_cmp_gt_u32_e32 vcc, 62, v12
	s_waitcnt lgkmcnt(0)
	v_add_f64 v[2:3], v[2:3], v[4:5]
	v_cndmask_b32_e64 v4, 0, 2, vcc
	v_add_lshl_u32 v9, v4, v10, 2
	ds_bpermute_b32 v4, v9, v2
	ds_bpermute_b32 v5, v9, v3
	v_cmp_ne_u32_e32 vcc, 63, v12
	s_waitcnt lgkmcnt(0)
	v_add_f64 v[2:3], v[2:3], v[4:5]
	v_addc_co_u32_e32 v4, vcc, 0, v10, vcc
	v_lshlrev_b32_e32 v10, 2, v4
	ds_bpermute_b32 v4, v10, v2
	ds_bpermute_b32 v5, v10, v3
	v_cmp_eq_u32_e32 vcc, 0, v11
	s_and_saveexec_b64 s[2:3], vcc
	s_cbranch_execz .LBB22_22
; %bb.21:
	v_lshrrev_b32_e32 v12, 3, v0
	s_waitcnt lgkmcnt(0)
	v_add_f64 v[2:3], v[2:3], v[4:5]
	ds_write_b64 v12, v[2:3]
.LBB22_22:
	s_or_b64 exec, exec, s[2:3]
	s_waitcnt lgkmcnt(0)
	s_barrier
	s_load_dword s2, s[0:1], 0xd4c
	v_mov_b64_e32 v[2:3], 0
	s_waitcnt lgkmcnt(0)
	s_bfe_u32 s2, s2, 0xa0006
	v_cmp_gt_u32_e32 vcc, s2, v0
	s_and_saveexec_b64 s[2:3], vcc
	s_cbranch_execnz .LBB22_26
; %bb.23:
	s_or_b64 exec, exec, s[2:3]
	v_cmp_gt_u32_e32 vcc, 64, v0
	s_and_saveexec_b64 s[2:3], vcc
	s_cbranch_execnz .LBB22_27
.LBB22_24:
	s_or_b64 exec, exec, s[2:3]
	v_cmp_eq_u32_e32 vcc, 0, v0
	s_and_saveexec_b64 s[2:3], vcc
	s_cbranch_execnz .LBB22_28
.LBB22_25:
	s_endpgm
.LBB22_26:
	v_lshlrev_b32_e32 v2, 3, v11
	ds_read_b64 v[2:3], v2
	s_or_b64 exec, exec, s[2:3]
	v_cmp_gt_u32_e32 vcc, 64, v0
	s_and_saveexec_b64 s[2:3], vcc
	s_cbranch_execz .LBB22_24
.LBB22_27:
	s_waitcnt lgkmcnt(0)
	ds_bpermute_b32 v4, v1, v2
	ds_bpermute_b32 v5, v1, v3
	s_waitcnt lgkmcnt(0)
	v_add_f64 v[2:3], v[2:3], v[4:5]
	ds_bpermute_b32 v4, v6, v2
	ds_bpermute_b32 v5, v6, v3
	s_waitcnt lgkmcnt(0)
	v_add_f64 v[2:3], v[2:3], v[4:5]
	;; [unrolled: 4-line block ×6, first 2 shown]
	s_or_b64 exec, exec, s[2:3]
	v_cmp_eq_u32_e32 vcc, 0, v0
	s_and_saveexec_b64 s[2:3], vcc
	s_cbranch_execz .LBB22_25
.LBB22_28:
	s_load_dword s5, s[0:1], 0xd20
	s_load_dword s6, s[0:1], 0xd38
	s_load_dwordx2 s[2:3], s[0:1], 0xd30
	v_mov_b32_e32 v0, 0
	s_waitcnt lgkmcnt(0)
	s_add_i32 s0, s5, s18
	s_mul_i32 s0, s0, s6
	s_add_i32 s0, s0, s4
	s_ashr_i32 s1, s0, 31
	s_lshl_b64 s[0:1], s[0:1], 3
	s_add_u32 s0, s2, s0
	s_addc_u32 s1, s3, s1
	global_store_dwordx2 v0, v[2:3], s[0:1]
	s_endpgm
	.section	.rodata,"a",@progbits
	.p2align	6, 0x0
	.amdhsa_kernel _ZN2at6native12_GLOBAL__N_125multi_tensor_apply_kernelINS1_18TensorListMetadataILi1EEENS0_13LpNormFunctorIdLNS0_8NormTypeE2EdLi1ELi1ELi0EEEJPdiEEEvT_T0_DpT1_
		.amdhsa_group_segment_fixed_size 4096
		.amdhsa_private_segment_fixed_size 0
		.amdhsa_kernarg_size 3648
		.amdhsa_user_sgpr_count 2
		.amdhsa_user_sgpr_dispatch_ptr 0
		.amdhsa_user_sgpr_queue_ptr 0
		.amdhsa_user_sgpr_kernarg_segment_ptr 1
		.amdhsa_user_sgpr_dispatch_id 0
		.amdhsa_user_sgpr_kernarg_preload_length 0
		.amdhsa_user_sgpr_kernarg_preload_offset 0
		.amdhsa_user_sgpr_private_segment_size 0
		.amdhsa_uses_dynamic_stack 0
		.amdhsa_enable_private_segment 0
		.amdhsa_system_sgpr_workgroup_id_x 1
		.amdhsa_system_sgpr_workgroup_id_y 0
		.amdhsa_system_sgpr_workgroup_id_z 0
		.amdhsa_system_sgpr_workgroup_info 0
		.amdhsa_system_vgpr_workitem_id 0
		.amdhsa_next_free_vgpr 24
		.amdhsa_next_free_sgpr 22
		.amdhsa_accum_offset 24
		.amdhsa_reserve_vcc 1
		.amdhsa_float_round_mode_32 0
		.amdhsa_float_round_mode_16_64 0
		.amdhsa_float_denorm_mode_32 3
		.amdhsa_float_denorm_mode_16_64 3
		.amdhsa_dx10_clamp 1
		.amdhsa_ieee_mode 1
		.amdhsa_fp16_overflow 0
		.amdhsa_tg_split 0
		.amdhsa_exception_fp_ieee_invalid_op 0
		.amdhsa_exception_fp_denorm_src 0
		.amdhsa_exception_fp_ieee_div_zero 0
		.amdhsa_exception_fp_ieee_overflow 0
		.amdhsa_exception_fp_ieee_underflow 0
		.amdhsa_exception_fp_ieee_inexact 0
		.amdhsa_exception_int_div_zero 0
	.end_amdhsa_kernel
	.section	.text._ZN2at6native12_GLOBAL__N_125multi_tensor_apply_kernelINS1_18TensorListMetadataILi1EEENS0_13LpNormFunctorIdLNS0_8NormTypeE2EdLi1ELi1ELi0EEEJPdiEEEvT_T0_DpT1_,"axG",@progbits,_ZN2at6native12_GLOBAL__N_125multi_tensor_apply_kernelINS1_18TensorListMetadataILi1EEENS0_13LpNormFunctorIdLNS0_8NormTypeE2EdLi1ELi1ELi0EEEJPdiEEEvT_T0_DpT1_,comdat
.Lfunc_end22:
	.size	_ZN2at6native12_GLOBAL__N_125multi_tensor_apply_kernelINS1_18TensorListMetadataILi1EEENS0_13LpNormFunctorIdLNS0_8NormTypeE2EdLi1ELi1ELi0EEEJPdiEEEvT_T0_DpT1_, .Lfunc_end22-_ZN2at6native12_GLOBAL__N_125multi_tensor_apply_kernelINS1_18TensorListMetadataILi1EEENS0_13LpNormFunctorIdLNS0_8NormTypeE2EdLi1ELi1ELi0EEEJPdiEEEvT_T0_DpT1_
                                        ; -- End function
	.set _ZN2at6native12_GLOBAL__N_125multi_tensor_apply_kernelINS1_18TensorListMetadataILi1EEENS0_13LpNormFunctorIdLNS0_8NormTypeE2EdLi1ELi1ELi0EEEJPdiEEEvT_T0_DpT1_.num_vgpr, 24
	.set _ZN2at6native12_GLOBAL__N_125multi_tensor_apply_kernelINS1_18TensorListMetadataILi1EEENS0_13LpNormFunctorIdLNS0_8NormTypeE2EdLi1ELi1ELi0EEEJPdiEEEvT_T0_DpT1_.num_agpr, 0
	.set _ZN2at6native12_GLOBAL__N_125multi_tensor_apply_kernelINS1_18TensorListMetadataILi1EEENS0_13LpNormFunctorIdLNS0_8NormTypeE2EdLi1ELi1ELi0EEEJPdiEEEvT_T0_DpT1_.numbered_sgpr, 22
	.set _ZN2at6native12_GLOBAL__N_125multi_tensor_apply_kernelINS1_18TensorListMetadataILi1EEENS0_13LpNormFunctorIdLNS0_8NormTypeE2EdLi1ELi1ELi0EEEJPdiEEEvT_T0_DpT1_.num_named_barrier, 0
	.set _ZN2at6native12_GLOBAL__N_125multi_tensor_apply_kernelINS1_18TensorListMetadataILi1EEENS0_13LpNormFunctorIdLNS0_8NormTypeE2EdLi1ELi1ELi0EEEJPdiEEEvT_T0_DpT1_.private_seg_size, 0
	.set _ZN2at6native12_GLOBAL__N_125multi_tensor_apply_kernelINS1_18TensorListMetadataILi1EEENS0_13LpNormFunctorIdLNS0_8NormTypeE2EdLi1ELi1ELi0EEEJPdiEEEvT_T0_DpT1_.uses_vcc, 1
	.set _ZN2at6native12_GLOBAL__N_125multi_tensor_apply_kernelINS1_18TensorListMetadataILi1EEENS0_13LpNormFunctorIdLNS0_8NormTypeE2EdLi1ELi1ELi0EEEJPdiEEEvT_T0_DpT1_.uses_flat_scratch, 0
	.set _ZN2at6native12_GLOBAL__N_125multi_tensor_apply_kernelINS1_18TensorListMetadataILi1EEENS0_13LpNormFunctorIdLNS0_8NormTypeE2EdLi1ELi1ELi0EEEJPdiEEEvT_T0_DpT1_.has_dyn_sized_stack, 0
	.set _ZN2at6native12_GLOBAL__N_125multi_tensor_apply_kernelINS1_18TensorListMetadataILi1EEENS0_13LpNormFunctorIdLNS0_8NormTypeE2EdLi1ELi1ELi0EEEJPdiEEEvT_T0_DpT1_.has_recursion, 0
	.set _ZN2at6native12_GLOBAL__N_125multi_tensor_apply_kernelINS1_18TensorListMetadataILi1EEENS0_13LpNormFunctorIdLNS0_8NormTypeE2EdLi1ELi1ELi0EEEJPdiEEEvT_T0_DpT1_.has_indirect_call, 0
	.section	.AMDGPU.csdata,"",@progbits
; Kernel info:
; codeLenInByte = 1564
; TotalNumSgprs: 28
; NumVgprs: 24
; NumAgprs: 0
; TotalNumVgprs: 24
; ScratchSize: 0
; MemoryBound: 0
; FloatMode: 240
; IeeeMode: 1
; LDSByteSize: 4096 bytes/workgroup (compile time only)
; SGPRBlocks: 3
; VGPRBlocks: 2
; NumSGPRsForWavesPerEU: 28
; NumVGPRsForWavesPerEU: 24
; AccumOffset: 24
; Occupancy: 8
; WaveLimiterHint : 0
; COMPUTE_PGM_RSRC2:SCRATCH_EN: 0
; COMPUTE_PGM_RSRC2:USER_SGPR: 2
; COMPUTE_PGM_RSRC2:TRAP_HANDLER: 0
; COMPUTE_PGM_RSRC2:TGID_X_EN: 1
; COMPUTE_PGM_RSRC2:TGID_Y_EN: 0
; COMPUTE_PGM_RSRC2:TGID_Z_EN: 0
; COMPUTE_PGM_RSRC2:TIDIG_COMP_CNT: 0
; COMPUTE_PGM_RSRC3_GFX90A:ACCUM_OFFSET: 5
; COMPUTE_PGM_RSRC3_GFX90A:TG_SPLIT: 0
	.section	.text._ZN2at6native12_GLOBAL__N_125multi_tensor_apply_kernelINS1_18TensorListMetadataILi1EEENS0_13LpNormFunctorIdLNS0_8NormTypeE3EdLi1ELi1ELi0EEEJPdiEEEvT_T0_DpT1_,"axG",@progbits,_ZN2at6native12_GLOBAL__N_125multi_tensor_apply_kernelINS1_18TensorListMetadataILi1EEENS0_13LpNormFunctorIdLNS0_8NormTypeE3EdLi1ELi1ELi0EEEJPdiEEEvT_T0_DpT1_,comdat
	.globl	_ZN2at6native12_GLOBAL__N_125multi_tensor_apply_kernelINS1_18TensorListMetadataILi1EEENS0_13LpNormFunctorIdLNS0_8NormTypeE3EdLi1ELi1ELi0EEEJPdiEEEvT_T0_DpT1_ ; -- Begin function _ZN2at6native12_GLOBAL__N_125multi_tensor_apply_kernelINS1_18TensorListMetadataILi1EEENS0_13LpNormFunctorIdLNS0_8NormTypeE3EdLi1ELi1ELi0EEEJPdiEEEvT_T0_DpT1_
	.p2align	8
	.type	_ZN2at6native12_GLOBAL__N_125multi_tensor_apply_kernelINS1_18TensorListMetadataILi1EEENS0_13LpNormFunctorIdLNS0_8NormTypeE3EdLi1ELi1ELi0EEEJPdiEEEvT_T0_DpT1_,@function
_ZN2at6native12_GLOBAL__N_125multi_tensor_apply_kernelINS1_18TensorListMetadataILi1EEENS0_13LpNormFunctorIdLNS0_8NormTypeE3EdLi1ELi1ELi0EEEJPdiEEEvT_T0_DpT1_: ; @_ZN2at6native12_GLOBAL__N_125multi_tensor_apply_kernelINS1_18TensorListMetadataILi1EEENS0_13LpNormFunctorIdLNS0_8NormTypeE3EdLi1ELi1ELi0EEEJPdiEEEvT_T0_DpT1_
; %bb.0:
	v_mov_b32_e32 v1, s2
	global_load_ubyte v1, v1, s[0:1] offset:1760
	s_add_u32 s3, s0, s2
	s_mul_hi_u32 s4, s2, 3
	s_mul_i32 s2, s2, 3
	s_addc_u32 s5, s1, 0
	s_add_u32 s2, s3, s2
	s_addc_u32 s3, s5, s4
	s_load_dword s10, s[2:3], 0x820
	s_mov_b32 s15, 0
	s_waitcnt lgkmcnt(0)
	s_ashr_i32 s11, s10, 31
	s_lshl_b64 s[8:9], s[10:11], 16
	s_waitcnt vmcnt(0)
	v_readfirstlane_b32 s2, v1
	s_and_b32 s22, s2, 0xff
	s_lshl_b32 s6, s22, 3
	s_load_dwordx2 s[2:3], s[0:1], s6 offset:0x370
	s_load_dwordx2 s[4:5], s[0:1], s6 offset:0x0
	s_lshl_b64 s[6:7], s[10:11], 19
	s_waitcnt lgkmcnt(0)
	s_add_u32 s12, s4, s6
	s_addc_u32 s13, s5, s7
	s_sub_u32 s8, s2, s8
	s_subb_u32 s9, s3, s9
	s_and_b32 s14, s2, 3
	s_and_b32 s2, s12, 31
	s_mov_b32 s3, s15
	s_or_b64 s[2:3], s[14:15], s[2:3]
	s_cmp_eq_u64 s[2:3], 0
	s_cbranch_scc1 .LBB23_12
; %bb.1:
	v_cmp_lt_i64_e64 s[2:3], s[8:9], 1
	s_and_b64 vcc, exec, s[2:3]
	s_cbranch_vccnz .LBB23_13
; %bb.2:
	v_mov_b64_e32 v[2:3], 0x10000
	v_cmp_lt_i64_e32 vcc, s[8:9], v[2:3]
	s_and_b64 s[2:3], vcc, exec
	s_load_dword s2, s[0:1], 0xd4c
	v_mov_b32_e32 v11, 0
	v_mov_b32_e32 v10, v11
	s_cselect_b32 s15, s9, 0
	s_cselect_b32 s14, s8, 0x10000
	s_waitcnt lgkmcnt(0)
	s_and_b32 s16, s2, 0xffff
	v_mov_b32_e32 v12, v11
	v_mov_b32_e32 v13, v11
	;; [unrolled: 1-line block ×6, first 2 shown]
	v_mov_b64_e32 v[2:3], v[10:11]
	s_mov_b32 s11, 0x10000
	s_lshl_b32 s18, s16, 2
	v_lshl_add_u32 v18, s16, 1, v0
	v_mad_u64_u32 v[20:21], s[2:3], s16, 3, v[0:1]
	v_add_u32_e32 v22, s16, v0
	s_mov_b64 s[16:17], 0
	v_mov_b64_e32 v[4:5], v[12:13]
	v_mov_b64_e32 v[6:7], v[14:15]
	;; [unrolled: 1-line block ×3, first 2 shown]
	s_branch .LBB23_4
.LBB23_3:                               ;   in Loop: Header=BB23_4 Depth=1
	s_or_b64 exec, exec, s[2:3]
	s_add_u32 s16, s16, s18
	s_addc_u32 s17, s17, 0
	v_mov_b64_e32 v[12:13], s[14:15]
	v_cmp_lt_i64_e32 vcc, s[16:17], v[12:13]
	s_cbranch_vccz .LBB23_14
.LBB23_4:                               ; =>This Inner Loop Header: Depth=1
	v_add_u32_e32 v10, s16, v0
	v_cmp_gt_i64_e32 vcc, s[8:9], v[10:11]
	v_cmp_gt_u32_e64 s[2:3], s11, v10
	s_and_b64 s[20:21], s[2:3], vcc
	s_and_saveexec_b64 s[2:3], s[20:21]
	s_cbranch_execz .LBB23_6
; %bb.5:                                ;   in Loop: Header=BB23_4 Depth=1
	v_lshl_add_u64 v[12:13], v[10:11], 3, s[12:13]
	global_load_dwordx2 v[12:13], v[12:13], off
	s_waitcnt vmcnt(0)
	v_cmp_u_f64_e32 vcc, v[12:13], v[12:13]
	v_cmp_lt_f64_e64 s[20:21], v[2:3], |v[12:13]|
	v_and_b32_e32 v1, 0x7fffffff, v13
	s_or_b64 vcc, vcc, s[20:21]
	v_cndmask_b32_e32 v3, v3, v1, vcc
	v_cndmask_b32_e32 v2, v2, v12, vcc
.LBB23_6:                               ;   in Loop: Header=BB23_4 Depth=1
	s_or_b64 exec, exec, s[2:3]
	v_add_u32_e32 v10, s16, v22
	v_cmp_gt_i64_e32 vcc, s[8:9], v[10:11]
	v_cmp_gt_u32_e64 s[2:3], s11, v10
	s_and_b64 s[20:21], s[2:3], vcc
	s_and_saveexec_b64 s[2:3], s[20:21]
	s_cbranch_execz .LBB23_8
; %bb.7:                                ;   in Loop: Header=BB23_4 Depth=1
	v_lshl_add_u64 v[12:13], v[10:11], 3, s[12:13]
	global_load_dwordx2 v[12:13], v[12:13], off
	s_waitcnt vmcnt(0)
	v_cmp_u_f64_e32 vcc, v[12:13], v[12:13]
	v_cmp_lt_f64_e64 s[20:21], v[4:5], |v[12:13]|
	v_and_b32_e32 v1, 0x7fffffff, v13
	s_or_b64 vcc, vcc, s[20:21]
	v_cndmask_b32_e32 v5, v5, v1, vcc
	v_cndmask_b32_e32 v4, v4, v12, vcc
.LBB23_8:                               ;   in Loop: Header=BB23_4 Depth=1
	s_or_b64 exec, exec, s[2:3]
	v_add_u32_e32 v10, s16, v18
	v_cmp_gt_i64_e32 vcc, s[8:9], v[10:11]
	v_cmp_gt_u32_e64 s[2:3], s11, v10
	s_and_b64 s[20:21], s[2:3], vcc
	s_and_saveexec_b64 s[2:3], s[20:21]
	s_cbranch_execz .LBB23_10
; %bb.9:                                ;   in Loop: Header=BB23_4 Depth=1
	v_lshl_add_u64 v[12:13], v[10:11], 3, s[12:13]
	global_load_dwordx2 v[12:13], v[12:13], off
	s_waitcnt vmcnt(0)
	v_cmp_u_f64_e32 vcc, v[12:13], v[12:13]
	v_cmp_lt_f64_e64 s[20:21], v[6:7], |v[12:13]|
	v_and_b32_e32 v1, 0x7fffffff, v13
	s_or_b64 vcc, vcc, s[20:21]
	v_cndmask_b32_e32 v7, v7, v1, vcc
	v_cndmask_b32_e32 v6, v6, v12, vcc
.LBB23_10:                              ;   in Loop: Header=BB23_4 Depth=1
	s_or_b64 exec, exec, s[2:3]
	v_add_u32_e32 v10, s16, v20
	v_cmp_gt_i64_e32 vcc, s[8:9], v[10:11]
	v_cmp_gt_u32_e64 s[2:3], s11, v10
	s_and_b64 s[20:21], s[2:3], vcc
	s_and_saveexec_b64 s[2:3], s[20:21]
	s_cbranch_execz .LBB23_3
; %bb.11:                               ;   in Loop: Header=BB23_4 Depth=1
	v_lshl_add_u64 v[12:13], v[10:11], 3, s[12:13]
	global_load_dwordx2 v[12:13], v[12:13], off
	s_waitcnt vmcnt(0)
	v_cmp_u_f64_e32 vcc, v[12:13], v[12:13]
	v_cmp_lt_f64_e64 s[20:21], v[8:9], |v[12:13]|
	v_and_b32_e32 v1, 0x7fffffff, v13
	s_or_b64 vcc, vcc, s[20:21]
	v_cndmask_b32_e32 v9, v9, v1, vcc
	v_cndmask_b32_e32 v8, v8, v12, vcc
	s_branch .LBB23_3
.LBB23_12:
                                        ; implicit-def: $vgpr2_vgpr3_vgpr4_vgpr5_vgpr6_vgpr7_vgpr8_vgpr9
	s_branch .LBB23_15
.LBB23_13:
	v_mov_b32_e32 v2, 0
	v_mov_b32_e32 v3, v2
	;; [unrolled: 1-line block ×8, first 2 shown]
.LBB23_14:
	s_cbranch_execnz .LBB23_20
.LBB23_15:
	v_mov_b64_e32 v[4:5], 0x10000
	v_cmp_lt_i64_e32 vcc, s[8:9], v[4:5]
	s_and_b64 s[2:3], vcc, exec
	v_mov_b32_e32 v3, 0
	s_cselect_b32 s15, s9, 0
	s_cselect_b32 s14, s8, 0x10000
	v_lshlrev_b32_e32 v2, 2, v0
	s_mov_b32 s13, 0
	v_cmp_gt_i64_e32 vcc, s[14:15], v[2:3]
	v_mov_b32_e32 v2, v3
	v_mov_b32_e32 v4, v3
	;; [unrolled: 1-line block ×7, first 2 shown]
	s_and_saveexec_b64 s[16:17], vcc
	s_cbranch_execz .LBB23_19
; %bb.16:
	s_load_dword s2, s[0:1], 0xd4c
	v_lshlrev_b32_e32 v2, 5, v0
	v_mov_b32_e32 v1, v3
	s_mov_b32 s19, s13
	s_mov_b64 s[20:21], 0
	s_waitcnt lgkmcnt(0)
	s_and_b32 s12, s2, 0xffff
	s_add_u32 s2, s4, s6
	s_addc_u32 s3, s5, s7
	v_lshl_add_u64 v[2:3], s[2:3], 0, v[2:3]
	s_lshl_b32 s18, s12, 5
	v_lshl_add_u64 v[10:11], v[2:3], 0, 16
	v_mov_b64_e32 v[2:3], 0
	v_mov_b64_e32 v[12:13], v[0:1]
	;; [unrolled: 1-line block ×5, first 2 shown]
.LBB23_17:                              ; =>This Inner Loop Header: Depth=1
	global_load_dwordx4 v[14:17], v[10:11], off offset:-16
	global_load_dwordx4 v[18:21], v[10:11], off
	v_lshl_add_u64 v[12:13], v[12:13], 0, s[12:13]
	v_lshlrev_b64 v[22:23], 2, v[12:13]
	v_cmp_le_i64_e32 vcc, s[14:15], v[22:23]
	v_lshl_add_u64 v[10:11], v[10:11], 0, s[18:19]
	s_waitcnt vmcnt(1)
	v_cmp_u_f64_e64 s[2:3], v[14:15], v[14:15]
	v_cmp_lt_f64_e64 s[24:25], v[2:3], |v[14:15]|
	v_cmp_u_f64_e64 s[4:5], v[16:17], v[16:17]
	v_cmp_lt_f64_e64 s[26:27], v[4:5], |v[16:17]|
	s_waitcnt vmcnt(0)
	v_cmp_u_f64_e64 s[6:7], v[18:19], v[18:19]
	v_cmp_lt_f64_e64 s[28:29], v[6:7], |v[18:19]|
	v_cmp_u_f64_e64 s[8:9], v[20:21], v[20:21]
	v_cmp_lt_f64_e64 s[30:31], v[8:9], |v[20:21]|
	v_and_b32_e32 v1, 0x7fffffff, v15
	v_and_b32_e32 v15, 0x7fffffff, v17
	;; [unrolled: 1-line block ×4, first 2 shown]
	s_or_b64 s[2:3], s[2:3], s[24:25]
	s_or_b64 s[4:5], s[4:5], s[26:27]
	;; [unrolled: 1-line block ×4, first 2 shown]
	v_cndmask_b32_e64 v3, v3, v1, s[2:3]
	v_cndmask_b32_e64 v5, v5, v15, s[4:5]
	;; [unrolled: 1-line block ×7, first 2 shown]
	s_or_b64 s[20:21], vcc, s[20:21]
	v_cndmask_b32_e64 v8, v8, v20, s[8:9]
	s_andn2_b64 exec, exec, s[20:21]
	s_cbranch_execnz .LBB23_17
; %bb.18:
	s_or_b64 exec, exec, s[20:21]
.LBB23_19:
	s_or_b64 exec, exec, s[16:17]
.LBB23_20:
	v_cmp_nge_f64_e32 vcc, 0, v[2:3]
	v_mbcnt_lo_u32_b32 v1, -1, 0
	v_mbcnt_hi_u32_b32 v10, -1, v1
	v_cndmask_b32_e32 v3, 0, v3, vcc
	v_cndmask_b32_e32 v2, 0, v2, vcc
	v_cmp_u_f64_e32 vcc, v[4:5], v[4:5]
	v_cmp_lt_f64_e64 s[2:3], v[2:3], v[4:5]
	s_or_b64 vcc, vcc, s[2:3]
	v_cndmask_b32_e32 v3, v3, v5, vcc
	v_cndmask_b32_e32 v2, v2, v4, vcc
	v_cmp_u_f64_e32 vcc, v[6:7], v[6:7]
	v_cmp_lt_f64_e64 s[2:3], v[2:3], v[6:7]
	s_or_b64 vcc, vcc, s[2:3]
	;; [unrolled: 5-line block ×3, first 2 shown]
	v_mov_b32_e32 v1, 0x80
	v_cndmask_b32_e32 v3, v3, v9, vcc
	v_cndmask_b32_e32 v2, v2, v8, vcc
	v_lshl_or_b32 v1, v10, 2, v1
	ds_bpermute_b32 v4, v1, v2
	ds_bpermute_b32 v5, v1, v3
	v_and_b32_e32 v12, 63, v10
	v_and_b32_e32 v11, 63, v0
	s_waitcnt lgkmcnt(0)
	s_barrier
	v_cmp_u_f64_e32 vcc, v[4:5], v[4:5]
	v_cmp_lt_f64_e64 s[2:3], v[2:3], v[4:5]
	s_or_b64 vcc, vcc, s[2:3]
	v_cndmask_b32_e32 v3, v3, v5, vcc
	v_cndmask_b32_e32 v2, v2, v4, vcc
	v_cmp_gt_u32_e32 vcc, 48, v12
	s_nop 1
	v_cndmask_b32_e64 v4, 0, 16, vcc
	v_add_lshl_u32 v6, v4, v10, 2
	ds_bpermute_b32 v4, v6, v2
	ds_bpermute_b32 v5, v6, v3
	s_waitcnt lgkmcnt(0)
	v_cmp_u_f64_e32 vcc, v[4:5], v[4:5]
	v_cmp_lt_f64_e64 s[2:3], v[2:3], v[4:5]
	s_or_b64 vcc, vcc, s[2:3]
	v_cndmask_b32_e32 v3, v3, v5, vcc
	v_cndmask_b32_e32 v2, v2, v4, vcc
	v_cmp_gt_u32_e32 vcc, 56, v12
	s_nop 1
	v_cndmask_b32_e64 v4, 0, 8, vcc
	v_add_lshl_u32 v7, v4, v10, 2
	ds_bpermute_b32 v4, v7, v2
	ds_bpermute_b32 v5, v7, v3
	s_waitcnt lgkmcnt(0)
	;; [unrolled: 12-line block ×4, first 2 shown]
	v_cmp_u_f64_e32 vcc, v[4:5], v[4:5]
	v_cmp_lt_f64_e64 s[2:3], v[2:3], v[4:5]
	s_or_b64 vcc, vcc, s[2:3]
	v_cndmask_b32_e32 v3, v3, v5, vcc
	v_cndmask_b32_e32 v2, v2, v4, vcc
	v_cmp_ne_u32_e32 vcc, 63, v12
	s_nop 1
	v_addc_co_u32_e32 v4, vcc, 0, v10, vcc
	v_lshlrev_b32_e32 v10, 2, v4
	ds_bpermute_b32 v4, v10, v2
	ds_bpermute_b32 v5, v10, v3
	v_cmp_eq_u32_e32 vcc, 0, v11
	s_and_saveexec_b64 s[4:5], vcc
	s_cbranch_execz .LBB23_22
; %bb.21:
	s_waitcnt lgkmcnt(0)
	v_cmp_u_f64_e32 vcc, v[4:5], v[4:5]
	v_cmp_lt_f64_e64 s[2:3], v[2:3], v[4:5]
	s_or_b64 vcc, vcc, s[2:3]
	v_lshrrev_b32_e32 v12, 3, v0
	v_cndmask_b32_e32 v3, v3, v5, vcc
	v_cndmask_b32_e32 v2, v2, v4, vcc
	ds_write_b64 v12, v[2:3]
.LBB23_22:
	s_or_b64 exec, exec, s[4:5]
	s_waitcnt lgkmcnt(0)
	s_barrier
	s_load_dword s2, s[0:1], 0xd4c
	v_mov_b32_e32 v2, -1
	v_mov_b32_e32 v3, 0xffefffff
	s_waitcnt lgkmcnt(0)
	s_bfe_u32 s2, s2, 0xa0006
	v_cmp_gt_u32_e32 vcc, s2, v0
	s_and_saveexec_b64 s[2:3], vcc
	s_cbranch_execnz .LBB23_26
; %bb.23:
	s_or_b64 exec, exec, s[2:3]
	v_cmp_gt_u32_e32 vcc, 64, v0
	s_and_saveexec_b64 s[4:5], vcc
	s_cbranch_execnz .LBB23_27
.LBB23_24:
	s_or_b64 exec, exec, s[4:5]
	v_cmp_eq_u32_e32 vcc, 0, v0
	s_and_saveexec_b64 s[2:3], vcc
	s_cbranch_execnz .LBB23_28
.LBB23_25:
	s_endpgm
.LBB23_26:
	v_lshlrev_b32_e32 v2, 3, v11
	ds_read_b64 v[2:3], v2
	s_or_b64 exec, exec, s[2:3]
	v_cmp_gt_u32_e32 vcc, 64, v0
	s_and_saveexec_b64 s[4:5], vcc
	s_cbranch_execz .LBB23_24
.LBB23_27:
	s_waitcnt lgkmcnt(0)
	ds_bpermute_b32 v4, v1, v2
	ds_bpermute_b32 v5, v1, v3
	s_waitcnt lgkmcnt(0)
	v_cmp_u_f64_e32 vcc, v[4:5], v[4:5]
	v_cmp_lt_f64_e64 s[2:3], v[2:3], v[4:5]
	s_or_b64 vcc, vcc, s[2:3]
	v_cndmask_b32_e32 v3, v3, v5, vcc
	v_cndmask_b32_e32 v2, v2, v4, vcc
	ds_bpermute_b32 v5, v6, v3
	ds_bpermute_b32 v4, v6, v2
	s_waitcnt lgkmcnt(0)
	v_cmp_u_f64_e32 vcc, v[4:5], v[4:5]
	v_cmp_lt_f64_e64 s[2:3], v[2:3], v[4:5]
	s_or_b64 vcc, vcc, s[2:3]
	v_cndmask_b32_e32 v3, v3, v5, vcc
	v_cndmask_b32_e32 v2, v2, v4, vcc
	;; [unrolled: 8-line block ×6, first 2 shown]
	s_or_b64 exec, exec, s[4:5]
	v_cmp_eq_u32_e32 vcc, 0, v0
	s_and_saveexec_b64 s[2:3], vcc
	s_cbranch_execz .LBB23_25
.LBB23_28:
	s_load_dword s4, s[0:1], 0xd20
	s_load_dword s5, s[0:1], 0xd38
	s_load_dwordx2 s[2:3], s[0:1], 0xd30
	v_mov_b32_e32 v0, 0
	s_waitcnt lgkmcnt(0)
	s_add_i32 s0, s4, s22
	s_mul_i32 s0, s0, s5
	s_add_i32 s0, s0, s10
	s_ashr_i32 s1, s0, 31
	s_lshl_b64 s[0:1], s[0:1], 3
	s_add_u32 s0, s2, s0
	s_addc_u32 s1, s3, s1
	global_store_dwordx2 v0, v[2:3], s[0:1]
	s_endpgm
	.section	.rodata,"a",@progbits
	.p2align	6, 0x0
	.amdhsa_kernel _ZN2at6native12_GLOBAL__N_125multi_tensor_apply_kernelINS1_18TensorListMetadataILi1EEENS0_13LpNormFunctorIdLNS0_8NormTypeE3EdLi1ELi1ELi0EEEJPdiEEEvT_T0_DpT1_
		.amdhsa_group_segment_fixed_size 4096
		.amdhsa_private_segment_fixed_size 0
		.amdhsa_kernarg_size 3648
		.amdhsa_user_sgpr_count 2
		.amdhsa_user_sgpr_dispatch_ptr 0
		.amdhsa_user_sgpr_queue_ptr 0
		.amdhsa_user_sgpr_kernarg_segment_ptr 1
		.amdhsa_user_sgpr_dispatch_id 0
		.amdhsa_user_sgpr_kernarg_preload_length 0
		.amdhsa_user_sgpr_kernarg_preload_offset 0
		.amdhsa_user_sgpr_private_segment_size 0
		.amdhsa_uses_dynamic_stack 0
		.amdhsa_enable_private_segment 0
		.amdhsa_system_sgpr_workgroup_id_x 1
		.amdhsa_system_sgpr_workgroup_id_y 0
		.amdhsa_system_sgpr_workgroup_id_z 0
		.amdhsa_system_sgpr_workgroup_info 0
		.amdhsa_system_vgpr_workitem_id 0
		.amdhsa_next_free_vgpr 24
		.amdhsa_next_free_sgpr 32
		.amdhsa_accum_offset 24
		.amdhsa_reserve_vcc 1
		.amdhsa_float_round_mode_32 0
		.amdhsa_float_round_mode_16_64 0
		.amdhsa_float_denorm_mode_32 3
		.amdhsa_float_denorm_mode_16_64 3
		.amdhsa_dx10_clamp 1
		.amdhsa_ieee_mode 1
		.amdhsa_fp16_overflow 0
		.amdhsa_tg_split 0
		.amdhsa_exception_fp_ieee_invalid_op 0
		.amdhsa_exception_fp_denorm_src 0
		.amdhsa_exception_fp_ieee_div_zero 0
		.amdhsa_exception_fp_ieee_overflow 0
		.amdhsa_exception_fp_ieee_underflow 0
		.amdhsa_exception_fp_ieee_inexact 0
		.amdhsa_exception_int_div_zero 0
	.end_amdhsa_kernel
	.section	.text._ZN2at6native12_GLOBAL__N_125multi_tensor_apply_kernelINS1_18TensorListMetadataILi1EEENS0_13LpNormFunctorIdLNS0_8NormTypeE3EdLi1ELi1ELi0EEEJPdiEEEvT_T0_DpT1_,"axG",@progbits,_ZN2at6native12_GLOBAL__N_125multi_tensor_apply_kernelINS1_18TensorListMetadataILi1EEENS0_13LpNormFunctorIdLNS0_8NormTypeE3EdLi1ELi1ELi0EEEJPdiEEEvT_T0_DpT1_,comdat
.Lfunc_end23:
	.size	_ZN2at6native12_GLOBAL__N_125multi_tensor_apply_kernelINS1_18TensorListMetadataILi1EEENS0_13LpNormFunctorIdLNS0_8NormTypeE3EdLi1ELi1ELi0EEEJPdiEEEvT_T0_DpT1_, .Lfunc_end23-_ZN2at6native12_GLOBAL__N_125multi_tensor_apply_kernelINS1_18TensorListMetadataILi1EEENS0_13LpNormFunctorIdLNS0_8NormTypeE3EdLi1ELi1ELi0EEEJPdiEEEvT_T0_DpT1_
                                        ; -- End function
	.set _ZN2at6native12_GLOBAL__N_125multi_tensor_apply_kernelINS1_18TensorListMetadataILi1EEENS0_13LpNormFunctorIdLNS0_8NormTypeE3EdLi1ELi1ELi0EEEJPdiEEEvT_T0_DpT1_.num_vgpr, 24
	.set _ZN2at6native12_GLOBAL__N_125multi_tensor_apply_kernelINS1_18TensorListMetadataILi1EEENS0_13LpNormFunctorIdLNS0_8NormTypeE3EdLi1ELi1ELi0EEEJPdiEEEvT_T0_DpT1_.num_agpr, 0
	.set _ZN2at6native12_GLOBAL__N_125multi_tensor_apply_kernelINS1_18TensorListMetadataILi1EEENS0_13LpNormFunctorIdLNS0_8NormTypeE3EdLi1ELi1ELi0EEEJPdiEEEvT_T0_DpT1_.numbered_sgpr, 32
	.set _ZN2at6native12_GLOBAL__N_125multi_tensor_apply_kernelINS1_18TensorListMetadataILi1EEENS0_13LpNormFunctorIdLNS0_8NormTypeE3EdLi1ELi1ELi0EEEJPdiEEEvT_T0_DpT1_.num_named_barrier, 0
	.set _ZN2at6native12_GLOBAL__N_125multi_tensor_apply_kernelINS1_18TensorListMetadataILi1EEENS0_13LpNormFunctorIdLNS0_8NormTypeE3EdLi1ELi1ELi0EEEJPdiEEEvT_T0_DpT1_.private_seg_size, 0
	.set _ZN2at6native12_GLOBAL__N_125multi_tensor_apply_kernelINS1_18TensorListMetadataILi1EEENS0_13LpNormFunctorIdLNS0_8NormTypeE3EdLi1ELi1ELi0EEEJPdiEEEvT_T0_DpT1_.uses_vcc, 1
	.set _ZN2at6native12_GLOBAL__N_125multi_tensor_apply_kernelINS1_18TensorListMetadataILi1EEENS0_13LpNormFunctorIdLNS0_8NormTypeE3EdLi1ELi1ELi0EEEJPdiEEEvT_T0_DpT1_.uses_flat_scratch, 0
	.set _ZN2at6native12_GLOBAL__N_125multi_tensor_apply_kernelINS1_18TensorListMetadataILi1EEENS0_13LpNormFunctorIdLNS0_8NormTypeE3EdLi1ELi1ELi0EEEJPdiEEEvT_T0_DpT1_.has_dyn_sized_stack, 0
	.set _ZN2at6native12_GLOBAL__N_125multi_tensor_apply_kernelINS1_18TensorListMetadataILi1EEENS0_13LpNormFunctorIdLNS0_8NormTypeE3EdLi1ELi1ELi0EEEJPdiEEEvT_T0_DpT1_.has_recursion, 0
	.set _ZN2at6native12_GLOBAL__N_125multi_tensor_apply_kernelINS1_18TensorListMetadataILi1EEENS0_13LpNormFunctorIdLNS0_8NormTypeE3EdLi1ELi1ELi0EEEJPdiEEEvT_T0_DpT1_.has_indirect_call, 0
	.section	.AMDGPU.csdata,"",@progbits
; Kernel info:
; codeLenInByte = 2112
; TotalNumSgprs: 38
; NumVgprs: 24
; NumAgprs: 0
; TotalNumVgprs: 24
; ScratchSize: 0
; MemoryBound: 0
; FloatMode: 240
; IeeeMode: 1
; LDSByteSize: 4096 bytes/workgroup (compile time only)
; SGPRBlocks: 4
; VGPRBlocks: 2
; NumSGPRsForWavesPerEU: 38
; NumVGPRsForWavesPerEU: 24
; AccumOffset: 24
; Occupancy: 8
; WaveLimiterHint : 0
; COMPUTE_PGM_RSRC2:SCRATCH_EN: 0
; COMPUTE_PGM_RSRC2:USER_SGPR: 2
; COMPUTE_PGM_RSRC2:TRAP_HANDLER: 0
; COMPUTE_PGM_RSRC2:TGID_X_EN: 1
; COMPUTE_PGM_RSRC2:TGID_Y_EN: 0
; COMPUTE_PGM_RSRC2:TGID_Z_EN: 0
; COMPUTE_PGM_RSRC2:TIDIG_COMP_CNT: 0
; COMPUTE_PGM_RSRC3_GFX90A:ACCUM_OFFSET: 5
; COMPUTE_PGM_RSRC3_GFX90A:TG_SPLIT: 0
	.section	.text._ZN2at6native14lpnorm_cleanupIdLNS0_8NormTypeE0EdLb1EdEEvPKT3_NS0_19TensorListAddressesEi,"axG",@progbits,_ZN2at6native14lpnorm_cleanupIdLNS0_8NormTypeE0EdLb1EdEEvPKT3_NS0_19TensorListAddressesEi,comdat
	.protected	_ZN2at6native14lpnorm_cleanupIdLNS0_8NormTypeE0EdLb1EdEEvPKT3_NS0_19TensorListAddressesEi ; -- Begin function _ZN2at6native14lpnorm_cleanupIdLNS0_8NormTypeE0EdLb1EdEEvPKT3_NS0_19TensorListAddressesEi
	.globl	_ZN2at6native14lpnorm_cleanupIdLNS0_8NormTypeE0EdLb1EdEEvPKT3_NS0_19TensorListAddressesEi
	.p2align	8
	.type	_ZN2at6native14lpnorm_cleanupIdLNS0_8NormTypeE0EdLb1EdEEvPKT3_NS0_19TensorListAddressesEi,@function
_ZN2at6native14lpnorm_cleanupIdLNS0_8NormTypeE0EdLb1EdEEvPKT3_NS0_19TensorListAddressesEi: ; @_ZN2at6native14lpnorm_cleanupIdLNS0_8NormTypeE0EdLb1EdEEvPKT3_NS0_19TensorListAddressesEi
; %bb.0:
	s_load_dword s6, s[0:1], 0xc88
	v_mov_b64_e32 v[2:3], 0
	s_waitcnt lgkmcnt(0)
	v_cmp_gt_u32_e32 vcc, s6, v0
	s_and_saveexec_b64 s[4:5], vcc
	s_cbranch_execz .LBB24_4
; %bb.1:
	s_load_dwordx2 s[12:13], s[0:1], 0x0
	s_load_dword s3, s[0:1], 0xc9c
	s_mul_i32 s8, s6, s2
	s_mov_b32 s9, 0
	s_ashr_i32 s7, s6, 31
	s_lshl_b64 s[14:15], s[8:9], 3
	s_waitcnt lgkmcnt(0)
	s_and_b32 s10, s3, 0xffff
	v_mov_b32_e32 v1, 0
	s_add_u32 s12, s12, s14
	v_lshlrev_b32_e32 v2, 3, v0
	v_mov_b32_e32 v3, v1
	s_addc_u32 s13, s13, s15
	s_mov_b32 s11, s9
	v_lshl_add_u64 v[4:5], s[12:13], 0, v[2:3]
	s_lshl_b32 s8, s10, 3
	v_mov_b64_e32 v[2:3], 0
	s_mov_b64 s[12:13], 0
	v_mov_b64_e32 v[6:7], v[0:1]
.LBB24_2:                               ; =>This Inner Loop Header: Depth=1
	global_load_dwordx2 v[8:9], v[4:5], off
	v_lshl_add_u64 v[6:7], v[6:7], 0, s[10:11]
	v_cmp_le_u64_e32 vcc, s[6:7], v[6:7]
	v_lshl_add_u64 v[4:5], v[4:5], 0, s[8:9]
	s_or_b64 s[12:13], vcc, s[12:13]
	s_waitcnt vmcnt(0)
	v_add_f64 v[2:3], v[2:3], v[8:9]
	s_andn2_b64 exec, exec, s[12:13]
	s_cbranch_execnz .LBB24_2
; %bb.3:
	s_or_b64 exec, exec, s[12:13]
.LBB24_4:
	s_or_b64 exec, exec, s[4:5]
	v_mbcnt_lo_u32_b32 v1, -1, 0
	v_mbcnt_hi_u32_b32 v10, -1, v1
	v_mov_b32_e32 v1, 0x80
	v_lshl_or_b32 v1, v10, 2, v1
	ds_bpermute_b32 v4, v1, v2
	ds_bpermute_b32 v5, v1, v3
	v_and_b32_e32 v12, 63, v10
	v_cmp_gt_u32_e32 vcc, 48, v12
	v_and_b32_e32 v11, 63, v0
	s_waitcnt lgkmcnt(0)
	v_add_f64 v[2:3], v[2:3], v[4:5]
	v_cndmask_b32_e64 v4, 0, 16, vcc
	v_add_lshl_u32 v6, v4, v10, 2
	ds_bpermute_b32 v4, v6, v2
	ds_bpermute_b32 v5, v6, v3
	v_cmp_gt_u32_e32 vcc, 56, v12
	s_barrier
	s_waitcnt lgkmcnt(0)
	v_add_f64 v[2:3], v[2:3], v[4:5]
	v_cndmask_b32_e64 v4, 0, 8, vcc
	v_add_lshl_u32 v7, v4, v10, 2
	ds_bpermute_b32 v4, v7, v2
	ds_bpermute_b32 v5, v7, v3
	v_cmp_gt_u32_e32 vcc, 60, v12
	s_waitcnt lgkmcnt(0)
	v_add_f64 v[2:3], v[2:3], v[4:5]
	v_cndmask_b32_e64 v4, 0, 4, vcc
	v_add_lshl_u32 v8, v4, v10, 2
	ds_bpermute_b32 v4, v8, v2
	ds_bpermute_b32 v5, v8, v3
	v_cmp_gt_u32_e32 vcc, 62, v12
	s_waitcnt lgkmcnt(0)
	v_add_f64 v[2:3], v[2:3], v[4:5]
	v_cndmask_b32_e64 v4, 0, 2, vcc
	v_add_lshl_u32 v9, v4, v10, 2
	ds_bpermute_b32 v4, v9, v2
	ds_bpermute_b32 v5, v9, v3
	v_cmp_ne_u32_e32 vcc, 63, v12
	s_waitcnt lgkmcnt(0)
	v_add_f64 v[2:3], v[2:3], v[4:5]
	v_addc_co_u32_e32 v4, vcc, 0, v10, vcc
	v_lshlrev_b32_e32 v10, 2, v4
	ds_bpermute_b32 v4, v10, v2
	ds_bpermute_b32 v5, v10, v3
	v_cmp_eq_u32_e32 vcc, 0, v11
	s_and_saveexec_b64 s[4:5], vcc
	s_cbranch_execz .LBB24_6
; %bb.5:
	v_lshrrev_b32_e32 v12, 3, v0
	s_waitcnt lgkmcnt(0)
	v_add_f64 v[2:3], v[2:3], v[4:5]
	ds_write_b64 v12, v[2:3]
.LBB24_6:
	s_or_b64 exec, exec, s[4:5]
	s_waitcnt lgkmcnt(0)
	s_barrier
	s_load_dword s3, s[0:1], 0xc9c
	v_mov_b64_e32 v[2:3], 0
	s_waitcnt lgkmcnt(0)
	s_bfe_u32 s3, s3, 0xa0006
	v_cmp_gt_u32_e32 vcc, s3, v0
	s_and_saveexec_b64 s[4:5], vcc
; %bb.7:
	v_lshlrev_b32_e32 v2, 3, v11
	ds_read_b64 v[2:3], v2
; %bb.8:
	s_or_b64 exec, exec, s[4:5]
	v_cmp_gt_u32_e32 vcc, 64, v0
	s_and_saveexec_b64 s[4:5], vcc
	s_cbranch_execz .LBB24_10
; %bb.9:
	s_waitcnt lgkmcnt(0)
	ds_bpermute_b32 v4, v1, v2
	ds_bpermute_b32 v5, v1, v3
	s_waitcnt lgkmcnt(0)
	v_add_f64 v[2:3], v[2:3], v[4:5]
	ds_bpermute_b32 v4, v6, v2
	ds_bpermute_b32 v5, v6, v3
	s_waitcnt lgkmcnt(0)
	v_add_f64 v[2:3], v[2:3], v[4:5]
	;; [unrolled: 4-line block ×6, first 2 shown]
.LBB24_10:
	s_or_b64 exec, exec, s[4:5]
	s_mov_b32 s3, 0
	v_cmp_eq_u32_e32 vcc, 0, v0
	s_and_saveexec_b64 s[4:5], vcc
	s_cbranch_execz .LBB24_12
; %bb.11:
	s_lshl_b64 s[2:3], s[2:3], 3
	s_add_u32 s0, s0, s2
	s_addc_u32 s1, s1, s3
	s_load_dwordx2 s[0:1], s[0:1], 0x8
	v_mov_b32_e32 v0, 0
	s_waitcnt lgkmcnt(0)
	global_store_dwordx2 v0, v[2:3], s[0:1]
.LBB24_12:
	s_endpgm
	.section	.rodata,"a",@progbits
	.p2align	6, 0x0
	.amdhsa_kernel _ZN2at6native14lpnorm_cleanupIdLNS0_8NormTypeE0EdLb1EdEEvPKT3_NS0_19TensorListAddressesEi
		.amdhsa_group_segment_fixed_size 4096
		.amdhsa_private_segment_fixed_size 0
		.amdhsa_kernarg_size 3472
		.amdhsa_user_sgpr_count 2
		.amdhsa_user_sgpr_dispatch_ptr 0
		.amdhsa_user_sgpr_queue_ptr 0
		.amdhsa_user_sgpr_kernarg_segment_ptr 1
		.amdhsa_user_sgpr_dispatch_id 0
		.amdhsa_user_sgpr_kernarg_preload_length 0
		.amdhsa_user_sgpr_kernarg_preload_offset 0
		.amdhsa_user_sgpr_private_segment_size 0
		.amdhsa_uses_dynamic_stack 0
		.amdhsa_enable_private_segment 0
		.amdhsa_system_sgpr_workgroup_id_x 1
		.amdhsa_system_sgpr_workgroup_id_y 0
		.amdhsa_system_sgpr_workgroup_id_z 0
		.amdhsa_system_sgpr_workgroup_info 0
		.amdhsa_system_vgpr_workitem_id 0
		.amdhsa_next_free_vgpr 13
		.amdhsa_next_free_sgpr 16
		.amdhsa_accum_offset 16
		.amdhsa_reserve_vcc 1
		.amdhsa_float_round_mode_32 0
		.amdhsa_float_round_mode_16_64 0
		.amdhsa_float_denorm_mode_32 3
		.amdhsa_float_denorm_mode_16_64 3
		.amdhsa_dx10_clamp 1
		.amdhsa_ieee_mode 1
		.amdhsa_fp16_overflow 0
		.amdhsa_tg_split 0
		.amdhsa_exception_fp_ieee_invalid_op 0
		.amdhsa_exception_fp_denorm_src 0
		.amdhsa_exception_fp_ieee_div_zero 0
		.amdhsa_exception_fp_ieee_overflow 0
		.amdhsa_exception_fp_ieee_underflow 0
		.amdhsa_exception_fp_ieee_inexact 0
		.amdhsa_exception_int_div_zero 0
	.end_amdhsa_kernel
	.section	.text._ZN2at6native14lpnorm_cleanupIdLNS0_8NormTypeE0EdLb1EdEEvPKT3_NS0_19TensorListAddressesEi,"axG",@progbits,_ZN2at6native14lpnorm_cleanupIdLNS0_8NormTypeE0EdLb1EdEEvPKT3_NS0_19TensorListAddressesEi,comdat
.Lfunc_end24:
	.size	_ZN2at6native14lpnorm_cleanupIdLNS0_8NormTypeE0EdLb1EdEEvPKT3_NS0_19TensorListAddressesEi, .Lfunc_end24-_ZN2at6native14lpnorm_cleanupIdLNS0_8NormTypeE0EdLb1EdEEvPKT3_NS0_19TensorListAddressesEi
                                        ; -- End function
	.set _ZN2at6native14lpnorm_cleanupIdLNS0_8NormTypeE0EdLb1EdEEvPKT3_NS0_19TensorListAddressesEi.num_vgpr, 13
	.set _ZN2at6native14lpnorm_cleanupIdLNS0_8NormTypeE0EdLb1EdEEvPKT3_NS0_19TensorListAddressesEi.num_agpr, 0
	.set _ZN2at6native14lpnorm_cleanupIdLNS0_8NormTypeE0EdLb1EdEEvPKT3_NS0_19TensorListAddressesEi.numbered_sgpr, 16
	.set _ZN2at6native14lpnorm_cleanupIdLNS0_8NormTypeE0EdLb1EdEEvPKT3_NS0_19TensorListAddressesEi.num_named_barrier, 0
	.set _ZN2at6native14lpnorm_cleanupIdLNS0_8NormTypeE0EdLb1EdEEvPKT3_NS0_19TensorListAddressesEi.private_seg_size, 0
	.set _ZN2at6native14lpnorm_cleanupIdLNS0_8NormTypeE0EdLb1EdEEvPKT3_NS0_19TensorListAddressesEi.uses_vcc, 1
	.set _ZN2at6native14lpnorm_cleanupIdLNS0_8NormTypeE0EdLb1EdEEvPKT3_NS0_19TensorListAddressesEi.uses_flat_scratch, 0
	.set _ZN2at6native14lpnorm_cleanupIdLNS0_8NormTypeE0EdLb1EdEEvPKT3_NS0_19TensorListAddressesEi.has_dyn_sized_stack, 0
	.set _ZN2at6native14lpnorm_cleanupIdLNS0_8NormTypeE0EdLb1EdEEvPKT3_NS0_19TensorListAddressesEi.has_recursion, 0
	.set _ZN2at6native14lpnorm_cleanupIdLNS0_8NormTypeE0EdLb1EdEEvPKT3_NS0_19TensorListAddressesEi.has_indirect_call, 0
	.section	.AMDGPU.csdata,"",@progbits
; Kernel info:
; codeLenInByte = 812
; TotalNumSgprs: 22
; NumVgprs: 13
; NumAgprs: 0
; TotalNumVgprs: 13
; ScratchSize: 0
; MemoryBound: 0
; FloatMode: 240
; IeeeMode: 1
; LDSByteSize: 4096 bytes/workgroup (compile time only)
; SGPRBlocks: 2
; VGPRBlocks: 1
; NumSGPRsForWavesPerEU: 22
; NumVGPRsForWavesPerEU: 13
; AccumOffset: 16
; Occupancy: 8
; WaveLimiterHint : 0
; COMPUTE_PGM_RSRC2:SCRATCH_EN: 0
; COMPUTE_PGM_RSRC2:USER_SGPR: 2
; COMPUTE_PGM_RSRC2:TRAP_HANDLER: 0
; COMPUTE_PGM_RSRC2:TGID_X_EN: 1
; COMPUTE_PGM_RSRC2:TGID_Y_EN: 0
; COMPUTE_PGM_RSRC2:TGID_Z_EN: 0
; COMPUTE_PGM_RSRC2:TIDIG_COMP_CNT: 0
; COMPUTE_PGM_RSRC3_GFX90A:ACCUM_OFFSET: 3
; COMPUTE_PGM_RSRC3_GFX90A:TG_SPLIT: 0
	.section	.text._ZN2at6native14lpnorm_cleanupIdLNS0_8NormTypeE1EdLb1EdEEvPKT3_NS0_19TensorListAddressesEi,"axG",@progbits,_ZN2at6native14lpnorm_cleanupIdLNS0_8NormTypeE1EdLb1EdEEvPKT3_NS0_19TensorListAddressesEi,comdat
	.protected	_ZN2at6native14lpnorm_cleanupIdLNS0_8NormTypeE1EdLb1EdEEvPKT3_NS0_19TensorListAddressesEi ; -- Begin function _ZN2at6native14lpnorm_cleanupIdLNS0_8NormTypeE1EdLb1EdEEvPKT3_NS0_19TensorListAddressesEi
	.globl	_ZN2at6native14lpnorm_cleanupIdLNS0_8NormTypeE1EdLb1EdEEvPKT3_NS0_19TensorListAddressesEi
	.p2align	8
	.type	_ZN2at6native14lpnorm_cleanupIdLNS0_8NormTypeE1EdLb1EdEEvPKT3_NS0_19TensorListAddressesEi,@function
_ZN2at6native14lpnorm_cleanupIdLNS0_8NormTypeE1EdLb1EdEEvPKT3_NS0_19TensorListAddressesEi: ; @_ZN2at6native14lpnorm_cleanupIdLNS0_8NormTypeE1EdLb1EdEEvPKT3_NS0_19TensorListAddressesEi
; %bb.0:
	s_load_dword s6, s[0:1], 0xc88
	v_mov_b64_e32 v[2:3], 0
	s_waitcnt lgkmcnt(0)
	v_cmp_gt_u32_e32 vcc, s6, v0
	s_and_saveexec_b64 s[4:5], vcc
	s_cbranch_execz .LBB25_4
; %bb.1:
	s_load_dwordx2 s[12:13], s[0:1], 0x0
	s_load_dword s3, s[0:1], 0xc9c
	s_mul_i32 s8, s6, s2
	s_mov_b32 s9, 0
	s_ashr_i32 s7, s6, 31
	s_lshl_b64 s[14:15], s[8:9], 3
	s_waitcnt lgkmcnt(0)
	s_and_b32 s10, s3, 0xffff
	v_mov_b32_e32 v1, 0
	s_add_u32 s12, s12, s14
	v_lshlrev_b32_e32 v2, 3, v0
	v_mov_b32_e32 v3, v1
	s_addc_u32 s13, s13, s15
	s_mov_b32 s11, s9
	v_lshl_add_u64 v[4:5], s[12:13], 0, v[2:3]
	s_lshl_b32 s8, s10, 3
	v_mov_b64_e32 v[2:3], 0
	s_mov_b64 s[12:13], 0
	v_mov_b64_e32 v[6:7], v[0:1]
.LBB25_2:                               ; =>This Inner Loop Header: Depth=1
	global_load_dwordx2 v[8:9], v[4:5], off
	v_lshl_add_u64 v[6:7], v[6:7], 0, s[10:11]
	v_cmp_le_u64_e32 vcc, s[6:7], v[6:7]
	v_lshl_add_u64 v[4:5], v[4:5], 0, s[8:9]
	s_or_b64 s[12:13], vcc, s[12:13]
	s_waitcnt vmcnt(0)
	v_add_f64 v[2:3], v[2:3], v[8:9]
	s_andn2_b64 exec, exec, s[12:13]
	s_cbranch_execnz .LBB25_2
; %bb.3:
	s_or_b64 exec, exec, s[12:13]
.LBB25_4:
	s_or_b64 exec, exec, s[4:5]
	v_mbcnt_lo_u32_b32 v1, -1, 0
	v_mbcnt_hi_u32_b32 v10, -1, v1
	v_mov_b32_e32 v1, 0x80
	v_lshl_or_b32 v1, v10, 2, v1
	ds_bpermute_b32 v4, v1, v2
	ds_bpermute_b32 v5, v1, v3
	v_and_b32_e32 v12, 63, v10
	v_cmp_gt_u32_e32 vcc, 48, v12
	v_and_b32_e32 v11, 63, v0
	s_waitcnt lgkmcnt(0)
	v_add_f64 v[2:3], v[2:3], v[4:5]
	v_cndmask_b32_e64 v4, 0, 16, vcc
	v_add_lshl_u32 v6, v4, v10, 2
	ds_bpermute_b32 v4, v6, v2
	ds_bpermute_b32 v5, v6, v3
	v_cmp_gt_u32_e32 vcc, 56, v12
	s_barrier
	s_waitcnt lgkmcnt(0)
	v_add_f64 v[2:3], v[2:3], v[4:5]
	v_cndmask_b32_e64 v4, 0, 8, vcc
	v_add_lshl_u32 v7, v4, v10, 2
	ds_bpermute_b32 v4, v7, v2
	ds_bpermute_b32 v5, v7, v3
	v_cmp_gt_u32_e32 vcc, 60, v12
	s_waitcnt lgkmcnt(0)
	v_add_f64 v[2:3], v[2:3], v[4:5]
	v_cndmask_b32_e64 v4, 0, 4, vcc
	v_add_lshl_u32 v8, v4, v10, 2
	ds_bpermute_b32 v4, v8, v2
	ds_bpermute_b32 v5, v8, v3
	v_cmp_gt_u32_e32 vcc, 62, v12
	s_waitcnt lgkmcnt(0)
	v_add_f64 v[2:3], v[2:3], v[4:5]
	v_cndmask_b32_e64 v4, 0, 2, vcc
	v_add_lshl_u32 v9, v4, v10, 2
	ds_bpermute_b32 v4, v9, v2
	ds_bpermute_b32 v5, v9, v3
	v_cmp_ne_u32_e32 vcc, 63, v12
	s_waitcnt lgkmcnt(0)
	v_add_f64 v[2:3], v[2:3], v[4:5]
	v_addc_co_u32_e32 v4, vcc, 0, v10, vcc
	v_lshlrev_b32_e32 v10, 2, v4
	ds_bpermute_b32 v4, v10, v2
	ds_bpermute_b32 v5, v10, v3
	v_cmp_eq_u32_e32 vcc, 0, v11
	s_and_saveexec_b64 s[4:5], vcc
	s_cbranch_execz .LBB25_6
; %bb.5:
	v_lshrrev_b32_e32 v12, 3, v0
	s_waitcnt lgkmcnt(0)
	v_add_f64 v[2:3], v[2:3], v[4:5]
	ds_write_b64 v12, v[2:3]
.LBB25_6:
	s_or_b64 exec, exec, s[4:5]
	s_waitcnt lgkmcnt(0)
	s_barrier
	s_load_dword s3, s[0:1], 0xc9c
	v_mov_b64_e32 v[2:3], 0
	s_waitcnt lgkmcnt(0)
	s_bfe_u32 s3, s3, 0xa0006
	v_cmp_gt_u32_e32 vcc, s3, v0
	s_and_saveexec_b64 s[4:5], vcc
; %bb.7:
	v_lshlrev_b32_e32 v2, 3, v11
	ds_read_b64 v[2:3], v2
; %bb.8:
	s_or_b64 exec, exec, s[4:5]
	v_cmp_gt_u32_e32 vcc, 64, v0
	s_and_saveexec_b64 s[4:5], vcc
	s_cbranch_execz .LBB25_10
; %bb.9:
	s_waitcnt lgkmcnt(0)
	ds_bpermute_b32 v4, v1, v2
	ds_bpermute_b32 v5, v1, v3
	s_waitcnt lgkmcnt(0)
	v_add_f64 v[2:3], v[2:3], v[4:5]
	ds_bpermute_b32 v4, v6, v2
	ds_bpermute_b32 v5, v6, v3
	s_waitcnt lgkmcnt(0)
	v_add_f64 v[2:3], v[2:3], v[4:5]
	;; [unrolled: 4-line block ×6, first 2 shown]
.LBB25_10:
	s_or_b64 exec, exec, s[4:5]
	s_mov_b32 s3, 0
	v_cmp_eq_u32_e32 vcc, 0, v0
	s_and_saveexec_b64 s[4:5], vcc
	s_cbranch_execz .LBB25_12
; %bb.11:
	s_lshl_b64 s[2:3], s[2:3], 3
	s_add_u32 s0, s0, s2
	s_addc_u32 s1, s1, s3
	s_load_dwordx2 s[0:1], s[0:1], 0x8
	v_mov_b32_e32 v0, 0
	s_waitcnt lgkmcnt(0)
	global_store_dwordx2 v0, v[2:3], s[0:1]
.LBB25_12:
	s_endpgm
	.section	.rodata,"a",@progbits
	.p2align	6, 0x0
	.amdhsa_kernel _ZN2at6native14lpnorm_cleanupIdLNS0_8NormTypeE1EdLb1EdEEvPKT3_NS0_19TensorListAddressesEi
		.amdhsa_group_segment_fixed_size 4096
		.amdhsa_private_segment_fixed_size 0
		.amdhsa_kernarg_size 3472
		.amdhsa_user_sgpr_count 2
		.amdhsa_user_sgpr_dispatch_ptr 0
		.amdhsa_user_sgpr_queue_ptr 0
		.amdhsa_user_sgpr_kernarg_segment_ptr 1
		.amdhsa_user_sgpr_dispatch_id 0
		.amdhsa_user_sgpr_kernarg_preload_length 0
		.amdhsa_user_sgpr_kernarg_preload_offset 0
		.amdhsa_user_sgpr_private_segment_size 0
		.amdhsa_uses_dynamic_stack 0
		.amdhsa_enable_private_segment 0
		.amdhsa_system_sgpr_workgroup_id_x 1
		.amdhsa_system_sgpr_workgroup_id_y 0
		.amdhsa_system_sgpr_workgroup_id_z 0
		.amdhsa_system_sgpr_workgroup_info 0
		.amdhsa_system_vgpr_workitem_id 0
		.amdhsa_next_free_vgpr 13
		.amdhsa_next_free_sgpr 16
		.amdhsa_accum_offset 16
		.amdhsa_reserve_vcc 1
		.amdhsa_float_round_mode_32 0
		.amdhsa_float_round_mode_16_64 0
		.amdhsa_float_denorm_mode_32 3
		.amdhsa_float_denorm_mode_16_64 3
		.amdhsa_dx10_clamp 1
		.amdhsa_ieee_mode 1
		.amdhsa_fp16_overflow 0
		.amdhsa_tg_split 0
		.amdhsa_exception_fp_ieee_invalid_op 0
		.amdhsa_exception_fp_denorm_src 0
		.amdhsa_exception_fp_ieee_div_zero 0
		.amdhsa_exception_fp_ieee_overflow 0
		.amdhsa_exception_fp_ieee_underflow 0
		.amdhsa_exception_fp_ieee_inexact 0
		.amdhsa_exception_int_div_zero 0
	.end_amdhsa_kernel
	.section	.text._ZN2at6native14lpnorm_cleanupIdLNS0_8NormTypeE1EdLb1EdEEvPKT3_NS0_19TensorListAddressesEi,"axG",@progbits,_ZN2at6native14lpnorm_cleanupIdLNS0_8NormTypeE1EdLb1EdEEvPKT3_NS0_19TensorListAddressesEi,comdat
.Lfunc_end25:
	.size	_ZN2at6native14lpnorm_cleanupIdLNS0_8NormTypeE1EdLb1EdEEvPKT3_NS0_19TensorListAddressesEi, .Lfunc_end25-_ZN2at6native14lpnorm_cleanupIdLNS0_8NormTypeE1EdLb1EdEEvPKT3_NS0_19TensorListAddressesEi
                                        ; -- End function
	.set _ZN2at6native14lpnorm_cleanupIdLNS0_8NormTypeE1EdLb1EdEEvPKT3_NS0_19TensorListAddressesEi.num_vgpr, 13
	.set _ZN2at6native14lpnorm_cleanupIdLNS0_8NormTypeE1EdLb1EdEEvPKT3_NS0_19TensorListAddressesEi.num_agpr, 0
	.set _ZN2at6native14lpnorm_cleanupIdLNS0_8NormTypeE1EdLb1EdEEvPKT3_NS0_19TensorListAddressesEi.numbered_sgpr, 16
	.set _ZN2at6native14lpnorm_cleanupIdLNS0_8NormTypeE1EdLb1EdEEvPKT3_NS0_19TensorListAddressesEi.num_named_barrier, 0
	.set _ZN2at6native14lpnorm_cleanupIdLNS0_8NormTypeE1EdLb1EdEEvPKT3_NS0_19TensorListAddressesEi.private_seg_size, 0
	.set _ZN2at6native14lpnorm_cleanupIdLNS0_8NormTypeE1EdLb1EdEEvPKT3_NS0_19TensorListAddressesEi.uses_vcc, 1
	.set _ZN2at6native14lpnorm_cleanupIdLNS0_8NormTypeE1EdLb1EdEEvPKT3_NS0_19TensorListAddressesEi.uses_flat_scratch, 0
	.set _ZN2at6native14lpnorm_cleanupIdLNS0_8NormTypeE1EdLb1EdEEvPKT3_NS0_19TensorListAddressesEi.has_dyn_sized_stack, 0
	.set _ZN2at6native14lpnorm_cleanupIdLNS0_8NormTypeE1EdLb1EdEEvPKT3_NS0_19TensorListAddressesEi.has_recursion, 0
	.set _ZN2at6native14lpnorm_cleanupIdLNS0_8NormTypeE1EdLb1EdEEvPKT3_NS0_19TensorListAddressesEi.has_indirect_call, 0
	.section	.AMDGPU.csdata,"",@progbits
; Kernel info:
; codeLenInByte = 812
; TotalNumSgprs: 22
; NumVgprs: 13
; NumAgprs: 0
; TotalNumVgprs: 13
; ScratchSize: 0
; MemoryBound: 0
; FloatMode: 240
; IeeeMode: 1
; LDSByteSize: 4096 bytes/workgroup (compile time only)
; SGPRBlocks: 2
; VGPRBlocks: 1
; NumSGPRsForWavesPerEU: 22
; NumVGPRsForWavesPerEU: 13
; AccumOffset: 16
; Occupancy: 8
; WaveLimiterHint : 0
; COMPUTE_PGM_RSRC2:SCRATCH_EN: 0
; COMPUTE_PGM_RSRC2:USER_SGPR: 2
; COMPUTE_PGM_RSRC2:TRAP_HANDLER: 0
; COMPUTE_PGM_RSRC2:TGID_X_EN: 1
; COMPUTE_PGM_RSRC2:TGID_Y_EN: 0
; COMPUTE_PGM_RSRC2:TGID_Z_EN: 0
; COMPUTE_PGM_RSRC2:TIDIG_COMP_CNT: 0
; COMPUTE_PGM_RSRC3_GFX90A:ACCUM_OFFSET: 3
; COMPUTE_PGM_RSRC3_GFX90A:TG_SPLIT: 0
	.section	.text._ZN2at6native14lpnorm_cleanupIdLNS0_8NormTypeE2EdLb1EdEEvPKT3_NS0_19TensorListAddressesEi,"axG",@progbits,_ZN2at6native14lpnorm_cleanupIdLNS0_8NormTypeE2EdLb1EdEEvPKT3_NS0_19TensorListAddressesEi,comdat
	.protected	_ZN2at6native14lpnorm_cleanupIdLNS0_8NormTypeE2EdLb1EdEEvPKT3_NS0_19TensorListAddressesEi ; -- Begin function _ZN2at6native14lpnorm_cleanupIdLNS0_8NormTypeE2EdLb1EdEEvPKT3_NS0_19TensorListAddressesEi
	.globl	_ZN2at6native14lpnorm_cleanupIdLNS0_8NormTypeE2EdLb1EdEEvPKT3_NS0_19TensorListAddressesEi
	.p2align	8
	.type	_ZN2at6native14lpnorm_cleanupIdLNS0_8NormTypeE2EdLb1EdEEvPKT3_NS0_19TensorListAddressesEi,@function
_ZN2at6native14lpnorm_cleanupIdLNS0_8NormTypeE2EdLb1EdEEvPKT3_NS0_19TensorListAddressesEi: ; @_ZN2at6native14lpnorm_cleanupIdLNS0_8NormTypeE2EdLb1EdEEvPKT3_NS0_19TensorListAddressesEi
; %bb.0:
	s_load_dword s6, s[0:1], 0xc88
	v_mov_b64_e32 v[2:3], 0
	s_waitcnt lgkmcnt(0)
	v_cmp_gt_u32_e32 vcc, s6, v0
	s_and_saveexec_b64 s[4:5], vcc
	s_cbranch_execz .LBB26_4
; %bb.1:
	s_load_dwordx2 s[12:13], s[0:1], 0x0
	s_load_dword s3, s[0:1], 0xc9c
	s_mul_i32 s8, s6, s2
	s_mov_b32 s9, 0
	s_ashr_i32 s7, s6, 31
	s_lshl_b64 s[14:15], s[8:9], 3
	s_waitcnt lgkmcnt(0)
	s_and_b32 s10, s3, 0xffff
	v_mov_b32_e32 v1, 0
	s_add_u32 s12, s12, s14
	v_lshlrev_b32_e32 v2, 3, v0
	v_mov_b32_e32 v3, v1
	s_addc_u32 s13, s13, s15
	s_mov_b32 s11, s9
	v_lshl_add_u64 v[4:5], s[12:13], 0, v[2:3]
	s_lshl_b32 s8, s10, 3
	v_mov_b64_e32 v[2:3], 0
	s_mov_b64 s[12:13], 0
	v_mov_b64_e32 v[6:7], v[0:1]
.LBB26_2:                               ; =>This Inner Loop Header: Depth=1
	global_load_dwordx2 v[8:9], v[4:5], off
	v_lshl_add_u64 v[6:7], v[6:7], 0, s[10:11]
	v_cmp_le_u64_e32 vcc, s[6:7], v[6:7]
	v_lshl_add_u64 v[4:5], v[4:5], 0, s[8:9]
	s_or_b64 s[12:13], vcc, s[12:13]
	s_waitcnt vmcnt(0)
	v_add_f64 v[2:3], v[2:3], v[8:9]
	s_andn2_b64 exec, exec, s[12:13]
	s_cbranch_execnz .LBB26_2
; %bb.3:
	s_or_b64 exec, exec, s[12:13]
.LBB26_4:
	s_or_b64 exec, exec, s[4:5]
	v_mbcnt_lo_u32_b32 v1, -1, 0
	v_mbcnt_hi_u32_b32 v10, -1, v1
	v_mov_b32_e32 v1, 0x80
	v_lshl_or_b32 v1, v10, 2, v1
	ds_bpermute_b32 v4, v1, v2
	ds_bpermute_b32 v5, v1, v3
	v_and_b32_e32 v12, 63, v10
	v_cmp_gt_u32_e32 vcc, 48, v12
	v_and_b32_e32 v11, 63, v0
	s_waitcnt lgkmcnt(0)
	v_add_f64 v[2:3], v[2:3], v[4:5]
	v_cndmask_b32_e64 v4, 0, 16, vcc
	v_add_lshl_u32 v6, v4, v10, 2
	ds_bpermute_b32 v4, v6, v2
	ds_bpermute_b32 v5, v6, v3
	v_cmp_gt_u32_e32 vcc, 56, v12
	s_barrier
	s_waitcnt lgkmcnt(0)
	v_add_f64 v[2:3], v[2:3], v[4:5]
	v_cndmask_b32_e64 v4, 0, 8, vcc
	v_add_lshl_u32 v7, v4, v10, 2
	ds_bpermute_b32 v4, v7, v2
	ds_bpermute_b32 v5, v7, v3
	v_cmp_gt_u32_e32 vcc, 60, v12
	s_waitcnt lgkmcnt(0)
	v_add_f64 v[2:3], v[2:3], v[4:5]
	v_cndmask_b32_e64 v4, 0, 4, vcc
	v_add_lshl_u32 v8, v4, v10, 2
	ds_bpermute_b32 v4, v8, v2
	ds_bpermute_b32 v5, v8, v3
	v_cmp_gt_u32_e32 vcc, 62, v12
	s_waitcnt lgkmcnt(0)
	v_add_f64 v[2:3], v[2:3], v[4:5]
	v_cndmask_b32_e64 v4, 0, 2, vcc
	v_add_lshl_u32 v9, v4, v10, 2
	ds_bpermute_b32 v4, v9, v2
	ds_bpermute_b32 v5, v9, v3
	v_cmp_ne_u32_e32 vcc, 63, v12
	s_waitcnt lgkmcnt(0)
	v_add_f64 v[2:3], v[2:3], v[4:5]
	v_addc_co_u32_e32 v4, vcc, 0, v10, vcc
	v_lshlrev_b32_e32 v10, 2, v4
	ds_bpermute_b32 v4, v10, v2
	ds_bpermute_b32 v5, v10, v3
	v_cmp_eq_u32_e32 vcc, 0, v11
	s_and_saveexec_b64 s[4:5], vcc
	s_cbranch_execz .LBB26_6
; %bb.5:
	v_lshrrev_b32_e32 v12, 3, v0
	s_waitcnt lgkmcnt(0)
	v_add_f64 v[2:3], v[2:3], v[4:5]
	ds_write_b64 v12, v[2:3]
.LBB26_6:
	s_or_b64 exec, exec, s[4:5]
	s_waitcnt lgkmcnt(0)
	s_barrier
	s_load_dword s3, s[0:1], 0xc9c
	v_mov_b64_e32 v[2:3], 0
	s_waitcnt lgkmcnt(0)
	s_bfe_u32 s3, s3, 0xa0006
	v_cmp_gt_u32_e32 vcc, s3, v0
	s_and_saveexec_b64 s[4:5], vcc
; %bb.7:
	v_lshlrev_b32_e32 v2, 3, v11
	ds_read_b64 v[2:3], v2
; %bb.8:
	s_or_b64 exec, exec, s[4:5]
	v_cmp_gt_u32_e32 vcc, 64, v0
	s_and_saveexec_b64 s[4:5], vcc
	s_cbranch_execz .LBB26_10
; %bb.9:
	s_waitcnt lgkmcnt(0)
	ds_bpermute_b32 v4, v1, v2
	ds_bpermute_b32 v5, v1, v3
	s_waitcnt lgkmcnt(0)
	v_add_f64 v[2:3], v[2:3], v[4:5]
	ds_bpermute_b32 v4, v6, v2
	ds_bpermute_b32 v5, v6, v3
	s_waitcnt lgkmcnt(0)
	v_add_f64 v[2:3], v[2:3], v[4:5]
	;; [unrolled: 4-line block ×6, first 2 shown]
.LBB26_10:
	s_or_b64 exec, exec, s[4:5]
	s_mov_b32 s3, 0
	v_cmp_eq_u32_e32 vcc, 0, v0
	s_and_saveexec_b64 s[4:5], vcc
	s_cbranch_execz .LBB26_12
; %bb.11:
	s_mov_b32 s4, 0
	s_brev_b32 s5, 8
	v_mov_b32_e32 v0, 0x100
	s_waitcnt lgkmcnt(0)
	v_cmp_gt_f64_e32 vcc, s[4:5], v[2:3]
	s_lshl_b64 s[2:3], s[2:3], 3
	s_add_u32 s0, s0, s2
	v_cndmask_b32_e32 v0, 0, v0, vcc
	v_ldexp_f64 v[0:1], v[2:3], v0
	v_rsq_f64_e32 v[2:3], v[0:1]
	s_addc_u32 s1, s1, s3
	s_load_dwordx2 s[0:1], s[0:1], 0x8
	v_mul_f64 v[4:5], v[0:1], v[2:3]
	v_mul_f64 v[2:3], v[2:3], 0.5
	v_fma_f64 v[6:7], -v[2:3], v[4:5], 0.5
	v_fmac_f64_e32 v[4:5], v[4:5], v[6:7]
	v_fma_f64 v[8:9], -v[4:5], v[4:5], v[0:1]
	v_fmac_f64_e32 v[2:3], v[2:3], v[6:7]
	v_fmac_f64_e32 v[4:5], v[8:9], v[2:3]
	v_fma_f64 v[6:7], -v[4:5], v[4:5], v[0:1]
	v_fmac_f64_e32 v[4:5], v[6:7], v[2:3]
	v_mov_b32_e32 v2, 0xffffff80
	v_cndmask_b32_e32 v2, 0, v2, vcc
	v_ldexp_f64 v[2:3], v[4:5], v2
	v_mov_b32_e32 v4, 0x260
	v_cmp_class_f64_e32 vcc, v[0:1], v4
	s_nop 1
	v_cndmask_b32_e32 v1, v3, v1, vcc
	v_cndmask_b32_e32 v0, v2, v0, vcc
	v_mov_b32_e32 v2, 0
	s_waitcnt lgkmcnt(0)
	global_store_dwordx2 v2, v[0:1], s[0:1]
.LBB26_12:
	s_endpgm
	.section	.rodata,"a",@progbits
	.p2align	6, 0x0
	.amdhsa_kernel _ZN2at6native14lpnorm_cleanupIdLNS0_8NormTypeE2EdLb1EdEEvPKT3_NS0_19TensorListAddressesEi
		.amdhsa_group_segment_fixed_size 4096
		.amdhsa_private_segment_fixed_size 0
		.amdhsa_kernarg_size 3472
		.amdhsa_user_sgpr_count 2
		.amdhsa_user_sgpr_dispatch_ptr 0
		.amdhsa_user_sgpr_queue_ptr 0
		.amdhsa_user_sgpr_kernarg_segment_ptr 1
		.amdhsa_user_sgpr_dispatch_id 0
		.amdhsa_user_sgpr_kernarg_preload_length 0
		.amdhsa_user_sgpr_kernarg_preload_offset 0
		.amdhsa_user_sgpr_private_segment_size 0
		.amdhsa_uses_dynamic_stack 0
		.amdhsa_enable_private_segment 0
		.amdhsa_system_sgpr_workgroup_id_x 1
		.amdhsa_system_sgpr_workgroup_id_y 0
		.amdhsa_system_sgpr_workgroup_id_z 0
		.amdhsa_system_sgpr_workgroup_info 0
		.amdhsa_system_vgpr_workitem_id 0
		.amdhsa_next_free_vgpr 13
		.amdhsa_next_free_sgpr 16
		.amdhsa_accum_offset 16
		.amdhsa_reserve_vcc 1
		.amdhsa_float_round_mode_32 0
		.amdhsa_float_round_mode_16_64 0
		.amdhsa_float_denorm_mode_32 3
		.amdhsa_float_denorm_mode_16_64 3
		.amdhsa_dx10_clamp 1
		.amdhsa_ieee_mode 1
		.amdhsa_fp16_overflow 0
		.amdhsa_tg_split 0
		.amdhsa_exception_fp_ieee_invalid_op 0
		.amdhsa_exception_fp_denorm_src 0
		.amdhsa_exception_fp_ieee_div_zero 0
		.amdhsa_exception_fp_ieee_overflow 0
		.amdhsa_exception_fp_ieee_underflow 0
		.amdhsa_exception_fp_ieee_inexact 0
		.amdhsa_exception_int_div_zero 0
	.end_amdhsa_kernel
	.section	.text._ZN2at6native14lpnorm_cleanupIdLNS0_8NormTypeE2EdLb1EdEEvPKT3_NS0_19TensorListAddressesEi,"axG",@progbits,_ZN2at6native14lpnorm_cleanupIdLNS0_8NormTypeE2EdLb1EdEEvPKT3_NS0_19TensorListAddressesEi,comdat
.Lfunc_end26:
	.size	_ZN2at6native14lpnorm_cleanupIdLNS0_8NormTypeE2EdLb1EdEEvPKT3_NS0_19TensorListAddressesEi, .Lfunc_end26-_ZN2at6native14lpnorm_cleanupIdLNS0_8NormTypeE2EdLb1EdEEvPKT3_NS0_19TensorListAddressesEi
                                        ; -- End function
	.set _ZN2at6native14lpnorm_cleanupIdLNS0_8NormTypeE2EdLb1EdEEvPKT3_NS0_19TensorListAddressesEi.num_vgpr, 13
	.set _ZN2at6native14lpnorm_cleanupIdLNS0_8NormTypeE2EdLb1EdEEvPKT3_NS0_19TensorListAddressesEi.num_agpr, 0
	.set _ZN2at6native14lpnorm_cleanupIdLNS0_8NormTypeE2EdLb1EdEEvPKT3_NS0_19TensorListAddressesEi.numbered_sgpr, 16
	.set _ZN2at6native14lpnorm_cleanupIdLNS0_8NormTypeE2EdLb1EdEEvPKT3_NS0_19TensorListAddressesEi.num_named_barrier, 0
	.set _ZN2at6native14lpnorm_cleanupIdLNS0_8NormTypeE2EdLb1EdEEvPKT3_NS0_19TensorListAddressesEi.private_seg_size, 0
	.set _ZN2at6native14lpnorm_cleanupIdLNS0_8NormTypeE2EdLb1EdEEvPKT3_NS0_19TensorListAddressesEi.uses_vcc, 1
	.set _ZN2at6native14lpnorm_cleanupIdLNS0_8NormTypeE2EdLb1EdEEvPKT3_NS0_19TensorListAddressesEi.uses_flat_scratch, 0
	.set _ZN2at6native14lpnorm_cleanupIdLNS0_8NormTypeE2EdLb1EdEEvPKT3_NS0_19TensorListAddressesEi.has_dyn_sized_stack, 0
	.set _ZN2at6native14lpnorm_cleanupIdLNS0_8NormTypeE2EdLb1EdEEvPKT3_NS0_19TensorListAddressesEi.has_recursion, 0
	.set _ZN2at6native14lpnorm_cleanupIdLNS0_8NormTypeE2EdLb1EdEEvPKT3_NS0_19TensorListAddressesEi.has_indirect_call, 0
	.section	.AMDGPU.csdata,"",@progbits
; Kernel info:
; codeLenInByte = 952
; TotalNumSgprs: 22
; NumVgprs: 13
; NumAgprs: 0
; TotalNumVgprs: 13
; ScratchSize: 0
; MemoryBound: 0
; FloatMode: 240
; IeeeMode: 1
; LDSByteSize: 4096 bytes/workgroup (compile time only)
; SGPRBlocks: 2
; VGPRBlocks: 1
; NumSGPRsForWavesPerEU: 22
; NumVGPRsForWavesPerEU: 13
; AccumOffset: 16
; Occupancy: 8
; WaveLimiterHint : 0
; COMPUTE_PGM_RSRC2:SCRATCH_EN: 0
; COMPUTE_PGM_RSRC2:USER_SGPR: 2
; COMPUTE_PGM_RSRC2:TRAP_HANDLER: 0
; COMPUTE_PGM_RSRC2:TGID_X_EN: 1
; COMPUTE_PGM_RSRC2:TGID_Y_EN: 0
; COMPUTE_PGM_RSRC2:TGID_Z_EN: 0
; COMPUTE_PGM_RSRC2:TIDIG_COMP_CNT: 0
; COMPUTE_PGM_RSRC3_GFX90A:ACCUM_OFFSET: 3
; COMPUTE_PGM_RSRC3_GFX90A:TG_SPLIT: 0
	.section	.text._ZN2at6native14lpnorm_cleanupIdLNS0_8NormTypeE3EdLb1EdEEvPKT3_NS0_19TensorListAddressesEi,"axG",@progbits,_ZN2at6native14lpnorm_cleanupIdLNS0_8NormTypeE3EdLb1EdEEvPKT3_NS0_19TensorListAddressesEi,comdat
	.protected	_ZN2at6native14lpnorm_cleanupIdLNS0_8NormTypeE3EdLb1EdEEvPKT3_NS0_19TensorListAddressesEi ; -- Begin function _ZN2at6native14lpnorm_cleanupIdLNS0_8NormTypeE3EdLb1EdEEvPKT3_NS0_19TensorListAddressesEi
	.globl	_ZN2at6native14lpnorm_cleanupIdLNS0_8NormTypeE3EdLb1EdEEvPKT3_NS0_19TensorListAddressesEi
	.p2align	8
	.type	_ZN2at6native14lpnorm_cleanupIdLNS0_8NormTypeE3EdLb1EdEEvPKT3_NS0_19TensorListAddressesEi,@function
_ZN2at6native14lpnorm_cleanupIdLNS0_8NormTypeE3EdLb1EdEEvPKT3_NS0_19TensorListAddressesEi: ; @_ZN2at6native14lpnorm_cleanupIdLNS0_8NormTypeE3EdLb1EdEEvPKT3_NS0_19TensorListAddressesEi
; %bb.0:
	s_load_dword s10, s[0:1], 0xc88
	v_mov_b64_e32 v[2:3], 0
	s_waitcnt lgkmcnt(0)
	v_cmp_gt_u32_e32 vcc, s10, v0
	s_and_saveexec_b64 s[8:9], vcc
	s_cbranch_execz .LBB27_4
; %bb.1:
	s_load_dwordx2 s[4:5], s[0:1], 0x0
	s_load_dword s3, s[0:1], 0xc9c
	s_mul_i32 s12, s10, s2
	s_mov_b32 s13, 0
	s_ashr_i32 s11, s10, 31
	s_lshl_b64 s[6:7], s[12:13], 3
	s_waitcnt lgkmcnt(0)
	s_and_b32 s14, s3, 0xffff
	v_mov_b32_e32 v1, 0
	s_add_u32 s4, s4, s6
	v_lshlrev_b32_e32 v2, 3, v0
	v_mov_b32_e32 v3, v1
	s_addc_u32 s5, s5, s7
	s_mov_b32 s15, s13
	v_lshl_add_u64 v[4:5], s[4:5], 0, v[2:3]
	s_lshl_b32 s12, s14, 3
	v_mov_b64_e32 v[2:3], 0
	s_mov_b64 s[16:17], 0
	v_mov_b64_e32 v[6:7], v[0:1]
.LBB27_2:                               ; =>This Inner Loop Header: Depth=1
	global_load_dwordx2 v[8:9], v[4:5], off
	v_lshl_add_u64 v[6:7], v[6:7], 0, s[14:15]
	v_cmp_le_u64_e32 vcc, s[10:11], v[6:7]
	v_lshl_add_u64 v[4:5], v[4:5], 0, s[12:13]
	s_waitcnt vmcnt(0)
	v_cmp_u_f64_e64 s[4:5], v[8:9], v[8:9]
	v_cmp_lt_f64_e64 s[6:7], v[2:3], v[8:9]
	s_or_b64 s[4:5], s[4:5], s[6:7]
	v_cndmask_b32_e64 v3, v3, v9, s[4:5]
	s_or_b64 s[16:17], vcc, s[16:17]
	v_cndmask_b32_e64 v2, v2, v8, s[4:5]
	s_andn2_b64 exec, exec, s[16:17]
	s_cbranch_execnz .LBB27_2
; %bb.3:
	s_or_b64 exec, exec, s[16:17]
.LBB27_4:
	s_or_b64 exec, exec, s[8:9]
	v_mbcnt_lo_u32_b32 v1, -1, 0
	v_mbcnt_hi_u32_b32 v10, -1, v1
	v_mov_b32_e32 v1, 0x80
	v_lshl_or_b32 v1, v10, 2, v1
	ds_bpermute_b32 v4, v1, v2
	ds_bpermute_b32 v5, v1, v3
	v_and_b32_e32 v12, 63, v10
	v_and_b32_e32 v11, 63, v0
	s_waitcnt lgkmcnt(0)
	s_barrier
	v_cmp_u_f64_e32 vcc, v[4:5], v[4:5]
	v_cmp_lt_f64_e64 s[4:5], v[2:3], v[4:5]
	s_or_b64 vcc, vcc, s[4:5]
	v_cndmask_b32_e32 v3, v3, v5, vcc
	v_cndmask_b32_e32 v2, v2, v4, vcc
	v_cmp_gt_u32_e32 vcc, 48, v12
	s_nop 1
	v_cndmask_b32_e64 v4, 0, 16, vcc
	v_add_lshl_u32 v6, v4, v10, 2
	ds_bpermute_b32 v4, v6, v2
	ds_bpermute_b32 v5, v6, v3
	s_waitcnt lgkmcnt(0)
	v_cmp_u_f64_e32 vcc, v[4:5], v[4:5]
	v_cmp_lt_f64_e64 s[4:5], v[2:3], v[4:5]
	s_or_b64 vcc, vcc, s[4:5]
	v_cndmask_b32_e32 v3, v3, v5, vcc
	v_cndmask_b32_e32 v2, v2, v4, vcc
	v_cmp_gt_u32_e32 vcc, 56, v12
	s_nop 1
	v_cndmask_b32_e64 v4, 0, 8, vcc
	v_add_lshl_u32 v7, v4, v10, 2
	ds_bpermute_b32 v4, v7, v2
	ds_bpermute_b32 v5, v7, v3
	s_waitcnt lgkmcnt(0)
	;; [unrolled: 12-line block ×4, first 2 shown]
	v_cmp_u_f64_e32 vcc, v[4:5], v[4:5]
	v_cmp_lt_f64_e64 s[4:5], v[2:3], v[4:5]
	s_or_b64 vcc, vcc, s[4:5]
	v_cndmask_b32_e32 v3, v3, v5, vcc
	v_cndmask_b32_e32 v2, v2, v4, vcc
	v_cmp_ne_u32_e32 vcc, 63, v12
	s_nop 1
	v_addc_co_u32_e32 v4, vcc, 0, v10, vcc
	v_lshlrev_b32_e32 v10, 2, v4
	ds_bpermute_b32 v4, v10, v2
	ds_bpermute_b32 v5, v10, v3
	v_cmp_eq_u32_e32 vcc, 0, v11
	s_and_saveexec_b64 s[6:7], vcc
	s_cbranch_execz .LBB27_6
; %bb.5:
	s_waitcnt lgkmcnt(0)
	v_cmp_u_f64_e32 vcc, v[4:5], v[4:5]
	v_cmp_lt_f64_e64 s[4:5], v[2:3], v[4:5]
	s_or_b64 vcc, vcc, s[4:5]
	v_lshrrev_b32_e32 v12, 3, v0
	v_cndmask_b32_e32 v3, v3, v5, vcc
	v_cndmask_b32_e32 v2, v2, v4, vcc
	ds_write_b64 v12, v[2:3]
.LBB27_6:
	s_or_b64 exec, exec, s[6:7]
	s_waitcnt lgkmcnt(0)
	s_barrier
	s_load_dword s3, s[0:1], 0xc9c
	v_mov_b32_e32 v2, -1
	v_mov_b32_e32 v3, 0xffefffff
	s_waitcnt lgkmcnt(0)
	s_bfe_u32 s3, s3, 0xa0006
	v_cmp_gt_u32_e32 vcc, s3, v0
	s_and_saveexec_b64 s[4:5], vcc
; %bb.7:
	v_lshlrev_b32_e32 v2, 3, v11
	ds_read_b64 v[2:3], v2
; %bb.8:
	s_or_b64 exec, exec, s[4:5]
	v_cmp_gt_u32_e32 vcc, 64, v0
	s_and_saveexec_b64 s[6:7], vcc
	s_cbranch_execz .LBB27_10
; %bb.9:
	s_waitcnt lgkmcnt(0)
	ds_bpermute_b32 v4, v1, v2
	ds_bpermute_b32 v5, v1, v3
	s_waitcnt lgkmcnt(0)
	v_cmp_u_f64_e32 vcc, v[4:5], v[4:5]
	v_cmp_lt_f64_e64 s[4:5], v[2:3], v[4:5]
	s_or_b64 vcc, vcc, s[4:5]
	v_cndmask_b32_e32 v3, v3, v5, vcc
	v_cndmask_b32_e32 v2, v2, v4, vcc
	ds_bpermute_b32 v5, v6, v3
	ds_bpermute_b32 v4, v6, v2
	s_waitcnt lgkmcnt(0)
	v_cmp_u_f64_e32 vcc, v[4:5], v[4:5]
	v_cmp_lt_f64_e64 s[4:5], v[2:3], v[4:5]
	s_or_b64 vcc, vcc, s[4:5]
	v_cndmask_b32_e32 v3, v3, v5, vcc
	v_cndmask_b32_e32 v2, v2, v4, vcc
	;; [unrolled: 8-line block ×6, first 2 shown]
.LBB27_10:
	s_or_b64 exec, exec, s[6:7]
	s_mov_b32 s3, 0
	v_cmp_eq_u32_e32 vcc, 0, v0
	s_and_saveexec_b64 s[4:5], vcc
	s_cbranch_execz .LBB27_12
; %bb.11:
	s_lshl_b64 s[2:3], s[2:3], 3
	s_add_u32 s0, s0, s2
	s_addc_u32 s1, s1, s3
	s_load_dwordx2 s[0:1], s[0:1], 0x8
	v_mov_b32_e32 v0, 0
	s_waitcnt lgkmcnt(0)
	global_store_dwordx2 v0, v[2:3], s[0:1]
.LBB27_12:
	s_endpgm
	.section	.rodata,"a",@progbits
	.p2align	6, 0x0
	.amdhsa_kernel _ZN2at6native14lpnorm_cleanupIdLNS0_8NormTypeE3EdLb1EdEEvPKT3_NS0_19TensorListAddressesEi
		.amdhsa_group_segment_fixed_size 4096
		.amdhsa_private_segment_fixed_size 0
		.amdhsa_kernarg_size 3472
		.amdhsa_user_sgpr_count 2
		.amdhsa_user_sgpr_dispatch_ptr 0
		.amdhsa_user_sgpr_queue_ptr 0
		.amdhsa_user_sgpr_kernarg_segment_ptr 1
		.amdhsa_user_sgpr_dispatch_id 0
		.amdhsa_user_sgpr_kernarg_preload_length 0
		.amdhsa_user_sgpr_kernarg_preload_offset 0
		.amdhsa_user_sgpr_private_segment_size 0
		.amdhsa_uses_dynamic_stack 0
		.amdhsa_enable_private_segment 0
		.amdhsa_system_sgpr_workgroup_id_x 1
		.amdhsa_system_sgpr_workgroup_id_y 0
		.amdhsa_system_sgpr_workgroup_id_z 0
		.amdhsa_system_sgpr_workgroup_info 0
		.amdhsa_system_vgpr_workitem_id 0
		.amdhsa_next_free_vgpr 13
		.amdhsa_next_free_sgpr 18
		.amdhsa_accum_offset 16
		.amdhsa_reserve_vcc 1
		.amdhsa_float_round_mode_32 0
		.amdhsa_float_round_mode_16_64 0
		.amdhsa_float_denorm_mode_32 3
		.amdhsa_float_denorm_mode_16_64 3
		.amdhsa_dx10_clamp 1
		.amdhsa_ieee_mode 1
		.amdhsa_fp16_overflow 0
		.amdhsa_tg_split 0
		.amdhsa_exception_fp_ieee_invalid_op 0
		.amdhsa_exception_fp_denorm_src 0
		.amdhsa_exception_fp_ieee_div_zero 0
		.amdhsa_exception_fp_ieee_overflow 0
		.amdhsa_exception_fp_ieee_underflow 0
		.amdhsa_exception_fp_ieee_inexact 0
		.amdhsa_exception_int_div_zero 0
	.end_amdhsa_kernel
	.section	.text._ZN2at6native14lpnorm_cleanupIdLNS0_8NormTypeE3EdLb1EdEEvPKT3_NS0_19TensorListAddressesEi,"axG",@progbits,_ZN2at6native14lpnorm_cleanupIdLNS0_8NormTypeE3EdLb1EdEEvPKT3_NS0_19TensorListAddressesEi,comdat
.Lfunc_end27:
	.size	_ZN2at6native14lpnorm_cleanupIdLNS0_8NormTypeE3EdLb1EdEEvPKT3_NS0_19TensorListAddressesEi, .Lfunc_end27-_ZN2at6native14lpnorm_cleanupIdLNS0_8NormTypeE3EdLb1EdEEvPKT3_NS0_19TensorListAddressesEi
                                        ; -- End function
	.set _ZN2at6native14lpnorm_cleanupIdLNS0_8NormTypeE3EdLb1EdEEvPKT3_NS0_19TensorListAddressesEi.num_vgpr, 13
	.set _ZN2at6native14lpnorm_cleanupIdLNS0_8NormTypeE3EdLb1EdEEvPKT3_NS0_19TensorListAddressesEi.num_agpr, 0
	.set _ZN2at6native14lpnorm_cleanupIdLNS0_8NormTypeE3EdLb1EdEEvPKT3_NS0_19TensorListAddressesEi.numbered_sgpr, 18
	.set _ZN2at6native14lpnorm_cleanupIdLNS0_8NormTypeE3EdLb1EdEEvPKT3_NS0_19TensorListAddressesEi.num_named_barrier, 0
	.set _ZN2at6native14lpnorm_cleanupIdLNS0_8NormTypeE3EdLb1EdEEvPKT3_NS0_19TensorListAddressesEi.private_seg_size, 0
	.set _ZN2at6native14lpnorm_cleanupIdLNS0_8NormTypeE3EdLb1EdEEvPKT3_NS0_19TensorListAddressesEi.uses_vcc, 1
	.set _ZN2at6native14lpnorm_cleanupIdLNS0_8NormTypeE3EdLb1EdEEvPKT3_NS0_19TensorListAddressesEi.uses_flat_scratch, 0
	.set _ZN2at6native14lpnorm_cleanupIdLNS0_8NormTypeE3EdLb1EdEEvPKT3_NS0_19TensorListAddressesEi.has_dyn_sized_stack, 0
	.set _ZN2at6native14lpnorm_cleanupIdLNS0_8NormTypeE3EdLb1EdEEvPKT3_NS0_19TensorListAddressesEi.has_recursion, 0
	.set _ZN2at6native14lpnorm_cleanupIdLNS0_8NormTypeE3EdLb1EdEEvPKT3_NS0_19TensorListAddressesEi.has_indirect_call, 0
	.section	.AMDGPU.csdata,"",@progbits
; Kernel info:
; codeLenInByte = 1060
; TotalNumSgprs: 24
; NumVgprs: 13
; NumAgprs: 0
; TotalNumVgprs: 13
; ScratchSize: 0
; MemoryBound: 0
; FloatMode: 240
; IeeeMode: 1
; LDSByteSize: 4096 bytes/workgroup (compile time only)
; SGPRBlocks: 2
; VGPRBlocks: 1
; NumSGPRsForWavesPerEU: 24
; NumVGPRsForWavesPerEU: 13
; AccumOffset: 16
; Occupancy: 8
; WaveLimiterHint : 0
; COMPUTE_PGM_RSRC2:SCRATCH_EN: 0
; COMPUTE_PGM_RSRC2:USER_SGPR: 2
; COMPUTE_PGM_RSRC2:TRAP_HANDLER: 0
; COMPUTE_PGM_RSRC2:TGID_X_EN: 1
; COMPUTE_PGM_RSRC2:TGID_Y_EN: 0
; COMPUTE_PGM_RSRC2:TGID_Z_EN: 0
; COMPUTE_PGM_RSRC2:TIDIG_COMP_CNT: 0
; COMPUTE_PGM_RSRC3_GFX90A:ACCUM_OFFSET: 3
; COMPUTE_PGM_RSRC3_GFX90A:TG_SPLIT: 0
	.section	.text._ZN2at6native12_GLOBAL__N_125multi_tensor_apply_kernelINS1_18TensorListMetadataILi1EEENS0_13LpNormFunctorIdLNS0_8NormTypeE0EfLi1ELi1ELi0EEEJPfiEEEvT_T0_DpT1_,"axG",@progbits,_ZN2at6native12_GLOBAL__N_125multi_tensor_apply_kernelINS1_18TensorListMetadataILi1EEENS0_13LpNormFunctorIdLNS0_8NormTypeE0EfLi1ELi1ELi0EEEJPfiEEEvT_T0_DpT1_,comdat
	.globl	_ZN2at6native12_GLOBAL__N_125multi_tensor_apply_kernelINS1_18TensorListMetadataILi1EEENS0_13LpNormFunctorIdLNS0_8NormTypeE0EfLi1ELi1ELi0EEEJPfiEEEvT_T0_DpT1_ ; -- Begin function _ZN2at6native12_GLOBAL__N_125multi_tensor_apply_kernelINS1_18TensorListMetadataILi1EEENS0_13LpNormFunctorIdLNS0_8NormTypeE0EfLi1ELi1ELi0EEEJPfiEEEvT_T0_DpT1_
	.p2align	8
	.type	_ZN2at6native12_GLOBAL__N_125multi_tensor_apply_kernelINS1_18TensorListMetadataILi1EEENS0_13LpNormFunctorIdLNS0_8NormTypeE0EfLi1ELi1ELi0EEEJPfiEEEvT_T0_DpT1_,@function
_ZN2at6native12_GLOBAL__N_125multi_tensor_apply_kernelINS1_18TensorListMetadataILi1EEENS0_13LpNormFunctorIdLNS0_8NormTypeE0EfLi1ELi1ELi0EEEJPfiEEEvT_T0_DpT1_: ; @_ZN2at6native12_GLOBAL__N_125multi_tensor_apply_kernelINS1_18TensorListMetadataILi1EEENS0_13LpNormFunctorIdLNS0_8NormTypeE0EfLi1ELi1ELi0EEEJPfiEEEvT_T0_DpT1_
; %bb.0:
	v_mov_b32_e32 v1, s2
	global_load_ubyte v1, v1, s[0:1] offset:1760
	s_add_u32 s3, s0, s2
	s_mul_hi_u32 s4, s2, 3
	s_mul_i32 s2, s2, 3
	s_addc_u32 s5, s1, 0
	s_add_u32 s2, s3, s2
	s_addc_u32 s3, s5, s4
	s_load_dword s4, s[2:3], 0x820
	s_mov_b32 s15, 0
	s_waitcnt vmcnt(0)
	v_readfirstlane_b32 s2, v1
	s_and_b32 s16, s2, 0xff
	s_lshl_b32 s5, s16, 3
	s_load_dwordx2 s[2:3], s[0:1], s5 offset:0x370
	s_load_dwordx2 s[6:7], s[0:1], s5 offset:0x0
	s_waitcnt lgkmcnt(0)
	s_ashr_i32 s5, s4, 31
	s_lshl_b64 s[10:11], s[4:5], 16
	s_lshl_b64 s[8:9], s[4:5], 19
	s_add_u32 s12, s6, s8
	s_addc_u32 s13, s7, s9
	s_sub_u32 s10, s2, s10
	s_subb_u32 s11, s3, s11
	s_and_b32 s14, s2, 3
	s_and_b32 s2, s12, 31
	s_mov_b32 s3, s15
	s_or_b64 s[2:3], s[14:15], s[2:3]
	s_cmp_eq_u64 s[2:3], 0
	s_cbranch_scc1 .LBB28_12
; %bb.1:
	v_cmp_lt_i64_e64 s[2:3], s[10:11], 1
	s_and_b64 vcc, exec, s[2:3]
	s_cbranch_vccnz .LBB28_13
; %bb.2:
	s_load_dword s14, s[0:1], 0xd4c
	v_mov_b64_e32 v[2:3], 0x10000
	v_cmp_lt_i64_e32 vcc, s[10:11], v[2:3]
	s_and_b64 s[2:3], vcc, exec
	v_mov_b32_e32 v7, 0
	s_cselect_b32 s3, s11, 0
	s_cselect_b32 s2, s10, 0x10000
	s_waitcnt lgkmcnt(0)
	s_and_b32 s18, s14, 0xffff
	v_mov_b32_e32 v6, v7
	v_mad_u64_u32 v[12:13], s[14:15], s18, 3, v[0:1]
	v_mov_b32_e32 v8, v7
	v_mov_b32_e32 v9, v7
	v_mov_b64_e32 v[2:3], v[6:7]
	s_mov_b32 s5, 0x10000
	s_lshl_b32 s17, s18, 2
	v_lshl_add_u32 v10, s18, 1, v0
	v_add_u32_e32 v14, s18, v0
	s_mov_b64 s[14:15], 0
	v_mov_b64_e32 v[16:17], s[2:3]
	v_mov_b64_e32 v[4:5], v[8:9]
	s_branch .LBB28_4
.LBB28_3:                               ;   in Loop: Header=BB28_4 Depth=1
	s_or_b64 exec, exec, s[2:3]
	s_add_u32 s14, s14, s17
	s_addc_u32 s15, s15, 0
	v_cmp_lt_i64_e32 vcc, s[14:15], v[16:17]
	s_cbranch_vccz .LBB28_14
.LBB28_4:                               ; =>This Inner Loop Header: Depth=1
	v_add_u32_e32 v6, s14, v0
	v_cmp_gt_i64_e32 vcc, s[10:11], v[6:7]
	v_cmp_gt_u32_e64 s[2:3], s5, v6
	s_and_b64 s[18:19], s[2:3], vcc
	s_and_saveexec_b64 s[2:3], s[18:19]
	s_cbranch_execz .LBB28_6
; %bb.5:                                ;   in Loop: Header=BB28_4 Depth=1
	v_lshl_add_u64 v[8:9], v[6:7], 3, s[12:13]
	global_load_dwordx2 v[8:9], v[8:9], off
	s_waitcnt vmcnt(0)
	v_cvt_f32_f64_e32 v1, v[8:9]
	v_cmp_neq_f32_e32 vcc, 0, v1
	s_nop 1
	v_cndmask_b32_e64 v1, 0, 1.0, vcc
	v_add_f32_e32 v2, v2, v1
.LBB28_6:                               ;   in Loop: Header=BB28_4 Depth=1
	s_or_b64 exec, exec, s[2:3]
	v_add_u32_e32 v6, s14, v14
	v_cmp_gt_i64_e32 vcc, s[10:11], v[6:7]
	v_cmp_gt_u32_e64 s[2:3], s5, v6
	s_and_b64 s[18:19], s[2:3], vcc
	s_and_saveexec_b64 s[2:3], s[18:19]
	s_cbranch_execz .LBB28_8
; %bb.7:                                ;   in Loop: Header=BB28_4 Depth=1
	v_lshl_add_u64 v[8:9], v[6:7], 3, s[12:13]
	global_load_dwordx2 v[8:9], v[8:9], off
	s_waitcnt vmcnt(0)
	v_cvt_f32_f64_e32 v1, v[8:9]
	v_cmp_neq_f32_e32 vcc, 0, v1
	s_nop 1
	v_cndmask_b32_e64 v1, 0, 1.0, vcc
	v_add_f32_e32 v3, v3, v1
.LBB28_8:                               ;   in Loop: Header=BB28_4 Depth=1
	s_or_b64 exec, exec, s[2:3]
	v_add_u32_e32 v6, s14, v10
	v_cmp_gt_i64_e32 vcc, s[10:11], v[6:7]
	v_cmp_gt_u32_e64 s[2:3], s5, v6
	s_and_b64 s[18:19], s[2:3], vcc
	s_and_saveexec_b64 s[2:3], s[18:19]
	s_cbranch_execz .LBB28_10
; %bb.9:                                ;   in Loop: Header=BB28_4 Depth=1
	v_lshl_add_u64 v[8:9], v[6:7], 3, s[12:13]
	global_load_dwordx2 v[8:9], v[8:9], off
	s_waitcnt vmcnt(0)
	v_cvt_f32_f64_e32 v1, v[8:9]
	v_cmp_neq_f32_e32 vcc, 0, v1
	s_nop 1
	v_cndmask_b32_e64 v1, 0, 1.0, vcc
	v_add_f32_e32 v4, v4, v1
.LBB28_10:                              ;   in Loop: Header=BB28_4 Depth=1
	s_or_b64 exec, exec, s[2:3]
	v_add_u32_e32 v6, s14, v12
	v_cmp_gt_i64_e32 vcc, s[10:11], v[6:7]
	v_cmp_gt_u32_e64 s[2:3], s5, v6
	s_and_b64 s[18:19], s[2:3], vcc
	s_and_saveexec_b64 s[2:3], s[18:19]
	s_cbranch_execz .LBB28_3
; %bb.11:                               ;   in Loop: Header=BB28_4 Depth=1
	v_lshl_add_u64 v[8:9], v[6:7], 3, s[12:13]
	global_load_dwordx2 v[8:9], v[8:9], off
	s_waitcnt vmcnt(0)
	v_cvt_f32_f64_e32 v1, v[8:9]
	v_cmp_neq_f32_e32 vcc, 0, v1
	s_nop 1
	v_cndmask_b32_e64 v1, 0, 1.0, vcc
	v_add_f32_e32 v5, v5, v1
	s_branch .LBB28_3
.LBB28_12:
                                        ; implicit-def: $vgpr2_vgpr3_vgpr4_vgpr5
	s_branch .LBB28_15
.LBB28_13:
	v_mov_b32_e32 v2, 0
	v_mov_b32_e32 v3, v2
	;; [unrolled: 1-line block ×4, first 2 shown]
.LBB28_14:
	s_cbranch_execnz .LBB28_20
.LBB28_15:
	v_mov_b64_e32 v[4:5], 0x10000
	v_cmp_lt_i64_e32 vcc, s[10:11], v[4:5]
	s_and_b64 s[2:3], vcc, exec
	v_mov_b32_e32 v3, 0
	s_cselect_b32 s3, s11, 0
	s_cselect_b32 s2, s10, 0x10000
	v_lshlrev_b32_e32 v2, 2, v0
	v_cmp_gt_i64_e32 vcc, s[2:3], v[2:3]
	s_mov_b32 s13, 0
	v_mov_b32_e32 v2, v3
	v_mov_b32_e32 v4, v3
	v_mov_b32_e32 v5, v3
	s_and_saveexec_b64 s[10:11], vcc
	s_cbranch_execz .LBB28_19
; %bb.16:
	s_load_dword s5, s[0:1], 0xd4c
	v_lshlrev_b32_e32 v2, 5, v0
	v_mov_b32_e32 v1, v3
	s_mov_b32 s15, s13
	v_mov_b64_e32 v[10:11], v[0:1]
	s_waitcnt lgkmcnt(0)
	s_and_b32 s12, s5, 0xffff
	s_add_u32 s6, s6, s8
	s_addc_u32 s7, s7, s9
	v_lshl_add_u64 v[4:5], s[6:7], 0, v[2:3]
	s_lshl_b32 s14, s12, 5
	v_lshl_add_u64 v[8:9], v[4:5], 0, 16
	s_mov_b64 s[6:7], 0
	v_mov_b32_e32 v5, 0
	v_mov_b32_e32 v6, 0
	;; [unrolled: 1-line block ×3, first 2 shown]
.LBB28_17:                              ; =>This Inner Loop Header: Depth=1
	global_load_dwordx4 v[12:15], v[8:9], off offset:-16
	global_load_dwordx4 v[16:19], v[8:9], off
	v_lshl_add_u64 v[10:11], v[10:11], 0, s[12:13]
	v_lshlrev_b64 v[20:21], 2, v[10:11]
	v_cmp_le_i64_e32 vcc, s[2:3], v[20:21]
	s_or_b64 s[6:7], vcc, s[6:7]
	v_lshl_add_u64 v[8:9], v[8:9], 0, s[14:15]
	s_waitcnt vmcnt(1)
	v_cvt_f32_f64_e32 v1, v[12:13]
	v_cvt_f32_f64_e32 v2, v[14:15]
	v_cmp_neq_f32_e32 vcc, 0, v1
	s_waitcnt vmcnt(0)
	v_cvt_f32_f64_e32 v4, v[16:17]
	v_cvt_f32_f64_e32 v12, v[18:19]
	v_cndmask_b32_e64 v1, 0, 1.0, vcc
	v_cmp_neq_f32_e32 vcc, 0, v2
	v_add_f32_e32 v3, v3, v1
	s_nop 0
	v_cndmask_b32_e64 v2, 0, 1.0, vcc
	v_cmp_neq_f32_e32 vcc, 0, v4
	v_add_f32_e32 v5, v5, v2
	s_nop 0
	;; [unrolled: 4-line block ×3, first 2 shown]
	v_cndmask_b32_e64 v12, 0, 1.0, vcc
	v_add_f32_e32 v7, v7, v12
	s_andn2_b64 exec, exec, s[6:7]
	s_cbranch_execnz .LBB28_17
; %bb.18:
	s_or_b64 exec, exec, s[6:7]
	v_mov_b32_e32 v4, v3
	v_mov_b64_e32 v[2:3], v[4:5]
	v_mov_b64_e32 v[4:5], v[6:7]
.LBB28_19:
	s_or_b64 exec, exec, s[10:11]
.LBB28_20:
	v_add_f32_e32 v1, 0, v2
	v_add_f32_e32 v1, v3, v1
	v_add_f32_e32 v1, v4, v1
	v_add_f32_e32 v2, v5, v1
	v_mbcnt_lo_u32_b32 v1, -1, 0
	v_mbcnt_hi_u32_b32 v6, -1, v1
	v_mov_b32_e32 v1, 0x80
	v_lshl_or_b32 v1, v6, 2, v1
	ds_bpermute_b32 v3, v1, v2
	v_and_b32_e32 v9, 63, v6
	v_cmp_gt_u32_e32 vcc, 48, v9
	s_waitcnt lgkmcnt(0)
	s_barrier
	v_add_f32_e32 v3, v2, v3
	v_cndmask_b32_e64 v2, 0, 16, vcc
	v_add_lshl_u32 v2, v2, v6, 2
	ds_bpermute_b32 v4, v2, v3
	v_cmp_gt_u32_e32 vcc, 56, v9
	s_waitcnt lgkmcnt(0)
	v_add_f32_e32 v4, v3, v4
	v_cndmask_b32_e64 v3, 0, 8, vcc
	v_add_lshl_u32 v3, v3, v6, 2
	ds_bpermute_b32 v5, v3, v4
	v_cmp_gt_u32_e32 vcc, 60, v9
	s_waitcnt lgkmcnt(0)
	;; [unrolled: 6-line block ×3, first 2 shown]
	v_add_f32_e32 v7, v5, v7
	v_cndmask_b32_e64 v8, 0, 2, vcc
	v_add_lshl_u32 v5, v8, v6, 2
	ds_bpermute_b32 v10, v5, v7
	v_cmp_ne_u32_e32 vcc, 63, v9
	v_and_b32_e32 v8, 63, v0
	s_waitcnt lgkmcnt(0)
	v_add_f32_e32 v7, v7, v10
	v_addc_co_u32_e32 v6, vcc, 0, v6, vcc
	v_lshlrev_b32_e32 v6, 2, v6
	ds_bpermute_b32 v9, v6, v7
	v_cmp_eq_u32_e32 vcc, 0, v8
	s_and_saveexec_b64 s[2:3], vcc
	s_cbranch_execz .LBB28_22
; %bb.21:
	v_lshrrev_b32_e32 v10, 4, v0
	s_waitcnt lgkmcnt(0)
	v_add_f32_e32 v7, v7, v9
	ds_write_b32 v10, v7
.LBB28_22:
	s_or_b64 exec, exec, s[2:3]
	s_waitcnt lgkmcnt(0)
	s_barrier
	s_load_dword s2, s[0:1], 0xd4c
	v_mov_b32_e32 v7, 0
	s_waitcnt lgkmcnt(0)
	s_bfe_u32 s2, s2, 0xa0006
	v_cmp_gt_u32_e32 vcc, s2, v0
	s_and_saveexec_b64 s[2:3], vcc
	s_cbranch_execnz .LBB28_26
; %bb.23:
	s_or_b64 exec, exec, s[2:3]
	v_cmp_gt_u32_e32 vcc, 64, v0
	s_and_saveexec_b64 s[2:3], vcc
	s_cbranch_execnz .LBB28_27
.LBB28_24:
	s_or_b64 exec, exec, s[2:3]
	v_cmp_eq_u32_e32 vcc, 0, v0
	s_and_saveexec_b64 s[2:3], vcc
	s_cbranch_execnz .LBB28_28
.LBB28_25:
	s_endpgm
.LBB28_26:
	v_lshlrev_b32_e32 v7, 2, v8
	ds_read_b32 v7, v7
	s_or_b64 exec, exec, s[2:3]
	v_cmp_gt_u32_e32 vcc, 64, v0
	s_and_saveexec_b64 s[2:3], vcc
	s_cbranch_execz .LBB28_24
.LBB28_27:
	s_waitcnt lgkmcnt(0)
	ds_bpermute_b32 v1, v1, v7
	s_waitcnt lgkmcnt(0)
	v_add_f32_e32 v1, v7, v1
	ds_bpermute_b32 v2, v2, v1
	s_waitcnt lgkmcnt(0)
	v_add_f32_e32 v1, v1, v2
	;; [unrolled: 3-line block ×6, first 2 shown]
	s_or_b64 exec, exec, s[2:3]
	v_cmp_eq_u32_e32 vcc, 0, v0
	s_and_saveexec_b64 s[2:3], vcc
	s_cbranch_execz .LBB28_25
.LBB28_28:
	s_load_dword s5, s[0:1], 0xd20
	s_load_dword s6, s[0:1], 0xd38
	s_load_dwordx2 s[2:3], s[0:1], 0xd30
	v_mov_b32_e32 v0, 0
	s_waitcnt lgkmcnt(0)
	s_add_i32 s0, s5, s16
	s_mul_i32 s0, s0, s6
	s_add_i32 s0, s0, s4
	s_ashr_i32 s1, s0, 31
	s_lshl_b64 s[0:1], s[0:1], 2
	s_add_u32 s0, s2, s0
	s_addc_u32 s1, s3, s1
	global_store_dword v0, v7, s[0:1]
	s_endpgm
	.section	.rodata,"a",@progbits
	.p2align	6, 0x0
	.amdhsa_kernel _ZN2at6native12_GLOBAL__N_125multi_tensor_apply_kernelINS1_18TensorListMetadataILi1EEENS0_13LpNormFunctorIdLNS0_8NormTypeE0EfLi1ELi1ELi0EEEJPfiEEEvT_T0_DpT1_
		.amdhsa_group_segment_fixed_size 2048
		.amdhsa_private_segment_fixed_size 0
		.amdhsa_kernarg_size 3648
		.amdhsa_user_sgpr_count 2
		.amdhsa_user_sgpr_dispatch_ptr 0
		.amdhsa_user_sgpr_queue_ptr 0
		.amdhsa_user_sgpr_kernarg_segment_ptr 1
		.amdhsa_user_sgpr_dispatch_id 0
		.amdhsa_user_sgpr_kernarg_preload_length 0
		.amdhsa_user_sgpr_kernarg_preload_offset 0
		.amdhsa_user_sgpr_private_segment_size 0
		.amdhsa_uses_dynamic_stack 0
		.amdhsa_enable_private_segment 0
		.amdhsa_system_sgpr_workgroup_id_x 1
		.amdhsa_system_sgpr_workgroup_id_y 0
		.amdhsa_system_sgpr_workgroup_id_z 0
		.amdhsa_system_sgpr_workgroup_info 0
		.amdhsa_system_vgpr_workitem_id 0
		.amdhsa_next_free_vgpr 22
		.amdhsa_next_free_sgpr 20
		.amdhsa_accum_offset 24
		.amdhsa_reserve_vcc 1
		.amdhsa_float_round_mode_32 0
		.amdhsa_float_round_mode_16_64 0
		.amdhsa_float_denorm_mode_32 3
		.amdhsa_float_denorm_mode_16_64 3
		.amdhsa_dx10_clamp 1
		.amdhsa_ieee_mode 1
		.amdhsa_fp16_overflow 0
		.amdhsa_tg_split 0
		.amdhsa_exception_fp_ieee_invalid_op 0
		.amdhsa_exception_fp_denorm_src 0
		.amdhsa_exception_fp_ieee_div_zero 0
		.amdhsa_exception_fp_ieee_overflow 0
		.amdhsa_exception_fp_ieee_underflow 0
		.amdhsa_exception_fp_ieee_inexact 0
		.amdhsa_exception_int_div_zero 0
	.end_amdhsa_kernel
	.section	.text._ZN2at6native12_GLOBAL__N_125multi_tensor_apply_kernelINS1_18TensorListMetadataILi1EEENS0_13LpNormFunctorIdLNS0_8NormTypeE0EfLi1ELi1ELi0EEEJPfiEEEvT_T0_DpT1_,"axG",@progbits,_ZN2at6native12_GLOBAL__N_125multi_tensor_apply_kernelINS1_18TensorListMetadataILi1EEENS0_13LpNormFunctorIdLNS0_8NormTypeE0EfLi1ELi1ELi0EEEJPfiEEEvT_T0_DpT1_,comdat
.Lfunc_end28:
	.size	_ZN2at6native12_GLOBAL__N_125multi_tensor_apply_kernelINS1_18TensorListMetadataILi1EEENS0_13LpNormFunctorIdLNS0_8NormTypeE0EfLi1ELi1ELi0EEEJPfiEEEvT_T0_DpT1_, .Lfunc_end28-_ZN2at6native12_GLOBAL__N_125multi_tensor_apply_kernelINS1_18TensorListMetadataILi1EEENS0_13LpNormFunctorIdLNS0_8NormTypeE0EfLi1ELi1ELi0EEEJPfiEEEvT_T0_DpT1_
                                        ; -- End function
	.set _ZN2at6native12_GLOBAL__N_125multi_tensor_apply_kernelINS1_18TensorListMetadataILi1EEENS0_13LpNormFunctorIdLNS0_8NormTypeE0EfLi1ELi1ELi0EEEJPfiEEEvT_T0_DpT1_.num_vgpr, 22
	.set _ZN2at6native12_GLOBAL__N_125multi_tensor_apply_kernelINS1_18TensorListMetadataILi1EEENS0_13LpNormFunctorIdLNS0_8NormTypeE0EfLi1ELi1ELi0EEEJPfiEEEvT_T0_DpT1_.num_agpr, 0
	.set _ZN2at6native12_GLOBAL__N_125multi_tensor_apply_kernelINS1_18TensorListMetadataILi1EEENS0_13LpNormFunctorIdLNS0_8NormTypeE0EfLi1ELi1ELi0EEEJPfiEEEvT_T0_DpT1_.numbered_sgpr, 20
	.set _ZN2at6native12_GLOBAL__N_125multi_tensor_apply_kernelINS1_18TensorListMetadataILi1EEENS0_13LpNormFunctorIdLNS0_8NormTypeE0EfLi1ELi1ELi0EEEJPfiEEEvT_T0_DpT1_.num_named_barrier, 0
	.set _ZN2at6native12_GLOBAL__N_125multi_tensor_apply_kernelINS1_18TensorListMetadataILi1EEENS0_13LpNormFunctorIdLNS0_8NormTypeE0EfLi1ELi1ELi0EEEJPfiEEEvT_T0_DpT1_.private_seg_size, 0
	.set _ZN2at6native12_GLOBAL__N_125multi_tensor_apply_kernelINS1_18TensorListMetadataILi1EEENS0_13LpNormFunctorIdLNS0_8NormTypeE0EfLi1ELi1ELi0EEEJPfiEEEvT_T0_DpT1_.uses_vcc, 1
	.set _ZN2at6native12_GLOBAL__N_125multi_tensor_apply_kernelINS1_18TensorListMetadataILi1EEENS0_13LpNormFunctorIdLNS0_8NormTypeE0EfLi1ELi1ELi0EEEJPfiEEEvT_T0_DpT1_.uses_flat_scratch, 0
	.set _ZN2at6native12_GLOBAL__N_125multi_tensor_apply_kernelINS1_18TensorListMetadataILi1EEENS0_13LpNormFunctorIdLNS0_8NormTypeE0EfLi1ELi1ELi0EEEJPfiEEEvT_T0_DpT1_.has_dyn_sized_stack, 0
	.set _ZN2at6native12_GLOBAL__N_125multi_tensor_apply_kernelINS1_18TensorListMetadataILi1EEENS0_13LpNormFunctorIdLNS0_8NormTypeE0EfLi1ELi1ELi0EEEJPfiEEEvT_T0_DpT1_.has_recursion, 0
	.set _ZN2at6native12_GLOBAL__N_125multi_tensor_apply_kernelINS1_18TensorListMetadataILi1EEENS0_13LpNormFunctorIdLNS0_8NormTypeE0EfLi1ELi1ELi0EEEJPfiEEEvT_T0_DpT1_.has_indirect_call, 0
	.section	.AMDGPU.csdata,"",@progbits
; Kernel info:
; codeLenInByte = 1512
; TotalNumSgprs: 26
; NumVgprs: 22
; NumAgprs: 0
; TotalNumVgprs: 22
; ScratchSize: 0
; MemoryBound: 0
; FloatMode: 240
; IeeeMode: 1
; LDSByteSize: 2048 bytes/workgroup (compile time only)
; SGPRBlocks: 3
; VGPRBlocks: 2
; NumSGPRsForWavesPerEU: 26
; NumVGPRsForWavesPerEU: 22
; AccumOffset: 24
; Occupancy: 8
; WaveLimiterHint : 0
; COMPUTE_PGM_RSRC2:SCRATCH_EN: 0
; COMPUTE_PGM_RSRC2:USER_SGPR: 2
; COMPUTE_PGM_RSRC2:TRAP_HANDLER: 0
; COMPUTE_PGM_RSRC2:TGID_X_EN: 1
; COMPUTE_PGM_RSRC2:TGID_Y_EN: 0
; COMPUTE_PGM_RSRC2:TGID_Z_EN: 0
; COMPUTE_PGM_RSRC2:TIDIG_COMP_CNT: 0
; COMPUTE_PGM_RSRC3_GFX90A:ACCUM_OFFSET: 5
; COMPUTE_PGM_RSRC3_GFX90A:TG_SPLIT: 0
	.section	.text._ZN2at6native12_GLOBAL__N_125multi_tensor_apply_kernelINS1_18TensorListMetadataILi1EEENS0_13LpNormFunctorIdLNS0_8NormTypeE1EfLi1ELi1ELi0EEEJPfiEEEvT_T0_DpT1_,"axG",@progbits,_ZN2at6native12_GLOBAL__N_125multi_tensor_apply_kernelINS1_18TensorListMetadataILi1EEENS0_13LpNormFunctorIdLNS0_8NormTypeE1EfLi1ELi1ELi0EEEJPfiEEEvT_T0_DpT1_,comdat
	.globl	_ZN2at6native12_GLOBAL__N_125multi_tensor_apply_kernelINS1_18TensorListMetadataILi1EEENS0_13LpNormFunctorIdLNS0_8NormTypeE1EfLi1ELi1ELi0EEEJPfiEEEvT_T0_DpT1_ ; -- Begin function _ZN2at6native12_GLOBAL__N_125multi_tensor_apply_kernelINS1_18TensorListMetadataILi1EEENS0_13LpNormFunctorIdLNS0_8NormTypeE1EfLi1ELi1ELi0EEEJPfiEEEvT_T0_DpT1_
	.p2align	8
	.type	_ZN2at6native12_GLOBAL__N_125multi_tensor_apply_kernelINS1_18TensorListMetadataILi1EEENS0_13LpNormFunctorIdLNS0_8NormTypeE1EfLi1ELi1ELi0EEEJPfiEEEvT_T0_DpT1_,@function
_ZN2at6native12_GLOBAL__N_125multi_tensor_apply_kernelINS1_18TensorListMetadataILi1EEENS0_13LpNormFunctorIdLNS0_8NormTypeE1EfLi1ELi1ELi0EEEJPfiEEEvT_T0_DpT1_: ; @_ZN2at6native12_GLOBAL__N_125multi_tensor_apply_kernelINS1_18TensorListMetadataILi1EEENS0_13LpNormFunctorIdLNS0_8NormTypeE1EfLi1ELi1ELi0EEEJPfiEEEvT_T0_DpT1_
; %bb.0:
	v_mov_b32_e32 v1, s2
	global_load_ubyte v1, v1, s[0:1] offset:1760
	s_add_u32 s3, s0, s2
	s_mul_hi_u32 s4, s2, 3
	s_mul_i32 s2, s2, 3
	s_addc_u32 s5, s1, 0
	s_add_u32 s2, s3, s2
	s_addc_u32 s3, s5, s4
	s_load_dword s4, s[2:3], 0x820
	s_mov_b32 s15, 0
	s_waitcnt vmcnt(0)
	v_readfirstlane_b32 s2, v1
	s_and_b32 s16, s2, 0xff
	s_lshl_b32 s5, s16, 3
	s_load_dwordx2 s[2:3], s[0:1], s5 offset:0x370
	s_load_dwordx2 s[6:7], s[0:1], s5 offset:0x0
	s_waitcnt lgkmcnt(0)
	s_ashr_i32 s5, s4, 31
	s_lshl_b64 s[10:11], s[4:5], 16
	s_lshl_b64 s[8:9], s[4:5], 19
	s_add_u32 s12, s6, s8
	s_addc_u32 s13, s7, s9
	s_sub_u32 s10, s2, s10
	s_subb_u32 s11, s3, s11
	s_and_b32 s14, s2, 3
	s_and_b32 s2, s12, 31
	s_mov_b32 s3, s15
	s_or_b64 s[2:3], s[14:15], s[2:3]
	s_cmp_eq_u64 s[2:3], 0
	s_cbranch_scc1 .LBB29_12
; %bb.1:
	v_cmp_lt_i64_e64 s[2:3], s[10:11], 1
	s_and_b64 vcc, exec, s[2:3]
	s_cbranch_vccnz .LBB29_13
; %bb.2:
	s_load_dword s14, s[0:1], 0xd4c
	v_mov_b64_e32 v[2:3], 0x10000
	v_cmp_lt_i64_e32 vcc, s[10:11], v[2:3]
	s_and_b64 s[2:3], vcc, exec
	v_mov_b32_e32 v7, 0
	s_cselect_b32 s3, s11, 0
	s_cselect_b32 s2, s10, 0x10000
	s_waitcnt lgkmcnt(0)
	s_and_b32 s18, s14, 0xffff
	v_mov_b32_e32 v6, v7
	v_mad_u64_u32 v[12:13], s[14:15], s18, 3, v[0:1]
	v_mov_b32_e32 v8, v7
	v_mov_b32_e32 v9, v7
	v_mov_b64_e32 v[2:3], v[6:7]
	s_mov_b32 s5, 0x10000
	s_lshl_b32 s17, s18, 2
	v_lshl_add_u32 v10, s18, 1, v0
	v_add_u32_e32 v14, s18, v0
	s_mov_b64 s[14:15], 0
	v_mov_b64_e32 v[16:17], s[2:3]
	v_mov_b64_e32 v[4:5], v[8:9]
	s_branch .LBB29_4
.LBB29_3:                               ;   in Loop: Header=BB29_4 Depth=1
	s_or_b64 exec, exec, s[2:3]
	s_add_u32 s14, s14, s17
	s_addc_u32 s15, s15, 0
	v_cmp_lt_i64_e32 vcc, s[14:15], v[16:17]
	s_cbranch_vccz .LBB29_14
.LBB29_4:                               ; =>This Inner Loop Header: Depth=1
	v_add_u32_e32 v6, s14, v0
	v_cmp_gt_i64_e32 vcc, s[10:11], v[6:7]
	v_cmp_gt_u32_e64 s[2:3], s5, v6
	s_and_b64 s[18:19], s[2:3], vcc
	s_and_saveexec_b64 s[2:3], s[18:19]
	s_cbranch_execz .LBB29_6
; %bb.5:                                ;   in Loop: Header=BB29_4 Depth=1
	v_lshl_add_u64 v[8:9], v[6:7], 3, s[12:13]
	global_load_dwordx2 v[8:9], v[8:9], off
	s_waitcnt vmcnt(0)
	v_cvt_f32_f64_e32 v1, v[8:9]
	v_add_f32_e64 v2, v2, |v1|
.LBB29_6:                               ;   in Loop: Header=BB29_4 Depth=1
	s_or_b64 exec, exec, s[2:3]
	v_add_u32_e32 v6, s14, v14
	v_cmp_gt_i64_e32 vcc, s[10:11], v[6:7]
	v_cmp_gt_u32_e64 s[2:3], s5, v6
	s_and_b64 s[18:19], s[2:3], vcc
	s_and_saveexec_b64 s[2:3], s[18:19]
	s_cbranch_execz .LBB29_8
; %bb.7:                                ;   in Loop: Header=BB29_4 Depth=1
	v_lshl_add_u64 v[8:9], v[6:7], 3, s[12:13]
	global_load_dwordx2 v[8:9], v[8:9], off
	s_waitcnt vmcnt(0)
	v_cvt_f32_f64_e32 v1, v[8:9]
	v_add_f32_e64 v3, v3, |v1|
.LBB29_8:                               ;   in Loop: Header=BB29_4 Depth=1
	s_or_b64 exec, exec, s[2:3]
	v_add_u32_e32 v6, s14, v10
	v_cmp_gt_i64_e32 vcc, s[10:11], v[6:7]
	v_cmp_gt_u32_e64 s[2:3], s5, v6
	s_and_b64 s[18:19], s[2:3], vcc
	s_and_saveexec_b64 s[2:3], s[18:19]
	s_cbranch_execz .LBB29_10
; %bb.9:                                ;   in Loop: Header=BB29_4 Depth=1
	v_lshl_add_u64 v[8:9], v[6:7], 3, s[12:13]
	global_load_dwordx2 v[8:9], v[8:9], off
	s_waitcnt vmcnt(0)
	v_cvt_f32_f64_e32 v1, v[8:9]
	v_add_f32_e64 v4, v4, |v1|
.LBB29_10:                              ;   in Loop: Header=BB29_4 Depth=1
	s_or_b64 exec, exec, s[2:3]
	v_add_u32_e32 v6, s14, v12
	v_cmp_gt_i64_e32 vcc, s[10:11], v[6:7]
	v_cmp_gt_u32_e64 s[2:3], s5, v6
	s_and_b64 s[18:19], s[2:3], vcc
	s_and_saveexec_b64 s[2:3], s[18:19]
	s_cbranch_execz .LBB29_3
; %bb.11:                               ;   in Loop: Header=BB29_4 Depth=1
	v_lshl_add_u64 v[8:9], v[6:7], 3, s[12:13]
	global_load_dwordx2 v[8:9], v[8:9], off
	s_waitcnt vmcnt(0)
	v_cvt_f32_f64_e32 v1, v[8:9]
	v_add_f32_e64 v5, v5, |v1|
	s_branch .LBB29_3
.LBB29_12:
                                        ; implicit-def: $vgpr2_vgpr3_vgpr4_vgpr5
	s_branch .LBB29_15
.LBB29_13:
	v_mov_b32_e32 v2, 0
	v_mov_b32_e32 v3, v2
	;; [unrolled: 1-line block ×4, first 2 shown]
.LBB29_14:
	s_cbranch_execnz .LBB29_20
.LBB29_15:
	v_mov_b64_e32 v[4:5], 0x10000
	v_cmp_lt_i64_e32 vcc, s[10:11], v[4:5]
	v_mov_b32_e32 v2, 0
	s_and_b64 s[2:3], vcc, exec
	s_cselect_b32 s3, s11, 0
	s_cselect_b32 s2, s10, 0x10000
	v_lshlrev_b32_e32 v4, 2, v0
	v_mov_b32_e32 v5, v2
	v_cmp_gt_i64_e32 vcc, s[2:3], v[4:5]
	s_mov_b32 s13, 0
	v_mov_b32_e32 v3, v2
	v_mov_b32_e32 v4, v2
	s_and_saveexec_b64 s[10:11], vcc
	s_cbranch_execz .LBB29_19
; %bb.16:
	s_load_dword s5, s[0:1], 0xd4c
	v_lshlrev_b32_e32 v4, 5, v0
	v_mov_b32_e32 v5, v2
	v_mov_b32_e32 v1, v2
	v_mov_b64_e32 v[8:9], v[0:1]
	s_waitcnt lgkmcnt(0)
	s_and_b32 s12, s5, 0xffff
	s_add_u32 s8, s6, s8
	s_addc_u32 s9, s7, s9
	v_lshl_add_u64 v[4:5], s[8:9], 0, v[4:5]
	s_lshl_b32 s6, s12, 5
	v_lshl_add_u64 v[6:7], v[4:5], 0, 16
	s_mov_b32 s7, s13
	s_mov_b64 s[8:9], 0
	v_mov_b32_e32 v3, v2
	v_mov_b32_e32 v4, v2
	;; [unrolled: 1-line block ×3, first 2 shown]
.LBB29_17:                              ; =>This Inner Loop Header: Depth=1
	global_load_dwordx4 v[10:13], v[6:7], off offset:-16
	global_load_dwordx4 v[14:17], v[6:7], off
	v_lshl_add_u64 v[8:9], v[8:9], 0, s[12:13]
	v_lshlrev_b64 v[18:19], 2, v[8:9]
	v_cmp_le_i64_e32 vcc, s[2:3], v[18:19]
	v_lshl_add_u64 v[6:7], v[6:7], 0, s[6:7]
	s_or_b64 s[8:9], vcc, s[8:9]
	s_waitcnt vmcnt(1)
	v_cvt_f32_f64_e32 v1, v[10:11]
	v_cvt_f32_f64_e32 v10, v[12:13]
	s_waitcnt vmcnt(0)
	v_cvt_f32_f64_e32 v12, v[14:15]
	v_cvt_f32_f64_e32 v13, v[16:17]
	v_and_b32_e32 v11, 0x7fffffff, v10
	v_and_b32_e32 v10, 0x7fffffff, v1
	;; [unrolled: 1-line block ×4, first 2 shown]
	v_pk_add_f32 v[4:5], v[4:5], v[12:13]
	v_pk_add_f32 v[2:3], v[2:3], v[10:11]
	s_andn2_b64 exec, exec, s[8:9]
	s_cbranch_execnz .LBB29_17
; %bb.18:
	s_or_b64 exec, exec, s[8:9]
.LBB29_19:
	s_or_b64 exec, exec, s[10:11]
.LBB29_20:
	v_add_f32_e32 v1, 0, v2
	v_add_f32_e32 v1, v3, v1
	;; [unrolled: 1-line block ×4, first 2 shown]
	v_mbcnt_lo_u32_b32 v1, -1, 0
	v_mbcnt_hi_u32_b32 v6, -1, v1
	v_mov_b32_e32 v1, 0x80
	v_lshl_or_b32 v1, v6, 2, v1
	ds_bpermute_b32 v3, v1, v2
	v_and_b32_e32 v9, 63, v6
	v_cmp_gt_u32_e32 vcc, 48, v9
	s_waitcnt lgkmcnt(0)
	s_barrier
	v_add_f32_e32 v3, v2, v3
	v_cndmask_b32_e64 v2, 0, 16, vcc
	v_add_lshl_u32 v2, v2, v6, 2
	ds_bpermute_b32 v4, v2, v3
	v_cmp_gt_u32_e32 vcc, 56, v9
	s_waitcnt lgkmcnt(0)
	v_add_f32_e32 v4, v3, v4
	v_cndmask_b32_e64 v3, 0, 8, vcc
	v_add_lshl_u32 v3, v3, v6, 2
	ds_bpermute_b32 v5, v3, v4
	v_cmp_gt_u32_e32 vcc, 60, v9
	s_waitcnt lgkmcnt(0)
	;; [unrolled: 6-line block ×3, first 2 shown]
	v_add_f32_e32 v7, v5, v7
	v_cndmask_b32_e64 v8, 0, 2, vcc
	v_add_lshl_u32 v5, v8, v6, 2
	ds_bpermute_b32 v10, v5, v7
	v_cmp_ne_u32_e32 vcc, 63, v9
	v_and_b32_e32 v8, 63, v0
	s_waitcnt lgkmcnt(0)
	v_add_f32_e32 v7, v7, v10
	v_addc_co_u32_e32 v6, vcc, 0, v6, vcc
	v_lshlrev_b32_e32 v6, 2, v6
	ds_bpermute_b32 v9, v6, v7
	v_cmp_eq_u32_e32 vcc, 0, v8
	s_and_saveexec_b64 s[2:3], vcc
	s_cbranch_execz .LBB29_22
; %bb.21:
	v_lshrrev_b32_e32 v10, 4, v0
	s_waitcnt lgkmcnt(0)
	v_add_f32_e32 v7, v7, v9
	ds_write_b32 v10, v7
.LBB29_22:
	s_or_b64 exec, exec, s[2:3]
	s_waitcnt lgkmcnt(0)
	s_barrier
	s_load_dword s2, s[0:1], 0xd4c
	v_mov_b32_e32 v7, 0
	s_waitcnt lgkmcnt(0)
	s_bfe_u32 s2, s2, 0xa0006
	v_cmp_gt_u32_e32 vcc, s2, v0
	s_and_saveexec_b64 s[2:3], vcc
	s_cbranch_execnz .LBB29_26
; %bb.23:
	s_or_b64 exec, exec, s[2:3]
	v_cmp_gt_u32_e32 vcc, 64, v0
	s_and_saveexec_b64 s[2:3], vcc
	s_cbranch_execnz .LBB29_27
.LBB29_24:
	s_or_b64 exec, exec, s[2:3]
	v_cmp_eq_u32_e32 vcc, 0, v0
	s_and_saveexec_b64 s[2:3], vcc
	s_cbranch_execnz .LBB29_28
.LBB29_25:
	s_endpgm
.LBB29_26:
	v_lshlrev_b32_e32 v7, 2, v8
	ds_read_b32 v7, v7
	s_or_b64 exec, exec, s[2:3]
	v_cmp_gt_u32_e32 vcc, 64, v0
	s_and_saveexec_b64 s[2:3], vcc
	s_cbranch_execz .LBB29_24
.LBB29_27:
	s_waitcnt lgkmcnt(0)
	ds_bpermute_b32 v1, v1, v7
	s_waitcnt lgkmcnt(0)
	v_add_f32_e32 v1, v7, v1
	ds_bpermute_b32 v2, v2, v1
	s_waitcnt lgkmcnt(0)
	v_add_f32_e32 v1, v1, v2
	ds_bpermute_b32 v2, v3, v1
	s_waitcnt lgkmcnt(0)
	v_add_f32_e32 v1, v1, v2
	ds_bpermute_b32 v2, v4, v1
	s_waitcnt lgkmcnt(0)
	v_add_f32_e32 v1, v1, v2
	ds_bpermute_b32 v2, v5, v1
	s_waitcnt lgkmcnt(0)
	v_add_f32_e32 v1, v1, v2
	ds_bpermute_b32 v2, v6, v1
	s_waitcnt lgkmcnt(0)
	v_add_f32_e32 v7, v1, v2
	s_or_b64 exec, exec, s[2:3]
	v_cmp_eq_u32_e32 vcc, 0, v0
	s_and_saveexec_b64 s[2:3], vcc
	s_cbranch_execz .LBB29_25
.LBB29_28:
	s_load_dword s5, s[0:1], 0xd20
	s_load_dword s6, s[0:1], 0xd38
	s_load_dwordx2 s[2:3], s[0:1], 0xd30
	v_mov_b32_e32 v0, 0
	s_waitcnt lgkmcnt(0)
	s_add_i32 s0, s5, s16
	s_mul_i32 s0, s0, s6
	s_add_i32 s0, s0, s4
	s_ashr_i32 s1, s0, 31
	s_lshl_b64 s[0:1], s[0:1], 2
	s_add_u32 s0, s2, s0
	s_addc_u32 s1, s3, s1
	global_store_dword v0, v7, s[0:1]
	s_endpgm
	.section	.rodata,"a",@progbits
	.p2align	6, 0x0
	.amdhsa_kernel _ZN2at6native12_GLOBAL__N_125multi_tensor_apply_kernelINS1_18TensorListMetadataILi1EEENS0_13LpNormFunctorIdLNS0_8NormTypeE1EfLi1ELi1ELi0EEEJPfiEEEvT_T0_DpT1_
		.amdhsa_group_segment_fixed_size 2048
		.amdhsa_private_segment_fixed_size 0
		.amdhsa_kernarg_size 3648
		.amdhsa_user_sgpr_count 2
		.amdhsa_user_sgpr_dispatch_ptr 0
		.amdhsa_user_sgpr_queue_ptr 0
		.amdhsa_user_sgpr_kernarg_segment_ptr 1
		.amdhsa_user_sgpr_dispatch_id 0
		.amdhsa_user_sgpr_kernarg_preload_length 0
		.amdhsa_user_sgpr_kernarg_preload_offset 0
		.amdhsa_user_sgpr_private_segment_size 0
		.amdhsa_uses_dynamic_stack 0
		.amdhsa_enable_private_segment 0
		.amdhsa_system_sgpr_workgroup_id_x 1
		.amdhsa_system_sgpr_workgroup_id_y 0
		.amdhsa_system_sgpr_workgroup_id_z 0
		.amdhsa_system_sgpr_workgroup_info 0
		.amdhsa_system_vgpr_workitem_id 0
		.amdhsa_next_free_vgpr 20
		.amdhsa_next_free_sgpr 20
		.amdhsa_accum_offset 20
		.amdhsa_reserve_vcc 1
		.amdhsa_float_round_mode_32 0
		.amdhsa_float_round_mode_16_64 0
		.amdhsa_float_denorm_mode_32 3
		.amdhsa_float_denorm_mode_16_64 3
		.amdhsa_dx10_clamp 1
		.amdhsa_ieee_mode 1
		.amdhsa_fp16_overflow 0
		.amdhsa_tg_split 0
		.amdhsa_exception_fp_ieee_invalid_op 0
		.amdhsa_exception_fp_denorm_src 0
		.amdhsa_exception_fp_ieee_div_zero 0
		.amdhsa_exception_fp_ieee_overflow 0
		.amdhsa_exception_fp_ieee_underflow 0
		.amdhsa_exception_fp_ieee_inexact 0
		.amdhsa_exception_int_div_zero 0
	.end_amdhsa_kernel
	.section	.text._ZN2at6native12_GLOBAL__N_125multi_tensor_apply_kernelINS1_18TensorListMetadataILi1EEENS0_13LpNormFunctorIdLNS0_8NormTypeE1EfLi1ELi1ELi0EEEJPfiEEEvT_T0_DpT1_,"axG",@progbits,_ZN2at6native12_GLOBAL__N_125multi_tensor_apply_kernelINS1_18TensorListMetadataILi1EEENS0_13LpNormFunctorIdLNS0_8NormTypeE1EfLi1ELi1ELi0EEEJPfiEEEvT_T0_DpT1_,comdat
.Lfunc_end29:
	.size	_ZN2at6native12_GLOBAL__N_125multi_tensor_apply_kernelINS1_18TensorListMetadataILi1EEENS0_13LpNormFunctorIdLNS0_8NormTypeE1EfLi1ELi1ELi0EEEJPfiEEEvT_T0_DpT1_, .Lfunc_end29-_ZN2at6native12_GLOBAL__N_125multi_tensor_apply_kernelINS1_18TensorListMetadataILi1EEENS0_13LpNormFunctorIdLNS0_8NormTypeE1EfLi1ELi1ELi0EEEJPfiEEEvT_T0_DpT1_
                                        ; -- End function
	.set _ZN2at6native12_GLOBAL__N_125multi_tensor_apply_kernelINS1_18TensorListMetadataILi1EEENS0_13LpNormFunctorIdLNS0_8NormTypeE1EfLi1ELi1ELi0EEEJPfiEEEvT_T0_DpT1_.num_vgpr, 20
	.set _ZN2at6native12_GLOBAL__N_125multi_tensor_apply_kernelINS1_18TensorListMetadataILi1EEENS0_13LpNormFunctorIdLNS0_8NormTypeE1EfLi1ELi1ELi0EEEJPfiEEEvT_T0_DpT1_.num_agpr, 0
	.set _ZN2at6native12_GLOBAL__N_125multi_tensor_apply_kernelINS1_18TensorListMetadataILi1EEENS0_13LpNormFunctorIdLNS0_8NormTypeE1EfLi1ELi1ELi0EEEJPfiEEEvT_T0_DpT1_.numbered_sgpr, 20
	.set _ZN2at6native12_GLOBAL__N_125multi_tensor_apply_kernelINS1_18TensorListMetadataILi1EEENS0_13LpNormFunctorIdLNS0_8NormTypeE1EfLi1ELi1ELi0EEEJPfiEEEvT_T0_DpT1_.num_named_barrier, 0
	.set _ZN2at6native12_GLOBAL__N_125multi_tensor_apply_kernelINS1_18TensorListMetadataILi1EEENS0_13LpNormFunctorIdLNS0_8NormTypeE1EfLi1ELi1ELi0EEEJPfiEEEvT_T0_DpT1_.private_seg_size, 0
	.set _ZN2at6native12_GLOBAL__N_125multi_tensor_apply_kernelINS1_18TensorListMetadataILi1EEENS0_13LpNormFunctorIdLNS0_8NormTypeE1EfLi1ELi1ELi0EEEJPfiEEEvT_T0_DpT1_.uses_vcc, 1
	.set _ZN2at6native12_GLOBAL__N_125multi_tensor_apply_kernelINS1_18TensorListMetadataILi1EEENS0_13LpNormFunctorIdLNS0_8NormTypeE1EfLi1ELi1ELi0EEEJPfiEEEvT_T0_DpT1_.uses_flat_scratch, 0
	.set _ZN2at6native12_GLOBAL__N_125multi_tensor_apply_kernelINS1_18TensorListMetadataILi1EEENS0_13LpNormFunctorIdLNS0_8NormTypeE1EfLi1ELi1ELi0EEEJPfiEEEvT_T0_DpT1_.has_dyn_sized_stack, 0
	.set _ZN2at6native12_GLOBAL__N_125multi_tensor_apply_kernelINS1_18TensorListMetadataILi1EEENS0_13LpNormFunctorIdLNS0_8NormTypeE1EfLi1ELi1ELi0EEEJPfiEEEvT_T0_DpT1_.has_recursion, 0
	.set _ZN2at6native12_GLOBAL__N_125multi_tensor_apply_kernelINS1_18TensorListMetadataILi1EEENS0_13LpNormFunctorIdLNS0_8NormTypeE1EfLi1ELi1ELi0EEEJPfiEEEvT_T0_DpT1_.has_indirect_call, 0
	.section	.AMDGPU.csdata,"",@progbits
; Kernel info:
; codeLenInByte = 1428
; TotalNumSgprs: 26
; NumVgprs: 20
; NumAgprs: 0
; TotalNumVgprs: 20
; ScratchSize: 0
; MemoryBound: 0
; FloatMode: 240
; IeeeMode: 1
; LDSByteSize: 2048 bytes/workgroup (compile time only)
; SGPRBlocks: 3
; VGPRBlocks: 2
; NumSGPRsForWavesPerEU: 26
; NumVGPRsForWavesPerEU: 20
; AccumOffset: 20
; Occupancy: 8
; WaveLimiterHint : 0
; COMPUTE_PGM_RSRC2:SCRATCH_EN: 0
; COMPUTE_PGM_RSRC2:USER_SGPR: 2
; COMPUTE_PGM_RSRC2:TRAP_HANDLER: 0
; COMPUTE_PGM_RSRC2:TGID_X_EN: 1
; COMPUTE_PGM_RSRC2:TGID_Y_EN: 0
; COMPUTE_PGM_RSRC2:TGID_Z_EN: 0
; COMPUTE_PGM_RSRC2:TIDIG_COMP_CNT: 0
; COMPUTE_PGM_RSRC3_GFX90A:ACCUM_OFFSET: 4
; COMPUTE_PGM_RSRC3_GFX90A:TG_SPLIT: 0
	.section	.text._ZN2at6native12_GLOBAL__N_125multi_tensor_apply_kernelINS1_18TensorListMetadataILi1EEENS0_13LpNormFunctorIdLNS0_8NormTypeE2EfLi1ELi1ELi0EEEJPfiEEEvT_T0_DpT1_,"axG",@progbits,_ZN2at6native12_GLOBAL__N_125multi_tensor_apply_kernelINS1_18TensorListMetadataILi1EEENS0_13LpNormFunctorIdLNS0_8NormTypeE2EfLi1ELi1ELi0EEEJPfiEEEvT_T0_DpT1_,comdat
	.globl	_ZN2at6native12_GLOBAL__N_125multi_tensor_apply_kernelINS1_18TensorListMetadataILi1EEENS0_13LpNormFunctorIdLNS0_8NormTypeE2EfLi1ELi1ELi0EEEJPfiEEEvT_T0_DpT1_ ; -- Begin function _ZN2at6native12_GLOBAL__N_125multi_tensor_apply_kernelINS1_18TensorListMetadataILi1EEENS0_13LpNormFunctorIdLNS0_8NormTypeE2EfLi1ELi1ELi0EEEJPfiEEEvT_T0_DpT1_
	.p2align	8
	.type	_ZN2at6native12_GLOBAL__N_125multi_tensor_apply_kernelINS1_18TensorListMetadataILi1EEENS0_13LpNormFunctorIdLNS0_8NormTypeE2EfLi1ELi1ELi0EEEJPfiEEEvT_T0_DpT1_,@function
_ZN2at6native12_GLOBAL__N_125multi_tensor_apply_kernelINS1_18TensorListMetadataILi1EEENS0_13LpNormFunctorIdLNS0_8NormTypeE2EfLi1ELi1ELi0EEEJPfiEEEvT_T0_DpT1_: ; @_ZN2at6native12_GLOBAL__N_125multi_tensor_apply_kernelINS1_18TensorListMetadataILi1EEENS0_13LpNormFunctorIdLNS0_8NormTypeE2EfLi1ELi1ELi0EEEJPfiEEEvT_T0_DpT1_
; %bb.0:
	v_mov_b32_e32 v1, s2
	global_load_ubyte v1, v1, s[0:1] offset:1760
	s_add_u32 s3, s0, s2
	s_mul_hi_u32 s4, s2, 3
	s_mul_i32 s2, s2, 3
	s_addc_u32 s5, s1, 0
	s_add_u32 s2, s3, s2
	s_addc_u32 s3, s5, s4
	s_load_dword s4, s[2:3], 0x820
	s_mov_b32 s15, 0
	s_waitcnt vmcnt(0)
	v_readfirstlane_b32 s2, v1
	s_and_b32 s16, s2, 0xff
	s_lshl_b32 s5, s16, 3
	s_load_dwordx2 s[2:3], s[0:1], s5 offset:0x370
	s_load_dwordx2 s[6:7], s[0:1], s5 offset:0x0
	s_waitcnt lgkmcnt(0)
	s_ashr_i32 s5, s4, 31
	s_lshl_b64 s[10:11], s[4:5], 16
	s_lshl_b64 s[8:9], s[4:5], 19
	s_add_u32 s12, s6, s8
	s_addc_u32 s13, s7, s9
	s_sub_u32 s10, s2, s10
	s_subb_u32 s11, s3, s11
	s_and_b32 s14, s2, 3
	s_and_b32 s2, s12, 31
	s_mov_b32 s3, s15
	s_or_b64 s[2:3], s[14:15], s[2:3]
	s_cmp_eq_u64 s[2:3], 0
	s_cbranch_scc1 .LBB30_12
; %bb.1:
	v_cmp_lt_i64_e64 s[2:3], s[10:11], 1
	s_and_b64 vcc, exec, s[2:3]
	s_cbranch_vccnz .LBB30_13
; %bb.2:
	s_load_dword s14, s[0:1], 0xd4c
	v_mov_b64_e32 v[2:3], 0x10000
	v_cmp_lt_i64_e32 vcc, s[10:11], v[2:3]
	s_and_b64 s[2:3], vcc, exec
	v_mov_b32_e32 v7, 0
	s_cselect_b32 s3, s11, 0
	s_cselect_b32 s2, s10, 0x10000
	s_waitcnt lgkmcnt(0)
	s_and_b32 s18, s14, 0xffff
	v_mov_b32_e32 v6, v7
	v_mad_u64_u32 v[12:13], s[14:15], s18, 3, v[0:1]
	v_mov_b32_e32 v8, v7
	v_mov_b32_e32 v9, v7
	v_mov_b64_e32 v[2:3], v[6:7]
	s_mov_b32 s5, 0x10000
	s_lshl_b32 s17, s18, 2
	v_lshl_add_u32 v10, s18, 1, v0
	v_add_u32_e32 v14, s18, v0
	s_mov_b64 s[14:15], 0
	v_mov_b64_e32 v[16:17], s[2:3]
	v_mov_b64_e32 v[4:5], v[8:9]
	s_branch .LBB30_4
.LBB30_3:                               ;   in Loop: Header=BB30_4 Depth=1
	s_or_b64 exec, exec, s[2:3]
	s_add_u32 s14, s14, s17
	s_addc_u32 s15, s15, 0
	v_cmp_lt_i64_e32 vcc, s[14:15], v[16:17]
	s_cbranch_vccz .LBB30_14
.LBB30_4:                               ; =>This Inner Loop Header: Depth=1
	v_add_u32_e32 v6, s14, v0
	v_cmp_gt_i64_e32 vcc, s[10:11], v[6:7]
	v_cmp_gt_u32_e64 s[2:3], s5, v6
	s_and_b64 s[18:19], s[2:3], vcc
	s_and_saveexec_b64 s[2:3], s[18:19]
	s_cbranch_execz .LBB30_6
; %bb.5:                                ;   in Loop: Header=BB30_4 Depth=1
	v_lshl_add_u64 v[8:9], v[6:7], 3, s[12:13]
	global_load_dwordx2 v[8:9], v[8:9], off
	s_waitcnt vmcnt(0)
	v_cvt_f32_f64_e32 v1, v[8:9]
	v_fma_f32 v2, v1, v1, v2
.LBB30_6:                               ;   in Loop: Header=BB30_4 Depth=1
	s_or_b64 exec, exec, s[2:3]
	v_add_u32_e32 v6, s14, v14
	v_cmp_gt_i64_e32 vcc, s[10:11], v[6:7]
	v_cmp_gt_u32_e64 s[2:3], s5, v6
	s_and_b64 s[18:19], s[2:3], vcc
	s_and_saveexec_b64 s[2:3], s[18:19]
	s_cbranch_execz .LBB30_8
; %bb.7:                                ;   in Loop: Header=BB30_4 Depth=1
	v_lshl_add_u64 v[8:9], v[6:7], 3, s[12:13]
	global_load_dwordx2 v[8:9], v[8:9], off
	s_waitcnt vmcnt(0)
	v_cvt_f32_f64_e32 v1, v[8:9]
	v_fma_f32 v3, v1, v1, v3
.LBB30_8:                               ;   in Loop: Header=BB30_4 Depth=1
	s_or_b64 exec, exec, s[2:3]
	v_add_u32_e32 v6, s14, v10
	v_cmp_gt_i64_e32 vcc, s[10:11], v[6:7]
	v_cmp_gt_u32_e64 s[2:3], s5, v6
	s_and_b64 s[18:19], s[2:3], vcc
	s_and_saveexec_b64 s[2:3], s[18:19]
	s_cbranch_execz .LBB30_10
; %bb.9:                                ;   in Loop: Header=BB30_4 Depth=1
	v_lshl_add_u64 v[8:9], v[6:7], 3, s[12:13]
	global_load_dwordx2 v[8:9], v[8:9], off
	s_waitcnt vmcnt(0)
	v_cvt_f32_f64_e32 v1, v[8:9]
	v_fma_f32 v4, v1, v1, v4
.LBB30_10:                              ;   in Loop: Header=BB30_4 Depth=1
	s_or_b64 exec, exec, s[2:3]
	v_add_u32_e32 v6, s14, v12
	v_cmp_gt_i64_e32 vcc, s[10:11], v[6:7]
	v_cmp_gt_u32_e64 s[2:3], s5, v6
	s_and_b64 s[18:19], s[2:3], vcc
	s_and_saveexec_b64 s[2:3], s[18:19]
	s_cbranch_execz .LBB30_3
; %bb.11:                               ;   in Loop: Header=BB30_4 Depth=1
	v_lshl_add_u64 v[8:9], v[6:7], 3, s[12:13]
	global_load_dwordx2 v[8:9], v[8:9], off
	s_waitcnt vmcnt(0)
	v_cvt_f32_f64_e32 v1, v[8:9]
	v_fma_f32 v5, v1, v1, v5
	s_branch .LBB30_3
.LBB30_12:
                                        ; implicit-def: $vgpr2_vgpr3_vgpr4_vgpr5
	s_branch .LBB30_15
.LBB30_13:
	v_mov_b32_e32 v2, 0
	v_mov_b32_e32 v3, v2
	;; [unrolled: 1-line block ×4, first 2 shown]
.LBB30_14:
	s_cbranch_execnz .LBB30_20
.LBB30_15:
	v_mov_b64_e32 v[4:5], 0x10000
	v_cmp_lt_i64_e32 vcc, s[10:11], v[4:5]
	s_and_b64 s[2:3], vcc, exec
	v_mov_b32_e32 v3, 0
	s_cselect_b32 s3, s11, 0
	s_cselect_b32 s2, s10, 0x10000
	v_lshlrev_b32_e32 v2, 2, v0
	v_cmp_gt_i64_e32 vcc, s[2:3], v[2:3]
	s_mov_b32 s13, 0
	v_mov_b32_e32 v2, v3
	v_mov_b32_e32 v4, v3
	;; [unrolled: 1-line block ×3, first 2 shown]
	s_and_saveexec_b64 s[10:11], vcc
	s_cbranch_execz .LBB30_19
; %bb.16:
	s_load_dword s5, s[0:1], 0xd4c
	v_lshlrev_b32_e32 v2, 5, v0
	v_mov_b32_e32 v1, v3
	s_mov_b32 s15, s13
	v_mov_b64_e32 v[10:11], v[0:1]
	s_waitcnt lgkmcnt(0)
	s_and_b32 s12, s5, 0xffff
	s_add_u32 s6, s6, s8
	s_addc_u32 s7, s7, s9
	v_lshl_add_u64 v[4:5], s[6:7], 0, v[2:3]
	s_lshl_b32 s14, s12, 5
	v_lshl_add_u64 v[8:9], v[4:5], 0, 16
	s_mov_b64 s[6:7], 0
	v_mov_b32_e32 v5, 0
	v_mov_b32_e32 v6, 0
	;; [unrolled: 1-line block ×3, first 2 shown]
.LBB30_17:                              ; =>This Inner Loop Header: Depth=1
	global_load_dwordx4 v[12:15], v[8:9], off offset:-16
	global_load_dwordx4 v[16:19], v[8:9], off
	v_lshl_add_u64 v[10:11], v[10:11], 0, s[12:13]
	v_lshlrev_b64 v[20:21], 2, v[10:11]
	v_cmp_le_i64_e32 vcc, s[2:3], v[20:21]
	v_lshl_add_u64 v[8:9], v[8:9], 0, s[14:15]
	s_or_b64 s[6:7], vcc, s[6:7]
	s_waitcnt vmcnt(1)
	v_cvt_f32_f64_e32 v1, v[12:13]
	v_cvt_f32_f64_e32 v2, v[14:15]
	s_waitcnt vmcnt(0)
	v_cvt_f32_f64_e32 v4, v[16:17]
	v_cvt_f32_f64_e32 v12, v[18:19]
	v_fmac_f32_e32 v3, v1, v1
	v_fmac_f32_e32 v5, v2, v2
	;; [unrolled: 1-line block ×4, first 2 shown]
	s_andn2_b64 exec, exec, s[6:7]
	s_cbranch_execnz .LBB30_17
; %bb.18:
	s_or_b64 exec, exec, s[6:7]
	v_mov_b32_e32 v4, v3
	v_mov_b64_e32 v[2:3], v[4:5]
	v_mov_b64_e32 v[4:5], v[6:7]
.LBB30_19:
	s_or_b64 exec, exec, s[10:11]
.LBB30_20:
	v_add_f32_e32 v1, 0, v2
	v_add_f32_e32 v1, v3, v1
	v_add_f32_e32 v1, v4, v1
	v_add_f32_e32 v2, v5, v1
	v_mbcnt_lo_u32_b32 v1, -1, 0
	v_mbcnt_hi_u32_b32 v6, -1, v1
	v_mov_b32_e32 v1, 0x80
	v_lshl_or_b32 v1, v6, 2, v1
	ds_bpermute_b32 v3, v1, v2
	v_and_b32_e32 v9, 63, v6
	v_cmp_gt_u32_e32 vcc, 48, v9
	s_waitcnt lgkmcnt(0)
	s_barrier
	v_add_f32_e32 v3, v2, v3
	v_cndmask_b32_e64 v2, 0, 16, vcc
	v_add_lshl_u32 v2, v2, v6, 2
	ds_bpermute_b32 v4, v2, v3
	v_cmp_gt_u32_e32 vcc, 56, v9
	s_waitcnt lgkmcnt(0)
	v_add_f32_e32 v4, v3, v4
	v_cndmask_b32_e64 v3, 0, 8, vcc
	v_add_lshl_u32 v3, v3, v6, 2
	ds_bpermute_b32 v5, v3, v4
	v_cmp_gt_u32_e32 vcc, 60, v9
	s_waitcnt lgkmcnt(0)
	;; [unrolled: 6-line block ×3, first 2 shown]
	v_add_f32_e32 v7, v5, v7
	v_cndmask_b32_e64 v8, 0, 2, vcc
	v_add_lshl_u32 v5, v8, v6, 2
	ds_bpermute_b32 v10, v5, v7
	v_cmp_ne_u32_e32 vcc, 63, v9
	v_and_b32_e32 v8, 63, v0
	s_waitcnt lgkmcnt(0)
	v_add_f32_e32 v7, v7, v10
	v_addc_co_u32_e32 v6, vcc, 0, v6, vcc
	v_lshlrev_b32_e32 v6, 2, v6
	ds_bpermute_b32 v9, v6, v7
	v_cmp_eq_u32_e32 vcc, 0, v8
	s_and_saveexec_b64 s[2:3], vcc
	s_cbranch_execz .LBB30_22
; %bb.21:
	v_lshrrev_b32_e32 v10, 4, v0
	s_waitcnt lgkmcnt(0)
	v_add_f32_e32 v7, v7, v9
	ds_write_b32 v10, v7
.LBB30_22:
	s_or_b64 exec, exec, s[2:3]
	s_waitcnt lgkmcnt(0)
	s_barrier
	s_load_dword s2, s[0:1], 0xd4c
	v_mov_b32_e32 v7, 0
	s_waitcnt lgkmcnt(0)
	s_bfe_u32 s2, s2, 0xa0006
	v_cmp_gt_u32_e32 vcc, s2, v0
	s_and_saveexec_b64 s[2:3], vcc
	s_cbranch_execnz .LBB30_26
; %bb.23:
	s_or_b64 exec, exec, s[2:3]
	v_cmp_gt_u32_e32 vcc, 64, v0
	s_and_saveexec_b64 s[2:3], vcc
	s_cbranch_execnz .LBB30_27
.LBB30_24:
	s_or_b64 exec, exec, s[2:3]
	v_cmp_eq_u32_e32 vcc, 0, v0
	s_and_saveexec_b64 s[2:3], vcc
	s_cbranch_execnz .LBB30_28
.LBB30_25:
	s_endpgm
.LBB30_26:
	v_lshlrev_b32_e32 v7, 2, v8
	ds_read_b32 v7, v7
	s_or_b64 exec, exec, s[2:3]
	v_cmp_gt_u32_e32 vcc, 64, v0
	s_and_saveexec_b64 s[2:3], vcc
	s_cbranch_execz .LBB30_24
.LBB30_27:
	s_waitcnt lgkmcnt(0)
	ds_bpermute_b32 v1, v1, v7
	s_waitcnt lgkmcnt(0)
	v_add_f32_e32 v1, v7, v1
	ds_bpermute_b32 v2, v2, v1
	s_waitcnt lgkmcnt(0)
	v_add_f32_e32 v1, v1, v2
	;; [unrolled: 3-line block ×6, first 2 shown]
	s_or_b64 exec, exec, s[2:3]
	v_cmp_eq_u32_e32 vcc, 0, v0
	s_and_saveexec_b64 s[2:3], vcc
	s_cbranch_execz .LBB30_25
.LBB30_28:
	s_load_dword s5, s[0:1], 0xd20
	s_load_dword s6, s[0:1], 0xd38
	s_load_dwordx2 s[2:3], s[0:1], 0xd30
	v_mov_b32_e32 v0, 0
	s_waitcnt lgkmcnt(0)
	s_add_i32 s0, s5, s16
	s_mul_i32 s0, s0, s6
	s_add_i32 s0, s0, s4
	s_ashr_i32 s1, s0, 31
	s_lshl_b64 s[0:1], s[0:1], 2
	s_add_u32 s0, s2, s0
	s_addc_u32 s1, s3, s1
	global_store_dword v0, v7, s[0:1]
	s_endpgm
	.section	.rodata,"a",@progbits
	.p2align	6, 0x0
	.amdhsa_kernel _ZN2at6native12_GLOBAL__N_125multi_tensor_apply_kernelINS1_18TensorListMetadataILi1EEENS0_13LpNormFunctorIdLNS0_8NormTypeE2EfLi1ELi1ELi0EEEJPfiEEEvT_T0_DpT1_
		.amdhsa_group_segment_fixed_size 2048
		.amdhsa_private_segment_fixed_size 0
		.amdhsa_kernarg_size 3648
		.amdhsa_user_sgpr_count 2
		.amdhsa_user_sgpr_dispatch_ptr 0
		.amdhsa_user_sgpr_queue_ptr 0
		.amdhsa_user_sgpr_kernarg_segment_ptr 1
		.amdhsa_user_sgpr_dispatch_id 0
		.amdhsa_user_sgpr_kernarg_preload_length 0
		.amdhsa_user_sgpr_kernarg_preload_offset 0
		.amdhsa_user_sgpr_private_segment_size 0
		.amdhsa_uses_dynamic_stack 0
		.amdhsa_enable_private_segment 0
		.amdhsa_system_sgpr_workgroup_id_x 1
		.amdhsa_system_sgpr_workgroup_id_y 0
		.amdhsa_system_sgpr_workgroup_id_z 0
		.amdhsa_system_sgpr_workgroup_info 0
		.amdhsa_system_vgpr_workitem_id 0
		.amdhsa_next_free_vgpr 22
		.amdhsa_next_free_sgpr 20
		.amdhsa_accum_offset 24
		.amdhsa_reserve_vcc 1
		.amdhsa_float_round_mode_32 0
		.amdhsa_float_round_mode_16_64 0
		.amdhsa_float_denorm_mode_32 3
		.amdhsa_float_denorm_mode_16_64 3
		.amdhsa_dx10_clamp 1
		.amdhsa_ieee_mode 1
		.amdhsa_fp16_overflow 0
		.amdhsa_tg_split 0
		.amdhsa_exception_fp_ieee_invalid_op 0
		.amdhsa_exception_fp_denorm_src 0
		.amdhsa_exception_fp_ieee_div_zero 0
		.amdhsa_exception_fp_ieee_overflow 0
		.amdhsa_exception_fp_ieee_underflow 0
		.amdhsa_exception_fp_ieee_inexact 0
		.amdhsa_exception_int_div_zero 0
	.end_amdhsa_kernel
	.section	.text._ZN2at6native12_GLOBAL__N_125multi_tensor_apply_kernelINS1_18TensorListMetadataILi1EEENS0_13LpNormFunctorIdLNS0_8NormTypeE2EfLi1ELi1ELi0EEEJPfiEEEvT_T0_DpT1_,"axG",@progbits,_ZN2at6native12_GLOBAL__N_125multi_tensor_apply_kernelINS1_18TensorListMetadataILi1EEENS0_13LpNormFunctorIdLNS0_8NormTypeE2EfLi1ELi1ELi0EEEJPfiEEEvT_T0_DpT1_,comdat
.Lfunc_end30:
	.size	_ZN2at6native12_GLOBAL__N_125multi_tensor_apply_kernelINS1_18TensorListMetadataILi1EEENS0_13LpNormFunctorIdLNS0_8NormTypeE2EfLi1ELi1ELi0EEEJPfiEEEvT_T0_DpT1_, .Lfunc_end30-_ZN2at6native12_GLOBAL__N_125multi_tensor_apply_kernelINS1_18TensorListMetadataILi1EEENS0_13LpNormFunctorIdLNS0_8NormTypeE2EfLi1ELi1ELi0EEEJPfiEEEvT_T0_DpT1_
                                        ; -- End function
	.set _ZN2at6native12_GLOBAL__N_125multi_tensor_apply_kernelINS1_18TensorListMetadataILi1EEENS0_13LpNormFunctorIdLNS0_8NormTypeE2EfLi1ELi1ELi0EEEJPfiEEEvT_T0_DpT1_.num_vgpr, 22
	.set _ZN2at6native12_GLOBAL__N_125multi_tensor_apply_kernelINS1_18TensorListMetadataILi1EEENS0_13LpNormFunctorIdLNS0_8NormTypeE2EfLi1ELi1ELi0EEEJPfiEEEvT_T0_DpT1_.num_agpr, 0
	.set _ZN2at6native12_GLOBAL__N_125multi_tensor_apply_kernelINS1_18TensorListMetadataILi1EEENS0_13LpNormFunctorIdLNS0_8NormTypeE2EfLi1ELi1ELi0EEEJPfiEEEvT_T0_DpT1_.numbered_sgpr, 20
	.set _ZN2at6native12_GLOBAL__N_125multi_tensor_apply_kernelINS1_18TensorListMetadataILi1EEENS0_13LpNormFunctorIdLNS0_8NormTypeE2EfLi1ELi1ELi0EEEJPfiEEEvT_T0_DpT1_.num_named_barrier, 0
	.set _ZN2at6native12_GLOBAL__N_125multi_tensor_apply_kernelINS1_18TensorListMetadataILi1EEENS0_13LpNormFunctorIdLNS0_8NormTypeE2EfLi1ELi1ELi0EEEJPfiEEEvT_T0_DpT1_.private_seg_size, 0
	.set _ZN2at6native12_GLOBAL__N_125multi_tensor_apply_kernelINS1_18TensorListMetadataILi1EEENS0_13LpNormFunctorIdLNS0_8NormTypeE2EfLi1ELi1ELi0EEEJPfiEEEvT_T0_DpT1_.uses_vcc, 1
	.set _ZN2at6native12_GLOBAL__N_125multi_tensor_apply_kernelINS1_18TensorListMetadataILi1EEENS0_13LpNormFunctorIdLNS0_8NormTypeE2EfLi1ELi1ELi0EEEJPfiEEEvT_T0_DpT1_.uses_flat_scratch, 0
	.set _ZN2at6native12_GLOBAL__N_125multi_tensor_apply_kernelINS1_18TensorListMetadataILi1EEENS0_13LpNormFunctorIdLNS0_8NormTypeE2EfLi1ELi1ELi0EEEJPfiEEEvT_T0_DpT1_.has_dyn_sized_stack, 0
	.set _ZN2at6native12_GLOBAL__N_125multi_tensor_apply_kernelINS1_18TensorListMetadataILi1EEENS0_13LpNormFunctorIdLNS0_8NormTypeE2EfLi1ELi1ELi0EEEJPfiEEEvT_T0_DpT1_.has_recursion, 0
	.set _ZN2at6native12_GLOBAL__N_125multi_tensor_apply_kernelINS1_18TensorListMetadataILi1EEENS0_13LpNormFunctorIdLNS0_8NormTypeE2EfLi1ELi1ELi0EEEJPfiEEEvT_T0_DpT1_.has_indirect_call, 0
	.section	.AMDGPU.csdata,"",@progbits
; Kernel info:
; codeLenInByte = 1404
; TotalNumSgprs: 26
; NumVgprs: 22
; NumAgprs: 0
; TotalNumVgprs: 22
; ScratchSize: 0
; MemoryBound: 0
; FloatMode: 240
; IeeeMode: 1
; LDSByteSize: 2048 bytes/workgroup (compile time only)
; SGPRBlocks: 3
; VGPRBlocks: 2
; NumSGPRsForWavesPerEU: 26
; NumVGPRsForWavesPerEU: 22
; AccumOffset: 24
; Occupancy: 8
; WaveLimiterHint : 0
; COMPUTE_PGM_RSRC2:SCRATCH_EN: 0
; COMPUTE_PGM_RSRC2:USER_SGPR: 2
; COMPUTE_PGM_RSRC2:TRAP_HANDLER: 0
; COMPUTE_PGM_RSRC2:TGID_X_EN: 1
; COMPUTE_PGM_RSRC2:TGID_Y_EN: 0
; COMPUTE_PGM_RSRC2:TGID_Z_EN: 0
; COMPUTE_PGM_RSRC2:TIDIG_COMP_CNT: 0
; COMPUTE_PGM_RSRC3_GFX90A:ACCUM_OFFSET: 5
; COMPUTE_PGM_RSRC3_GFX90A:TG_SPLIT: 0
	.section	.text._ZN2at6native12_GLOBAL__N_125multi_tensor_apply_kernelINS1_18TensorListMetadataILi1EEENS0_13LpNormFunctorIdLNS0_8NormTypeE3EfLi1ELi1ELi0EEEJPfiEEEvT_T0_DpT1_,"axG",@progbits,_ZN2at6native12_GLOBAL__N_125multi_tensor_apply_kernelINS1_18TensorListMetadataILi1EEENS0_13LpNormFunctorIdLNS0_8NormTypeE3EfLi1ELi1ELi0EEEJPfiEEEvT_T0_DpT1_,comdat
	.globl	_ZN2at6native12_GLOBAL__N_125multi_tensor_apply_kernelINS1_18TensorListMetadataILi1EEENS0_13LpNormFunctorIdLNS0_8NormTypeE3EfLi1ELi1ELi0EEEJPfiEEEvT_T0_DpT1_ ; -- Begin function _ZN2at6native12_GLOBAL__N_125multi_tensor_apply_kernelINS1_18TensorListMetadataILi1EEENS0_13LpNormFunctorIdLNS0_8NormTypeE3EfLi1ELi1ELi0EEEJPfiEEEvT_T0_DpT1_
	.p2align	8
	.type	_ZN2at6native12_GLOBAL__N_125multi_tensor_apply_kernelINS1_18TensorListMetadataILi1EEENS0_13LpNormFunctorIdLNS0_8NormTypeE3EfLi1ELi1ELi0EEEJPfiEEEvT_T0_DpT1_,@function
_ZN2at6native12_GLOBAL__N_125multi_tensor_apply_kernelINS1_18TensorListMetadataILi1EEENS0_13LpNormFunctorIdLNS0_8NormTypeE3EfLi1ELi1ELi0EEEJPfiEEEvT_T0_DpT1_: ; @_ZN2at6native12_GLOBAL__N_125multi_tensor_apply_kernelINS1_18TensorListMetadataILi1EEENS0_13LpNormFunctorIdLNS0_8NormTypeE3EfLi1ELi1ELi0EEEJPfiEEEvT_T0_DpT1_
; %bb.0:
	v_mov_b32_e32 v1, s2
	global_load_ubyte v1, v1, s[0:1] offset:1760
	s_add_u32 s3, s0, s2
	s_mul_hi_u32 s4, s2, 3
	s_mul_i32 s2, s2, 3
	s_addc_u32 s5, s1, 0
	s_add_u32 s2, s3, s2
	s_addc_u32 s3, s5, s4
	s_load_dword s10, s[2:3], 0x820
	s_mov_b32 s15, 0
	s_waitcnt lgkmcnt(0)
	s_ashr_i32 s11, s10, 31
	s_lshl_b64 s[8:9], s[10:11], 16
	s_waitcnt vmcnt(0)
	v_readfirstlane_b32 s2, v1
	s_and_b32 s22, s2, 0xff
	s_lshl_b32 s6, s22, 3
	s_load_dwordx2 s[2:3], s[0:1], s6 offset:0x370
	s_load_dwordx2 s[4:5], s[0:1], s6 offset:0x0
	s_lshl_b64 s[6:7], s[10:11], 19
	s_waitcnt lgkmcnt(0)
	s_add_u32 s12, s4, s6
	s_addc_u32 s13, s5, s7
	s_sub_u32 s8, s2, s8
	s_subb_u32 s9, s3, s9
	s_and_b32 s14, s2, 3
	s_and_b32 s2, s12, 31
	s_mov_b32 s3, s15
	s_or_b64 s[2:3], s[14:15], s[2:3]
	s_cmp_eq_u64 s[2:3], 0
	s_cbranch_scc1 .LBB31_12
; %bb.1:
	v_cmp_lt_i64_e64 s[2:3], s[8:9], 1
	s_and_b64 vcc, exec, s[2:3]
	s_cbranch_vccnz .LBB31_13
; %bb.2:
	s_load_dword s14, s[0:1], 0xd4c
	v_mov_b64_e32 v[2:3], 0x10000
	v_cmp_lt_i64_e32 vcc, s[8:9], v[2:3]
	s_and_b64 s[2:3], vcc, exec
	v_mov_b32_e32 v7, 0
	s_cselect_b32 s3, s9, 0
	s_cselect_b32 s2, s8, 0x10000
	s_waitcnt lgkmcnt(0)
	s_and_b32 s17, s14, 0xffff
	v_mov_b32_e32 v6, v7
	v_mad_u64_u32 v[12:13], s[14:15], s17, 3, v[0:1]
	v_mov_b32_e32 v8, v7
	v_mov_b32_e32 v9, v7
	v_mov_b64_e32 v[2:3], v[6:7]
	s_mov_b32 s11, 0x10000
	s_lshl_b32 s16, s17, 2
	v_lshl_add_u32 v10, s17, 1, v0
	v_add_u32_e32 v14, s17, v0
	s_mov_b64 s[14:15], 0
	v_mov_b64_e32 v[16:17], s[2:3]
	v_mov_b64_e32 v[4:5], v[8:9]
	s_branch .LBB31_4
.LBB31_3:                               ;   in Loop: Header=BB31_4 Depth=1
	s_or_b64 exec, exec, s[2:3]
	s_add_u32 s14, s14, s16
	s_addc_u32 s15, s15, 0
	v_cmp_lt_i64_e32 vcc, s[14:15], v[16:17]
	s_cbranch_vccz .LBB31_14
.LBB31_4:                               ; =>This Inner Loop Header: Depth=1
	v_add_u32_e32 v6, s14, v0
	v_cmp_gt_i64_e32 vcc, s[8:9], v[6:7]
	v_cmp_gt_u32_e64 s[2:3], s11, v6
	s_and_b64 s[18:19], s[2:3], vcc
	s_and_saveexec_b64 s[2:3], s[18:19]
	s_cbranch_execz .LBB31_6
; %bb.5:                                ;   in Loop: Header=BB31_4 Depth=1
	v_lshl_add_u64 v[8:9], v[6:7], 3, s[12:13]
	global_load_dwordx2 v[8:9], v[8:9], off
	s_waitcnt vmcnt(0)
	v_cvt_f32_f64_e32 v1, v[8:9]
	v_cmp_u_f32_e32 vcc, v1, v1
	v_cmp_lt_f32_e64 s[18:19], v2, |v1|
	s_or_b64 s[18:19], vcc, s[18:19]
	s_nop 0
	v_cndmask_b32_e64 v2, v2, |v1|, s[18:19]
.LBB31_6:                               ;   in Loop: Header=BB31_4 Depth=1
	s_or_b64 exec, exec, s[2:3]
	v_add_u32_e32 v6, s14, v14
	v_cmp_gt_i64_e32 vcc, s[8:9], v[6:7]
	v_cmp_gt_u32_e64 s[2:3], s11, v6
	s_and_b64 s[18:19], s[2:3], vcc
	s_and_saveexec_b64 s[2:3], s[18:19]
	s_cbranch_execz .LBB31_8
; %bb.7:                                ;   in Loop: Header=BB31_4 Depth=1
	v_lshl_add_u64 v[8:9], v[6:7], 3, s[12:13]
	global_load_dwordx2 v[8:9], v[8:9], off
	s_waitcnt vmcnt(0)
	v_cvt_f32_f64_e32 v1, v[8:9]
	v_cmp_u_f32_e32 vcc, v1, v1
	v_cmp_lt_f32_e64 s[18:19], v3, |v1|
	s_or_b64 s[18:19], vcc, s[18:19]
	s_nop 0
	v_cndmask_b32_e64 v3, v3, |v1|, s[18:19]
.LBB31_8:                               ;   in Loop: Header=BB31_4 Depth=1
	s_or_b64 exec, exec, s[2:3]
	v_add_u32_e32 v6, s14, v10
	v_cmp_gt_i64_e32 vcc, s[8:9], v[6:7]
	v_cmp_gt_u32_e64 s[2:3], s11, v6
	s_and_b64 s[18:19], s[2:3], vcc
	s_and_saveexec_b64 s[2:3], s[18:19]
	s_cbranch_execz .LBB31_10
; %bb.9:                                ;   in Loop: Header=BB31_4 Depth=1
	v_lshl_add_u64 v[8:9], v[6:7], 3, s[12:13]
	global_load_dwordx2 v[8:9], v[8:9], off
	s_waitcnt vmcnt(0)
	v_cvt_f32_f64_e32 v1, v[8:9]
	v_cmp_u_f32_e32 vcc, v1, v1
	v_cmp_lt_f32_e64 s[18:19], v4, |v1|
	s_or_b64 s[18:19], vcc, s[18:19]
	s_nop 0
	v_cndmask_b32_e64 v4, v4, |v1|, s[18:19]
.LBB31_10:                              ;   in Loop: Header=BB31_4 Depth=1
	s_or_b64 exec, exec, s[2:3]
	v_add_u32_e32 v6, s14, v12
	v_cmp_gt_i64_e32 vcc, s[8:9], v[6:7]
	v_cmp_gt_u32_e64 s[2:3], s11, v6
	s_and_b64 s[18:19], s[2:3], vcc
	s_and_saveexec_b64 s[2:3], s[18:19]
	s_cbranch_execz .LBB31_3
; %bb.11:                               ;   in Loop: Header=BB31_4 Depth=1
	v_lshl_add_u64 v[8:9], v[6:7], 3, s[12:13]
	global_load_dwordx2 v[8:9], v[8:9], off
	s_waitcnt vmcnt(0)
	v_cvt_f32_f64_e32 v1, v[8:9]
	v_cmp_u_f32_e32 vcc, v1, v1
	v_cmp_lt_f32_e64 s[18:19], v5, |v1|
	s_or_b64 s[18:19], vcc, s[18:19]
	s_nop 0
	v_cndmask_b32_e64 v5, v5, |v1|, s[18:19]
	s_branch .LBB31_3
.LBB31_12:
                                        ; implicit-def: $vgpr2_vgpr3_vgpr4_vgpr5
	s_branch .LBB31_15
.LBB31_13:
	v_mov_b32_e32 v2, 0
	v_mov_b32_e32 v3, v2
	;; [unrolled: 1-line block ×4, first 2 shown]
.LBB31_14:
	s_cbranch_execnz .LBB31_20
.LBB31_15:
	v_mov_b64_e32 v[4:5], 0x10000
	v_cmp_lt_i64_e32 vcc, s[8:9], v[4:5]
	s_and_b64 s[2:3], vcc, exec
	v_mov_b32_e32 v3, 0
	s_cselect_b32 s13, s9, 0
	s_cselect_b32 s12, s8, 0x10000
	v_lshlrev_b32_e32 v2, 2, v0
	v_cmp_gt_i64_e32 vcc, s[12:13], v[2:3]
	s_mov_b32 s17, 0
	v_mov_b32_e32 v2, v3
	v_mov_b32_e32 v4, v3
	;; [unrolled: 1-line block ×3, first 2 shown]
	s_and_saveexec_b64 s[14:15], vcc
	s_cbranch_execz .LBB31_19
; %bb.16:
	s_load_dword s2, s[0:1], 0xd4c
	v_lshlrev_b32_e32 v2, 5, v0
	v_mov_b32_e32 v1, v3
	s_mov_b32 s19, s17
	s_mov_b64 s[20:21], 0
	s_waitcnt lgkmcnt(0)
	s_and_b32 s16, s2, 0xffff
	s_add_u32 s2, s4, s6
	s_addc_u32 s3, s5, s7
	v_lshl_add_u64 v[4:5], s[2:3], 0, v[2:3]
	s_lshl_b32 s18, s16, 5
	v_lshl_add_u64 v[8:9], v[4:5], 0, 16
	v_mov_b64_e32 v[10:11], v[0:1]
	v_mov_b32_e32 v5, 0
	v_mov_b32_e32 v6, 0
	v_mov_b32_e32 v7, 0
.LBB31_17:                              ; =>This Inner Loop Header: Depth=1
	global_load_dwordx4 v[12:15], v[8:9], off offset:-16
	global_load_dwordx4 v[16:19], v[8:9], off
	v_lshl_add_u64 v[10:11], v[10:11], 0, s[16:17]
	v_lshlrev_b64 v[20:21], 2, v[10:11]
	v_cmp_le_i64_e32 vcc, s[12:13], v[20:21]
	v_lshl_add_u64 v[8:9], v[8:9], 0, s[18:19]
	s_waitcnt vmcnt(1)
	v_cvt_f32_f64_e32 v1, v[12:13]
	s_waitcnt vmcnt(0)
	v_cvt_f32_f64_e32 v12, v[18:19]
	v_cvt_f32_f64_e32 v4, v[16:17]
	v_cmp_u_f32_e64 s[2:3], v12, v12
	v_cmp_lt_f32_e64 s[24:25], v7, |v12|
	v_cvt_f32_f64_e32 v2, v[14:15]
	v_cmp_u_f32_e64 s[4:5], v4, v4
	v_cmp_lt_f32_e64 s[26:27], v6, |v4|
	s_or_b64 s[2:3], s[2:3], s[24:25]
	v_cmp_u_f32_e64 s[6:7], v2, v2
	v_cmp_u_f32_e64 s[8:9], v1, v1
	v_cmp_lt_f32_e64 s[28:29], v5, |v2|
	v_cmp_lt_f32_e64 s[30:31], v3, |v1|
	v_cndmask_b32_e64 v7, v7, |v12|, s[2:3]
	s_or_b64 s[2:3], s[4:5], s[26:27]
	s_or_b64 s[8:9], s[8:9], s[30:31]
	v_cndmask_b32_e64 v6, v6, |v4|, s[2:3]
	s_or_b64 s[2:3], s[6:7], s[28:29]
	v_cndmask_b32_e64 v5, v5, |v2|, s[2:3]
	s_or_b64 s[20:21], vcc, s[20:21]
	v_cndmask_b32_e64 v3, v3, |v1|, s[8:9]
	s_andn2_b64 exec, exec, s[20:21]
	s_cbranch_execnz .LBB31_17
; %bb.18:
	s_or_b64 exec, exec, s[20:21]
	v_mov_b32_e32 v4, v3
	v_mov_b64_e32 v[2:3], v[4:5]
	v_mov_b64_e32 v[4:5], v[6:7]
.LBB31_19:
	s_or_b64 exec, exec, s[14:15]
.LBB31_20:
	v_cmp_nge_f32_e32 vcc, 0, v2
	v_and_b32_e32 v8, 63, v0
	s_nop 0
	v_cndmask_b32_e32 v1, 0, v2, vcc
	v_cmp_u_f32_e32 vcc, v3, v3
	v_cmp_lt_f32_e64 s[2:3], v1, v3
	s_or_b64 vcc, vcc, s[2:3]
	v_cndmask_b32_e32 v1, v1, v3, vcc
	v_cmp_u_f32_e32 vcc, v4, v4
	v_cmp_lt_f32_e64 s[2:3], v1, v4
	s_or_b64 vcc, vcc, s[2:3]
	;; [unrolled: 4-line block ×3, first 2 shown]
	v_cndmask_b32_e32 v2, v1, v5, vcc
	v_mbcnt_lo_u32_b32 v1, -1, 0
	v_mbcnt_hi_u32_b32 v6, -1, v1
	v_mov_b32_e32 v1, 0x80
	v_lshl_or_b32 v1, v6, 2, v1
	ds_bpermute_b32 v3, v1, v2
	v_and_b32_e32 v9, 63, v6
	s_barrier
	s_waitcnt lgkmcnt(0)
	v_cmp_u_f32_e32 vcc, v3, v3
	v_cmp_lt_f32_e64 s[2:3], v2, v3
	s_or_b64 vcc, vcc, s[2:3]
	v_cndmask_b32_e32 v3, v2, v3, vcc
	v_cmp_gt_u32_e32 vcc, 48, v9
	s_nop 1
	v_cndmask_b32_e64 v2, 0, 16, vcc
	v_add_lshl_u32 v2, v2, v6, 2
	ds_bpermute_b32 v4, v2, v3
	s_waitcnt lgkmcnt(0)
	v_cmp_u_f32_e32 vcc, v4, v4
	v_cmp_lt_f32_e64 s[2:3], v3, v4
	s_or_b64 vcc, vcc, s[2:3]
	v_cndmask_b32_e32 v4, v3, v4, vcc
	v_cmp_gt_u32_e32 vcc, 56, v9
	s_nop 1
	v_cndmask_b32_e64 v3, 0, 8, vcc
	v_add_lshl_u32 v3, v3, v6, 2
	ds_bpermute_b32 v5, v3, v4
	;; [unrolled: 10-line block ×4, first 2 shown]
	s_waitcnt lgkmcnt(0)
	v_cmp_u_f32_e32 vcc, v10, v10
	v_cmp_lt_f32_e64 s[2:3], v7, v10
	s_or_b64 vcc, vcc, s[2:3]
	v_cndmask_b32_e32 v7, v7, v10, vcc
	v_cmp_ne_u32_e32 vcc, 63, v9
	s_nop 1
	v_addc_co_u32_e32 v6, vcc, 0, v6, vcc
	v_lshlrev_b32_e32 v6, 2, v6
	ds_bpermute_b32 v9, v6, v7
	v_cmp_eq_u32_e32 vcc, 0, v8
	s_and_saveexec_b64 s[4:5], vcc
	s_cbranch_execz .LBB31_22
; %bb.21:
	s_waitcnt lgkmcnt(0)
	v_cmp_u_f32_e32 vcc, v9, v9
	v_cmp_lt_f32_e64 s[2:3], v7, v9
	s_or_b64 vcc, vcc, s[2:3]
	v_lshrrev_b32_e32 v10, 4, v0
	v_cndmask_b32_e32 v7, v7, v9, vcc
	ds_write_b32 v10, v7
.LBB31_22:
	s_or_b64 exec, exec, s[4:5]
	s_waitcnt lgkmcnt(0)
	s_barrier
	s_load_dword s2, s[0:1], 0xd4c
	v_mov_b32_e32 v7, 0xff7fffff
	s_waitcnt lgkmcnt(0)
	s_bfe_u32 s2, s2, 0xa0006
	v_cmp_gt_u32_e32 vcc, s2, v0
	s_and_saveexec_b64 s[2:3], vcc
	s_cbranch_execnz .LBB31_26
; %bb.23:
	s_or_b64 exec, exec, s[2:3]
	v_cmp_gt_u32_e32 vcc, 64, v0
	s_and_saveexec_b64 s[4:5], vcc
	s_cbranch_execnz .LBB31_27
.LBB31_24:
	s_or_b64 exec, exec, s[4:5]
	v_cmp_eq_u32_e32 vcc, 0, v0
	s_and_saveexec_b64 s[2:3], vcc
	s_cbranch_execnz .LBB31_28
.LBB31_25:
	s_endpgm
.LBB31_26:
	v_lshlrev_b32_e32 v7, 2, v8
	ds_read_b32 v7, v7
	s_or_b64 exec, exec, s[2:3]
	v_cmp_gt_u32_e32 vcc, 64, v0
	s_and_saveexec_b64 s[4:5], vcc
	s_cbranch_execz .LBB31_24
.LBB31_27:
	s_waitcnt lgkmcnt(0)
	ds_bpermute_b32 v1, v1, v7
	s_waitcnt lgkmcnt(0)
	v_cmp_u_f32_e32 vcc, v1, v1
	v_cmp_lt_f32_e64 s[2:3], v7, v1
	s_or_b64 vcc, vcc, s[2:3]
	v_cndmask_b32_e32 v1, v7, v1, vcc
	ds_bpermute_b32 v2, v2, v1
	s_waitcnt lgkmcnt(0)
	v_cmp_u_f32_e32 vcc, v2, v2
	v_cmp_lt_f32_e64 s[2:3], v1, v2
	s_or_b64 vcc, vcc, s[2:3]
	v_cndmask_b32_e32 v1, v1, v2, vcc
	;; [unrolled: 6-line block ×6, first 2 shown]
	s_or_b64 exec, exec, s[4:5]
	v_cmp_eq_u32_e32 vcc, 0, v0
	s_and_saveexec_b64 s[2:3], vcc
	s_cbranch_execz .LBB31_25
.LBB31_28:
	s_load_dword s4, s[0:1], 0xd20
	s_load_dword s5, s[0:1], 0xd38
	s_load_dwordx2 s[2:3], s[0:1], 0xd30
	v_mov_b32_e32 v0, 0
	s_waitcnt lgkmcnt(0)
	s_add_i32 s0, s4, s22
	s_mul_i32 s0, s0, s5
	s_add_i32 s0, s0, s10
	s_ashr_i32 s1, s0, 31
	s_lshl_b64 s[0:1], s[0:1], 2
	s_add_u32 s0, s2, s0
	s_addc_u32 s1, s3, s1
	global_store_dword v0, v7, s[0:1]
	s_endpgm
	.section	.rodata,"a",@progbits
	.p2align	6, 0x0
	.amdhsa_kernel _ZN2at6native12_GLOBAL__N_125multi_tensor_apply_kernelINS1_18TensorListMetadataILi1EEENS0_13LpNormFunctorIdLNS0_8NormTypeE3EfLi1ELi1ELi0EEEJPfiEEEvT_T0_DpT1_
		.amdhsa_group_segment_fixed_size 2048
		.amdhsa_private_segment_fixed_size 0
		.amdhsa_kernarg_size 3648
		.amdhsa_user_sgpr_count 2
		.amdhsa_user_sgpr_dispatch_ptr 0
		.amdhsa_user_sgpr_queue_ptr 0
		.amdhsa_user_sgpr_kernarg_segment_ptr 1
		.amdhsa_user_sgpr_dispatch_id 0
		.amdhsa_user_sgpr_kernarg_preload_length 0
		.amdhsa_user_sgpr_kernarg_preload_offset 0
		.amdhsa_user_sgpr_private_segment_size 0
		.amdhsa_uses_dynamic_stack 0
		.amdhsa_enable_private_segment 0
		.amdhsa_system_sgpr_workgroup_id_x 1
		.amdhsa_system_sgpr_workgroup_id_y 0
		.amdhsa_system_sgpr_workgroup_id_z 0
		.amdhsa_system_sgpr_workgroup_info 0
		.amdhsa_system_vgpr_workitem_id 0
		.amdhsa_next_free_vgpr 22
		.amdhsa_next_free_sgpr 32
		.amdhsa_accum_offset 24
		.amdhsa_reserve_vcc 1
		.amdhsa_float_round_mode_32 0
		.amdhsa_float_round_mode_16_64 0
		.amdhsa_float_denorm_mode_32 3
		.amdhsa_float_denorm_mode_16_64 3
		.amdhsa_dx10_clamp 1
		.amdhsa_ieee_mode 1
		.amdhsa_fp16_overflow 0
		.amdhsa_tg_split 0
		.amdhsa_exception_fp_ieee_invalid_op 0
		.amdhsa_exception_fp_denorm_src 0
		.amdhsa_exception_fp_ieee_div_zero 0
		.amdhsa_exception_fp_ieee_overflow 0
		.amdhsa_exception_fp_ieee_underflow 0
		.amdhsa_exception_fp_ieee_inexact 0
		.amdhsa_exception_int_div_zero 0
	.end_amdhsa_kernel
	.section	.text._ZN2at6native12_GLOBAL__N_125multi_tensor_apply_kernelINS1_18TensorListMetadataILi1EEENS0_13LpNormFunctorIdLNS0_8NormTypeE3EfLi1ELi1ELi0EEEJPfiEEEvT_T0_DpT1_,"axG",@progbits,_ZN2at6native12_GLOBAL__N_125multi_tensor_apply_kernelINS1_18TensorListMetadataILi1EEENS0_13LpNormFunctorIdLNS0_8NormTypeE3EfLi1ELi1ELi0EEEJPfiEEEvT_T0_DpT1_,comdat
.Lfunc_end31:
	.size	_ZN2at6native12_GLOBAL__N_125multi_tensor_apply_kernelINS1_18TensorListMetadataILi1EEENS0_13LpNormFunctorIdLNS0_8NormTypeE3EfLi1ELi1ELi0EEEJPfiEEEvT_T0_DpT1_, .Lfunc_end31-_ZN2at6native12_GLOBAL__N_125multi_tensor_apply_kernelINS1_18TensorListMetadataILi1EEENS0_13LpNormFunctorIdLNS0_8NormTypeE3EfLi1ELi1ELi0EEEJPfiEEEvT_T0_DpT1_
                                        ; -- End function
	.set _ZN2at6native12_GLOBAL__N_125multi_tensor_apply_kernelINS1_18TensorListMetadataILi1EEENS0_13LpNormFunctorIdLNS0_8NormTypeE3EfLi1ELi1ELi0EEEJPfiEEEvT_T0_DpT1_.num_vgpr, 22
	.set _ZN2at6native12_GLOBAL__N_125multi_tensor_apply_kernelINS1_18TensorListMetadataILi1EEENS0_13LpNormFunctorIdLNS0_8NormTypeE3EfLi1ELi1ELi0EEEJPfiEEEvT_T0_DpT1_.num_agpr, 0
	.set _ZN2at6native12_GLOBAL__N_125multi_tensor_apply_kernelINS1_18TensorListMetadataILi1EEENS0_13LpNormFunctorIdLNS0_8NormTypeE3EfLi1ELi1ELi0EEEJPfiEEEvT_T0_DpT1_.numbered_sgpr, 32
	.set _ZN2at6native12_GLOBAL__N_125multi_tensor_apply_kernelINS1_18TensorListMetadataILi1EEENS0_13LpNormFunctorIdLNS0_8NormTypeE3EfLi1ELi1ELi0EEEJPfiEEEvT_T0_DpT1_.num_named_barrier, 0
	.set _ZN2at6native12_GLOBAL__N_125multi_tensor_apply_kernelINS1_18TensorListMetadataILi1EEENS0_13LpNormFunctorIdLNS0_8NormTypeE3EfLi1ELi1ELi0EEEJPfiEEEvT_T0_DpT1_.private_seg_size, 0
	.set _ZN2at6native12_GLOBAL__N_125multi_tensor_apply_kernelINS1_18TensorListMetadataILi1EEENS0_13LpNormFunctorIdLNS0_8NormTypeE3EfLi1ELi1ELi0EEEJPfiEEEvT_T0_DpT1_.uses_vcc, 1
	.set _ZN2at6native12_GLOBAL__N_125multi_tensor_apply_kernelINS1_18TensorListMetadataILi1EEENS0_13LpNormFunctorIdLNS0_8NormTypeE3EfLi1ELi1ELi0EEEJPfiEEEvT_T0_DpT1_.uses_flat_scratch, 0
	.set _ZN2at6native12_GLOBAL__N_125multi_tensor_apply_kernelINS1_18TensorListMetadataILi1EEENS0_13LpNormFunctorIdLNS0_8NormTypeE3EfLi1ELi1ELi0EEEJPfiEEEvT_T0_DpT1_.has_dyn_sized_stack, 0
	.set _ZN2at6native12_GLOBAL__N_125multi_tensor_apply_kernelINS1_18TensorListMetadataILi1EEENS0_13LpNormFunctorIdLNS0_8NormTypeE3EfLi1ELi1ELi0EEEJPfiEEEvT_T0_DpT1_.has_recursion, 0
	.set _ZN2at6native12_GLOBAL__N_125multi_tensor_apply_kernelINS1_18TensorListMetadataILi1EEENS0_13LpNormFunctorIdLNS0_8NormTypeE3EfLi1ELi1ELi0EEEJPfiEEEvT_T0_DpT1_.has_indirect_call, 0
	.section	.AMDGPU.csdata,"",@progbits
; Kernel info:
; codeLenInByte = 1856
; TotalNumSgprs: 38
; NumVgprs: 22
; NumAgprs: 0
; TotalNumVgprs: 22
; ScratchSize: 0
; MemoryBound: 0
; FloatMode: 240
; IeeeMode: 1
; LDSByteSize: 2048 bytes/workgroup (compile time only)
; SGPRBlocks: 4
; VGPRBlocks: 2
; NumSGPRsForWavesPerEU: 38
; NumVGPRsForWavesPerEU: 22
; AccumOffset: 24
; Occupancy: 8
; WaveLimiterHint : 0
; COMPUTE_PGM_RSRC2:SCRATCH_EN: 0
; COMPUTE_PGM_RSRC2:USER_SGPR: 2
; COMPUTE_PGM_RSRC2:TRAP_HANDLER: 0
; COMPUTE_PGM_RSRC2:TGID_X_EN: 1
; COMPUTE_PGM_RSRC2:TGID_Y_EN: 0
; COMPUTE_PGM_RSRC2:TGID_Z_EN: 0
; COMPUTE_PGM_RSRC2:TIDIG_COMP_CNT: 0
; COMPUTE_PGM_RSRC3_GFX90A:ACCUM_OFFSET: 5
; COMPUTE_PGM_RSRC3_GFX90A:TG_SPLIT: 0
	.section	.text._ZN2at6native14lpnorm_cleanupIdLNS0_8NormTypeE0EfLb1EfEEvPKT3_NS0_19TensorListAddressesEi,"axG",@progbits,_ZN2at6native14lpnorm_cleanupIdLNS0_8NormTypeE0EfLb1EfEEvPKT3_NS0_19TensorListAddressesEi,comdat
	.protected	_ZN2at6native14lpnorm_cleanupIdLNS0_8NormTypeE0EfLb1EfEEvPKT3_NS0_19TensorListAddressesEi ; -- Begin function _ZN2at6native14lpnorm_cleanupIdLNS0_8NormTypeE0EfLb1EfEEvPKT3_NS0_19TensorListAddressesEi
	.globl	_ZN2at6native14lpnorm_cleanupIdLNS0_8NormTypeE0EfLb1EfEEvPKT3_NS0_19TensorListAddressesEi
	.p2align	8
	.type	_ZN2at6native14lpnorm_cleanupIdLNS0_8NormTypeE0EfLb1EfEEvPKT3_NS0_19TensorListAddressesEi,@function
_ZN2at6native14lpnorm_cleanupIdLNS0_8NormTypeE0EfLb1EfEEvPKT3_NS0_19TensorListAddressesEi: ; @_ZN2at6native14lpnorm_cleanupIdLNS0_8NormTypeE0EfLb1EfEEvPKT3_NS0_19TensorListAddressesEi
; %bb.0:
	s_load_dword s6, s[0:1], 0xc88
	v_mov_b32_e32 v1, 0
	s_waitcnt lgkmcnt(0)
	v_cmp_gt_u32_e32 vcc, s6, v0
	s_and_saveexec_b64 s[4:5], vcc
	s_cbranch_execz .LBB32_4
; %bb.1:
	s_load_dwordx2 s[12:13], s[0:1], 0x0
	s_load_dword s3, s[0:1], 0xc9c
	s_mul_i32 s8, s6, s2
	s_mov_b32 s9, 0
	s_ashr_i32 s7, s6, 31
	s_lshl_b64 s[14:15], s[8:9], 2
	s_waitcnt lgkmcnt(0)
	s_and_b32 s10, s3, 0xffff
	v_mov_b32_e32 v1, 0
	s_add_u32 s12, s12, s14
	v_lshlrev_b32_e32 v2, 2, v0
	v_mov_b32_e32 v3, v1
	s_addc_u32 s13, s13, s15
	s_mov_b32 s11, s9
	v_lshl_add_u64 v[2:3], s[12:13], 0, v[2:3]
	s_lshl_b32 s8, s10, 2
	s_mov_b64 s[12:13], 0
	v_mov_b64_e32 v[4:5], v[0:1]
.LBB32_2:                               ; =>This Inner Loop Header: Depth=1
	global_load_dword v6, v[2:3], off
	v_lshl_add_u64 v[4:5], v[4:5], 0, s[10:11]
	v_cmp_le_u64_e32 vcc, s[6:7], v[4:5]
	v_lshl_add_u64 v[2:3], v[2:3], 0, s[8:9]
	s_or_b64 s[12:13], vcc, s[12:13]
	s_waitcnt vmcnt(0)
	v_add_f32_e32 v1, v1, v6
	s_andn2_b64 exec, exec, s[12:13]
	s_cbranch_execnz .LBB32_2
; %bb.3:
	s_or_b64 exec, exec, s[12:13]
.LBB32_4:
	s_or_b64 exec, exec, s[4:5]
	v_mbcnt_lo_u32_b32 v2, -1, 0
	v_mbcnt_hi_u32_b32 v6, -1, v2
	v_mov_b32_e32 v2, 0x80
	v_lshl_or_b32 v2, v6, 2, v2
	ds_bpermute_b32 v3, v2, v1
	v_and_b32_e32 v7, 63, v6
	v_cmp_gt_u32_e32 vcc, 48, v7
	s_waitcnt lgkmcnt(0)
	s_barrier
	v_cndmask_b32_e64 v4, 0, 16, vcc
	v_add_f32_e32 v5, v1, v3
	v_add_lshl_u32 v1, v4, v6, 2
	ds_bpermute_b32 v4, v1, v5
	v_cmp_gt_u32_e32 vcc, 56, v7
	s_waitcnt lgkmcnt(0)
	v_add_f32_e32 v5, v5, v4
	v_cndmask_b32_e64 v3, 0, 8, vcc
	v_add_lshl_u32 v3, v3, v6, 2
	ds_bpermute_b32 v8, v3, v5
	v_cmp_gt_u32_e32 vcc, 60, v7
	s_waitcnt lgkmcnt(0)
	v_add_f32_e32 v8, v5, v8
	v_cndmask_b32_e64 v4, 0, 4, vcc
	;; [unrolled: 6-line block ×3, first 2 shown]
	v_add_lshl_u32 v5, v5, v6, 2
	ds_bpermute_b32 v10, v5, v9
	v_cmp_ne_u32_e32 vcc, 63, v7
	v_and_b32_e32 v8, 63, v0
	s_waitcnt lgkmcnt(0)
	v_add_f32_e32 v7, v9, v10
	v_addc_co_u32_e32 v6, vcc, 0, v6, vcc
	v_lshlrev_b32_e32 v6, 2, v6
	ds_bpermute_b32 v9, v6, v7
	v_cmp_eq_u32_e32 vcc, 0, v8
	s_and_saveexec_b64 s[4:5], vcc
	s_cbranch_execz .LBB32_6
; %bb.5:
	s_waitcnt lgkmcnt(0)
	v_add_f32_e32 v7, v7, v9
	v_lshrrev_b32_e32 v9, 4, v0
	ds_write_b32 v9, v7
.LBB32_6:
	s_or_b64 exec, exec, s[4:5]
	s_waitcnt lgkmcnt(0)
	s_barrier
	s_load_dword s3, s[0:1], 0xc9c
	v_mov_b32_e32 v7, 0
	s_waitcnt lgkmcnt(0)
	s_bfe_u32 s3, s3, 0xa0006
	v_cmp_gt_u32_e32 vcc, s3, v0
	s_and_saveexec_b64 s[4:5], vcc
; %bb.7:
	v_lshlrev_b32_e32 v7, 2, v8
	ds_read_b32 v7, v7
; %bb.8:
	s_or_b64 exec, exec, s[4:5]
	v_cmp_gt_u32_e32 vcc, 64, v0
	s_and_saveexec_b64 s[4:5], vcc
	s_cbranch_execz .LBB32_10
; %bb.9:
	s_waitcnt lgkmcnt(0)
	ds_bpermute_b32 v2, v2, v7
	s_waitcnt lgkmcnt(0)
	v_add_f32_e32 v2, v7, v2
	ds_bpermute_b32 v1, v1, v2
	s_waitcnt lgkmcnt(0)
	v_add_f32_e32 v1, v2, v1
	;; [unrolled: 3-line block ×6, first 2 shown]
.LBB32_10:
	s_or_b64 exec, exec, s[4:5]
	s_mov_b32 s3, 0
	v_cmp_eq_u32_e32 vcc, 0, v0
	s_and_saveexec_b64 s[4:5], vcc
	s_cbranch_execz .LBB32_12
; %bb.11:
	s_lshl_b64 s[2:3], s[2:3], 3
	s_add_u32 s0, s0, s2
	s_addc_u32 s1, s1, s3
	s_load_dwordx2 s[0:1], s[0:1], 0x8
	v_mov_b32_e32 v0, 0
	s_waitcnt lgkmcnt(0)
	global_store_dword v0, v7, s[0:1]
.LBB32_12:
	s_endpgm
	.section	.rodata,"a",@progbits
	.p2align	6, 0x0
	.amdhsa_kernel _ZN2at6native14lpnorm_cleanupIdLNS0_8NormTypeE0EfLb1EfEEvPKT3_NS0_19TensorListAddressesEi
		.amdhsa_group_segment_fixed_size 2048
		.amdhsa_private_segment_fixed_size 0
		.amdhsa_kernarg_size 3472
		.amdhsa_user_sgpr_count 2
		.amdhsa_user_sgpr_dispatch_ptr 0
		.amdhsa_user_sgpr_queue_ptr 0
		.amdhsa_user_sgpr_kernarg_segment_ptr 1
		.amdhsa_user_sgpr_dispatch_id 0
		.amdhsa_user_sgpr_kernarg_preload_length 0
		.amdhsa_user_sgpr_kernarg_preload_offset 0
		.amdhsa_user_sgpr_private_segment_size 0
		.amdhsa_uses_dynamic_stack 0
		.amdhsa_enable_private_segment 0
		.amdhsa_system_sgpr_workgroup_id_x 1
		.amdhsa_system_sgpr_workgroup_id_y 0
		.amdhsa_system_sgpr_workgroup_id_z 0
		.amdhsa_system_sgpr_workgroup_info 0
		.amdhsa_system_vgpr_workitem_id 0
		.amdhsa_next_free_vgpr 11
		.amdhsa_next_free_sgpr 16
		.amdhsa_accum_offset 12
		.amdhsa_reserve_vcc 1
		.amdhsa_float_round_mode_32 0
		.amdhsa_float_round_mode_16_64 0
		.amdhsa_float_denorm_mode_32 3
		.amdhsa_float_denorm_mode_16_64 3
		.amdhsa_dx10_clamp 1
		.amdhsa_ieee_mode 1
		.amdhsa_fp16_overflow 0
		.amdhsa_tg_split 0
		.amdhsa_exception_fp_ieee_invalid_op 0
		.amdhsa_exception_fp_denorm_src 0
		.amdhsa_exception_fp_ieee_div_zero 0
		.amdhsa_exception_fp_ieee_overflow 0
		.amdhsa_exception_fp_ieee_underflow 0
		.amdhsa_exception_fp_ieee_inexact 0
		.amdhsa_exception_int_div_zero 0
	.end_amdhsa_kernel
	.section	.text._ZN2at6native14lpnorm_cleanupIdLNS0_8NormTypeE0EfLb1EfEEvPKT3_NS0_19TensorListAddressesEi,"axG",@progbits,_ZN2at6native14lpnorm_cleanupIdLNS0_8NormTypeE0EfLb1EfEEvPKT3_NS0_19TensorListAddressesEi,comdat
.Lfunc_end32:
	.size	_ZN2at6native14lpnorm_cleanupIdLNS0_8NormTypeE0EfLb1EfEEvPKT3_NS0_19TensorListAddressesEi, .Lfunc_end32-_ZN2at6native14lpnorm_cleanupIdLNS0_8NormTypeE0EfLb1EfEEvPKT3_NS0_19TensorListAddressesEi
                                        ; -- End function
	.set _ZN2at6native14lpnorm_cleanupIdLNS0_8NormTypeE0EfLb1EfEEvPKT3_NS0_19TensorListAddressesEi.num_vgpr, 11
	.set _ZN2at6native14lpnorm_cleanupIdLNS0_8NormTypeE0EfLb1EfEEvPKT3_NS0_19TensorListAddressesEi.num_agpr, 0
	.set _ZN2at6native14lpnorm_cleanupIdLNS0_8NormTypeE0EfLb1EfEEvPKT3_NS0_19TensorListAddressesEi.numbered_sgpr, 16
	.set _ZN2at6native14lpnorm_cleanupIdLNS0_8NormTypeE0EfLb1EfEEvPKT3_NS0_19TensorListAddressesEi.num_named_barrier, 0
	.set _ZN2at6native14lpnorm_cleanupIdLNS0_8NormTypeE0EfLb1EfEEvPKT3_NS0_19TensorListAddressesEi.private_seg_size, 0
	.set _ZN2at6native14lpnorm_cleanupIdLNS0_8NormTypeE0EfLb1EfEEvPKT3_NS0_19TensorListAddressesEi.uses_vcc, 1
	.set _ZN2at6native14lpnorm_cleanupIdLNS0_8NormTypeE0EfLb1EfEEvPKT3_NS0_19TensorListAddressesEi.uses_flat_scratch, 0
	.set _ZN2at6native14lpnorm_cleanupIdLNS0_8NormTypeE0EfLb1EfEEvPKT3_NS0_19TensorListAddressesEi.has_dyn_sized_stack, 0
	.set _ZN2at6native14lpnorm_cleanupIdLNS0_8NormTypeE0EfLb1EfEEvPKT3_NS0_19TensorListAddressesEi.has_recursion, 0
	.set _ZN2at6native14lpnorm_cleanupIdLNS0_8NormTypeE0EfLb1EfEEvPKT3_NS0_19TensorListAddressesEi.has_indirect_call, 0
	.section	.AMDGPU.csdata,"",@progbits
; Kernel info:
; codeLenInByte = 660
; TotalNumSgprs: 22
; NumVgprs: 11
; NumAgprs: 0
; TotalNumVgprs: 11
; ScratchSize: 0
; MemoryBound: 0
; FloatMode: 240
; IeeeMode: 1
; LDSByteSize: 2048 bytes/workgroup (compile time only)
; SGPRBlocks: 2
; VGPRBlocks: 1
; NumSGPRsForWavesPerEU: 22
; NumVGPRsForWavesPerEU: 11
; AccumOffset: 12
; Occupancy: 8
; WaveLimiterHint : 0
; COMPUTE_PGM_RSRC2:SCRATCH_EN: 0
; COMPUTE_PGM_RSRC2:USER_SGPR: 2
; COMPUTE_PGM_RSRC2:TRAP_HANDLER: 0
; COMPUTE_PGM_RSRC2:TGID_X_EN: 1
; COMPUTE_PGM_RSRC2:TGID_Y_EN: 0
; COMPUTE_PGM_RSRC2:TGID_Z_EN: 0
; COMPUTE_PGM_RSRC2:TIDIG_COMP_CNT: 0
; COMPUTE_PGM_RSRC3_GFX90A:ACCUM_OFFSET: 2
; COMPUTE_PGM_RSRC3_GFX90A:TG_SPLIT: 0
	.section	.text._ZN2at6native14lpnorm_cleanupIdLNS0_8NormTypeE1EfLb1EfEEvPKT3_NS0_19TensorListAddressesEi,"axG",@progbits,_ZN2at6native14lpnorm_cleanupIdLNS0_8NormTypeE1EfLb1EfEEvPKT3_NS0_19TensorListAddressesEi,comdat
	.protected	_ZN2at6native14lpnorm_cleanupIdLNS0_8NormTypeE1EfLb1EfEEvPKT3_NS0_19TensorListAddressesEi ; -- Begin function _ZN2at6native14lpnorm_cleanupIdLNS0_8NormTypeE1EfLb1EfEEvPKT3_NS0_19TensorListAddressesEi
	.globl	_ZN2at6native14lpnorm_cleanupIdLNS0_8NormTypeE1EfLb1EfEEvPKT3_NS0_19TensorListAddressesEi
	.p2align	8
	.type	_ZN2at6native14lpnorm_cleanupIdLNS0_8NormTypeE1EfLb1EfEEvPKT3_NS0_19TensorListAddressesEi,@function
_ZN2at6native14lpnorm_cleanupIdLNS0_8NormTypeE1EfLb1EfEEvPKT3_NS0_19TensorListAddressesEi: ; @_ZN2at6native14lpnorm_cleanupIdLNS0_8NormTypeE1EfLb1EfEEvPKT3_NS0_19TensorListAddressesEi
; %bb.0:
	s_load_dword s6, s[0:1], 0xc88
	v_mov_b32_e32 v1, 0
	s_waitcnt lgkmcnt(0)
	v_cmp_gt_u32_e32 vcc, s6, v0
	s_and_saveexec_b64 s[4:5], vcc
	s_cbranch_execz .LBB33_4
; %bb.1:
	s_load_dwordx2 s[12:13], s[0:1], 0x0
	s_load_dword s3, s[0:1], 0xc9c
	s_mul_i32 s8, s6, s2
	s_mov_b32 s9, 0
	s_ashr_i32 s7, s6, 31
	s_lshl_b64 s[14:15], s[8:9], 2
	s_waitcnt lgkmcnt(0)
	s_and_b32 s10, s3, 0xffff
	v_mov_b32_e32 v1, 0
	s_add_u32 s12, s12, s14
	v_lshlrev_b32_e32 v2, 2, v0
	v_mov_b32_e32 v3, v1
	s_addc_u32 s13, s13, s15
	s_mov_b32 s11, s9
	v_lshl_add_u64 v[2:3], s[12:13], 0, v[2:3]
	s_lshl_b32 s8, s10, 2
	s_mov_b64 s[12:13], 0
	v_mov_b64_e32 v[4:5], v[0:1]
.LBB33_2:                               ; =>This Inner Loop Header: Depth=1
	global_load_dword v6, v[2:3], off
	v_lshl_add_u64 v[4:5], v[4:5], 0, s[10:11]
	v_cmp_le_u64_e32 vcc, s[6:7], v[4:5]
	v_lshl_add_u64 v[2:3], v[2:3], 0, s[8:9]
	s_or_b64 s[12:13], vcc, s[12:13]
	s_waitcnt vmcnt(0)
	v_add_f32_e32 v1, v1, v6
	s_andn2_b64 exec, exec, s[12:13]
	s_cbranch_execnz .LBB33_2
; %bb.3:
	s_or_b64 exec, exec, s[12:13]
.LBB33_4:
	s_or_b64 exec, exec, s[4:5]
	v_mbcnt_lo_u32_b32 v2, -1, 0
	v_mbcnt_hi_u32_b32 v6, -1, v2
	v_mov_b32_e32 v2, 0x80
	v_lshl_or_b32 v2, v6, 2, v2
	ds_bpermute_b32 v3, v2, v1
	v_and_b32_e32 v7, 63, v6
	v_cmp_gt_u32_e32 vcc, 48, v7
	s_waitcnt lgkmcnt(0)
	s_barrier
	v_cndmask_b32_e64 v4, 0, 16, vcc
	v_add_f32_e32 v5, v1, v3
	v_add_lshl_u32 v1, v4, v6, 2
	ds_bpermute_b32 v4, v1, v5
	v_cmp_gt_u32_e32 vcc, 56, v7
	s_waitcnt lgkmcnt(0)
	v_add_f32_e32 v5, v5, v4
	v_cndmask_b32_e64 v3, 0, 8, vcc
	v_add_lshl_u32 v3, v3, v6, 2
	ds_bpermute_b32 v8, v3, v5
	v_cmp_gt_u32_e32 vcc, 60, v7
	s_waitcnt lgkmcnt(0)
	v_add_f32_e32 v8, v5, v8
	v_cndmask_b32_e64 v4, 0, 4, vcc
	;; [unrolled: 6-line block ×3, first 2 shown]
	v_add_lshl_u32 v5, v5, v6, 2
	ds_bpermute_b32 v10, v5, v9
	v_cmp_ne_u32_e32 vcc, 63, v7
	v_and_b32_e32 v8, 63, v0
	s_waitcnt lgkmcnt(0)
	v_add_f32_e32 v7, v9, v10
	v_addc_co_u32_e32 v6, vcc, 0, v6, vcc
	v_lshlrev_b32_e32 v6, 2, v6
	ds_bpermute_b32 v9, v6, v7
	v_cmp_eq_u32_e32 vcc, 0, v8
	s_and_saveexec_b64 s[4:5], vcc
	s_cbranch_execz .LBB33_6
; %bb.5:
	s_waitcnt lgkmcnt(0)
	v_add_f32_e32 v7, v7, v9
	v_lshrrev_b32_e32 v9, 4, v0
	ds_write_b32 v9, v7
.LBB33_6:
	s_or_b64 exec, exec, s[4:5]
	s_waitcnt lgkmcnt(0)
	s_barrier
	s_load_dword s3, s[0:1], 0xc9c
	v_mov_b32_e32 v7, 0
	s_waitcnt lgkmcnt(0)
	s_bfe_u32 s3, s3, 0xa0006
	v_cmp_gt_u32_e32 vcc, s3, v0
	s_and_saveexec_b64 s[4:5], vcc
; %bb.7:
	v_lshlrev_b32_e32 v7, 2, v8
	ds_read_b32 v7, v7
; %bb.8:
	s_or_b64 exec, exec, s[4:5]
	v_cmp_gt_u32_e32 vcc, 64, v0
	s_and_saveexec_b64 s[4:5], vcc
	s_cbranch_execz .LBB33_10
; %bb.9:
	s_waitcnt lgkmcnt(0)
	ds_bpermute_b32 v2, v2, v7
	s_waitcnt lgkmcnt(0)
	v_add_f32_e32 v2, v7, v2
	ds_bpermute_b32 v1, v1, v2
	s_waitcnt lgkmcnt(0)
	v_add_f32_e32 v1, v2, v1
	;; [unrolled: 3-line block ×6, first 2 shown]
.LBB33_10:
	s_or_b64 exec, exec, s[4:5]
	s_mov_b32 s3, 0
	v_cmp_eq_u32_e32 vcc, 0, v0
	s_and_saveexec_b64 s[4:5], vcc
	s_cbranch_execz .LBB33_12
; %bb.11:
	s_lshl_b64 s[2:3], s[2:3], 3
	s_add_u32 s0, s0, s2
	s_addc_u32 s1, s1, s3
	s_load_dwordx2 s[0:1], s[0:1], 0x8
	v_mov_b32_e32 v0, 0
	s_waitcnt lgkmcnt(0)
	global_store_dword v0, v7, s[0:1]
.LBB33_12:
	s_endpgm
	.section	.rodata,"a",@progbits
	.p2align	6, 0x0
	.amdhsa_kernel _ZN2at6native14lpnorm_cleanupIdLNS0_8NormTypeE1EfLb1EfEEvPKT3_NS0_19TensorListAddressesEi
		.amdhsa_group_segment_fixed_size 2048
		.amdhsa_private_segment_fixed_size 0
		.amdhsa_kernarg_size 3472
		.amdhsa_user_sgpr_count 2
		.amdhsa_user_sgpr_dispatch_ptr 0
		.amdhsa_user_sgpr_queue_ptr 0
		.amdhsa_user_sgpr_kernarg_segment_ptr 1
		.amdhsa_user_sgpr_dispatch_id 0
		.amdhsa_user_sgpr_kernarg_preload_length 0
		.amdhsa_user_sgpr_kernarg_preload_offset 0
		.amdhsa_user_sgpr_private_segment_size 0
		.amdhsa_uses_dynamic_stack 0
		.amdhsa_enable_private_segment 0
		.amdhsa_system_sgpr_workgroup_id_x 1
		.amdhsa_system_sgpr_workgroup_id_y 0
		.amdhsa_system_sgpr_workgroup_id_z 0
		.amdhsa_system_sgpr_workgroup_info 0
		.amdhsa_system_vgpr_workitem_id 0
		.amdhsa_next_free_vgpr 11
		.amdhsa_next_free_sgpr 16
		.amdhsa_accum_offset 12
		.amdhsa_reserve_vcc 1
		.amdhsa_float_round_mode_32 0
		.amdhsa_float_round_mode_16_64 0
		.amdhsa_float_denorm_mode_32 3
		.amdhsa_float_denorm_mode_16_64 3
		.amdhsa_dx10_clamp 1
		.amdhsa_ieee_mode 1
		.amdhsa_fp16_overflow 0
		.amdhsa_tg_split 0
		.amdhsa_exception_fp_ieee_invalid_op 0
		.amdhsa_exception_fp_denorm_src 0
		.amdhsa_exception_fp_ieee_div_zero 0
		.amdhsa_exception_fp_ieee_overflow 0
		.amdhsa_exception_fp_ieee_underflow 0
		.amdhsa_exception_fp_ieee_inexact 0
		.amdhsa_exception_int_div_zero 0
	.end_amdhsa_kernel
	.section	.text._ZN2at6native14lpnorm_cleanupIdLNS0_8NormTypeE1EfLb1EfEEvPKT3_NS0_19TensorListAddressesEi,"axG",@progbits,_ZN2at6native14lpnorm_cleanupIdLNS0_8NormTypeE1EfLb1EfEEvPKT3_NS0_19TensorListAddressesEi,comdat
.Lfunc_end33:
	.size	_ZN2at6native14lpnorm_cleanupIdLNS0_8NormTypeE1EfLb1EfEEvPKT3_NS0_19TensorListAddressesEi, .Lfunc_end33-_ZN2at6native14lpnorm_cleanupIdLNS0_8NormTypeE1EfLb1EfEEvPKT3_NS0_19TensorListAddressesEi
                                        ; -- End function
	.set _ZN2at6native14lpnorm_cleanupIdLNS0_8NormTypeE1EfLb1EfEEvPKT3_NS0_19TensorListAddressesEi.num_vgpr, 11
	.set _ZN2at6native14lpnorm_cleanupIdLNS0_8NormTypeE1EfLb1EfEEvPKT3_NS0_19TensorListAddressesEi.num_agpr, 0
	.set _ZN2at6native14lpnorm_cleanupIdLNS0_8NormTypeE1EfLb1EfEEvPKT3_NS0_19TensorListAddressesEi.numbered_sgpr, 16
	.set _ZN2at6native14lpnorm_cleanupIdLNS0_8NormTypeE1EfLb1EfEEvPKT3_NS0_19TensorListAddressesEi.num_named_barrier, 0
	.set _ZN2at6native14lpnorm_cleanupIdLNS0_8NormTypeE1EfLb1EfEEvPKT3_NS0_19TensorListAddressesEi.private_seg_size, 0
	.set _ZN2at6native14lpnorm_cleanupIdLNS0_8NormTypeE1EfLb1EfEEvPKT3_NS0_19TensorListAddressesEi.uses_vcc, 1
	.set _ZN2at6native14lpnorm_cleanupIdLNS0_8NormTypeE1EfLb1EfEEvPKT3_NS0_19TensorListAddressesEi.uses_flat_scratch, 0
	.set _ZN2at6native14lpnorm_cleanupIdLNS0_8NormTypeE1EfLb1EfEEvPKT3_NS0_19TensorListAddressesEi.has_dyn_sized_stack, 0
	.set _ZN2at6native14lpnorm_cleanupIdLNS0_8NormTypeE1EfLb1EfEEvPKT3_NS0_19TensorListAddressesEi.has_recursion, 0
	.set _ZN2at6native14lpnorm_cleanupIdLNS0_8NormTypeE1EfLb1EfEEvPKT3_NS0_19TensorListAddressesEi.has_indirect_call, 0
	.section	.AMDGPU.csdata,"",@progbits
; Kernel info:
; codeLenInByte = 660
; TotalNumSgprs: 22
; NumVgprs: 11
; NumAgprs: 0
; TotalNumVgprs: 11
; ScratchSize: 0
; MemoryBound: 0
; FloatMode: 240
; IeeeMode: 1
; LDSByteSize: 2048 bytes/workgroup (compile time only)
; SGPRBlocks: 2
; VGPRBlocks: 1
; NumSGPRsForWavesPerEU: 22
; NumVGPRsForWavesPerEU: 11
; AccumOffset: 12
; Occupancy: 8
; WaveLimiterHint : 0
; COMPUTE_PGM_RSRC2:SCRATCH_EN: 0
; COMPUTE_PGM_RSRC2:USER_SGPR: 2
; COMPUTE_PGM_RSRC2:TRAP_HANDLER: 0
; COMPUTE_PGM_RSRC2:TGID_X_EN: 1
; COMPUTE_PGM_RSRC2:TGID_Y_EN: 0
; COMPUTE_PGM_RSRC2:TGID_Z_EN: 0
; COMPUTE_PGM_RSRC2:TIDIG_COMP_CNT: 0
; COMPUTE_PGM_RSRC3_GFX90A:ACCUM_OFFSET: 2
; COMPUTE_PGM_RSRC3_GFX90A:TG_SPLIT: 0
	.section	.text._ZN2at6native14lpnorm_cleanupIdLNS0_8NormTypeE2EfLb1EfEEvPKT3_NS0_19TensorListAddressesEi,"axG",@progbits,_ZN2at6native14lpnorm_cleanupIdLNS0_8NormTypeE2EfLb1EfEEvPKT3_NS0_19TensorListAddressesEi,comdat
	.protected	_ZN2at6native14lpnorm_cleanupIdLNS0_8NormTypeE2EfLb1EfEEvPKT3_NS0_19TensorListAddressesEi ; -- Begin function _ZN2at6native14lpnorm_cleanupIdLNS0_8NormTypeE2EfLb1EfEEvPKT3_NS0_19TensorListAddressesEi
	.globl	_ZN2at6native14lpnorm_cleanupIdLNS0_8NormTypeE2EfLb1EfEEvPKT3_NS0_19TensorListAddressesEi
	.p2align	8
	.type	_ZN2at6native14lpnorm_cleanupIdLNS0_8NormTypeE2EfLb1EfEEvPKT3_NS0_19TensorListAddressesEi,@function
_ZN2at6native14lpnorm_cleanupIdLNS0_8NormTypeE2EfLb1EfEEvPKT3_NS0_19TensorListAddressesEi: ; @_ZN2at6native14lpnorm_cleanupIdLNS0_8NormTypeE2EfLb1EfEEvPKT3_NS0_19TensorListAddressesEi
; %bb.0:
	s_load_dword s6, s[0:1], 0xc88
	v_mov_b32_e32 v1, 0
	s_waitcnt lgkmcnt(0)
	v_cmp_gt_u32_e32 vcc, s6, v0
	s_and_saveexec_b64 s[4:5], vcc
	s_cbranch_execz .LBB34_4
; %bb.1:
	s_load_dwordx2 s[12:13], s[0:1], 0x0
	s_load_dword s3, s[0:1], 0xc9c
	s_mul_i32 s8, s6, s2
	s_mov_b32 s9, 0
	s_ashr_i32 s7, s6, 31
	s_lshl_b64 s[14:15], s[8:9], 2
	s_waitcnt lgkmcnt(0)
	s_and_b32 s10, s3, 0xffff
	v_mov_b32_e32 v1, 0
	s_add_u32 s12, s12, s14
	v_lshlrev_b32_e32 v2, 2, v0
	v_mov_b32_e32 v3, v1
	s_addc_u32 s13, s13, s15
	s_mov_b32 s11, s9
	v_lshl_add_u64 v[2:3], s[12:13], 0, v[2:3]
	s_lshl_b32 s8, s10, 2
	s_mov_b64 s[12:13], 0
	v_mov_b64_e32 v[4:5], v[0:1]
.LBB34_2:                               ; =>This Inner Loop Header: Depth=1
	global_load_dword v6, v[2:3], off
	v_lshl_add_u64 v[4:5], v[4:5], 0, s[10:11]
	v_cmp_le_u64_e32 vcc, s[6:7], v[4:5]
	v_lshl_add_u64 v[2:3], v[2:3], 0, s[8:9]
	s_or_b64 s[12:13], vcc, s[12:13]
	s_waitcnt vmcnt(0)
	v_add_f32_e32 v1, v1, v6
	s_andn2_b64 exec, exec, s[12:13]
	s_cbranch_execnz .LBB34_2
; %bb.3:
	s_or_b64 exec, exec, s[12:13]
.LBB34_4:
	s_or_b64 exec, exec, s[4:5]
	v_mbcnt_lo_u32_b32 v2, -1, 0
	v_mbcnt_hi_u32_b32 v6, -1, v2
	v_mov_b32_e32 v2, 0x80
	v_lshl_or_b32 v2, v6, 2, v2
	ds_bpermute_b32 v3, v2, v1
	v_and_b32_e32 v7, 63, v6
	v_cmp_gt_u32_e32 vcc, 48, v7
	s_waitcnt lgkmcnt(0)
	s_barrier
	v_cndmask_b32_e64 v4, 0, 16, vcc
	v_add_f32_e32 v5, v1, v3
	v_add_lshl_u32 v1, v4, v6, 2
	ds_bpermute_b32 v4, v1, v5
	v_cmp_gt_u32_e32 vcc, 56, v7
	s_waitcnt lgkmcnt(0)
	v_add_f32_e32 v5, v5, v4
	v_cndmask_b32_e64 v3, 0, 8, vcc
	v_add_lshl_u32 v3, v3, v6, 2
	ds_bpermute_b32 v8, v3, v5
	v_cmp_gt_u32_e32 vcc, 60, v7
	s_waitcnt lgkmcnt(0)
	v_add_f32_e32 v8, v5, v8
	v_cndmask_b32_e64 v4, 0, 4, vcc
	;; [unrolled: 6-line block ×3, first 2 shown]
	v_add_lshl_u32 v5, v5, v6, 2
	ds_bpermute_b32 v10, v5, v9
	v_cmp_ne_u32_e32 vcc, 63, v7
	v_and_b32_e32 v8, 63, v0
	s_waitcnt lgkmcnt(0)
	v_add_f32_e32 v7, v9, v10
	v_addc_co_u32_e32 v6, vcc, 0, v6, vcc
	v_lshlrev_b32_e32 v6, 2, v6
	ds_bpermute_b32 v9, v6, v7
	v_cmp_eq_u32_e32 vcc, 0, v8
	s_and_saveexec_b64 s[4:5], vcc
	s_cbranch_execz .LBB34_6
; %bb.5:
	s_waitcnt lgkmcnt(0)
	v_add_f32_e32 v7, v7, v9
	v_lshrrev_b32_e32 v9, 4, v0
	ds_write_b32 v9, v7
.LBB34_6:
	s_or_b64 exec, exec, s[4:5]
	s_waitcnt lgkmcnt(0)
	s_barrier
	s_load_dword s3, s[0:1], 0xc9c
	v_mov_b32_e32 v7, 0
	s_waitcnt lgkmcnt(0)
	s_bfe_u32 s3, s3, 0xa0006
	v_cmp_gt_u32_e32 vcc, s3, v0
	s_and_saveexec_b64 s[4:5], vcc
; %bb.7:
	v_lshlrev_b32_e32 v7, 2, v8
	ds_read_b32 v7, v7
; %bb.8:
	s_or_b64 exec, exec, s[4:5]
	v_cmp_gt_u32_e32 vcc, 64, v0
	s_and_saveexec_b64 s[4:5], vcc
	s_cbranch_execz .LBB34_10
; %bb.9:
	s_waitcnt lgkmcnt(0)
	ds_bpermute_b32 v2, v2, v7
	s_waitcnt lgkmcnt(0)
	v_add_f32_e32 v2, v7, v2
	ds_bpermute_b32 v1, v1, v2
	s_waitcnt lgkmcnt(0)
	v_add_f32_e32 v1, v2, v1
	;; [unrolled: 3-line block ×6, first 2 shown]
.LBB34_10:
	s_or_b64 exec, exec, s[4:5]
	s_mov_b32 s3, 0
	v_cmp_eq_u32_e32 vcc, 0, v0
	s_and_saveexec_b64 s[4:5], vcc
	s_cbranch_execz .LBB34_12
; %bb.11:
	s_mov_b32 s4, 0xf800000
	s_waitcnt lgkmcnt(0)
	v_mul_f32_e32 v0, 0x4f800000, v7
	v_cmp_gt_f32_e32 vcc, s4, v7
	s_lshl_b64 s[2:3], s[2:3], 3
	s_add_u32 s2, s0, s2
	v_cndmask_b32_e32 v0, v7, v0, vcc
	v_sqrt_f32_e32 v1, v0
	s_addc_u32 s3, s1, s3
	v_add_u32_e32 v2, -1, v1
	v_fma_f32 v3, -v2, v1, v0
	v_cmp_ge_f32_e64 s[0:1], 0, v3
	v_add_u32_e32 v3, 1, v1
	s_nop 0
	v_cndmask_b32_e64 v2, v1, v2, s[0:1]
	v_fma_f32 v1, -v3, v1, v0
	v_cmp_lt_f32_e64 s[0:1], 0, v1
	s_nop 1
	v_cndmask_b32_e64 v1, v2, v3, s[0:1]
	s_load_dwordx2 s[0:1], s[2:3], 0x8
	v_mul_f32_e32 v2, 0x37800000, v1
	v_cndmask_b32_e32 v1, v1, v2, vcc
	v_mov_b32_e32 v2, 0x260
	v_cmp_class_f32_e32 vcc, v0, v2
	s_nop 1
	v_cndmask_b32_e32 v0, v1, v0, vcc
	v_mov_b32_e32 v1, 0
	s_waitcnt lgkmcnt(0)
	global_store_dword v1, v0, s[0:1]
.LBB34_12:
	s_endpgm
	.section	.rodata,"a",@progbits
	.p2align	6, 0x0
	.amdhsa_kernel _ZN2at6native14lpnorm_cleanupIdLNS0_8NormTypeE2EfLb1EfEEvPKT3_NS0_19TensorListAddressesEi
		.amdhsa_group_segment_fixed_size 2048
		.amdhsa_private_segment_fixed_size 0
		.amdhsa_kernarg_size 3472
		.amdhsa_user_sgpr_count 2
		.amdhsa_user_sgpr_dispatch_ptr 0
		.amdhsa_user_sgpr_queue_ptr 0
		.amdhsa_user_sgpr_kernarg_segment_ptr 1
		.amdhsa_user_sgpr_dispatch_id 0
		.amdhsa_user_sgpr_kernarg_preload_length 0
		.amdhsa_user_sgpr_kernarg_preload_offset 0
		.amdhsa_user_sgpr_private_segment_size 0
		.amdhsa_uses_dynamic_stack 0
		.amdhsa_enable_private_segment 0
		.amdhsa_system_sgpr_workgroup_id_x 1
		.amdhsa_system_sgpr_workgroup_id_y 0
		.amdhsa_system_sgpr_workgroup_id_z 0
		.amdhsa_system_sgpr_workgroup_info 0
		.amdhsa_system_vgpr_workitem_id 0
		.amdhsa_next_free_vgpr 11
		.amdhsa_next_free_sgpr 16
		.amdhsa_accum_offset 12
		.amdhsa_reserve_vcc 1
		.amdhsa_float_round_mode_32 0
		.amdhsa_float_round_mode_16_64 0
		.amdhsa_float_denorm_mode_32 3
		.amdhsa_float_denorm_mode_16_64 3
		.amdhsa_dx10_clamp 1
		.amdhsa_ieee_mode 1
		.amdhsa_fp16_overflow 0
		.amdhsa_tg_split 0
		.amdhsa_exception_fp_ieee_invalid_op 0
		.amdhsa_exception_fp_denorm_src 0
		.amdhsa_exception_fp_ieee_div_zero 0
		.amdhsa_exception_fp_ieee_overflow 0
		.amdhsa_exception_fp_ieee_underflow 0
		.amdhsa_exception_fp_ieee_inexact 0
		.amdhsa_exception_int_div_zero 0
	.end_amdhsa_kernel
	.section	.text._ZN2at6native14lpnorm_cleanupIdLNS0_8NormTypeE2EfLb1EfEEvPKT3_NS0_19TensorListAddressesEi,"axG",@progbits,_ZN2at6native14lpnorm_cleanupIdLNS0_8NormTypeE2EfLb1EfEEvPKT3_NS0_19TensorListAddressesEi,comdat
.Lfunc_end34:
	.size	_ZN2at6native14lpnorm_cleanupIdLNS0_8NormTypeE2EfLb1EfEEvPKT3_NS0_19TensorListAddressesEi, .Lfunc_end34-_ZN2at6native14lpnorm_cleanupIdLNS0_8NormTypeE2EfLb1EfEEvPKT3_NS0_19TensorListAddressesEi
                                        ; -- End function
	.set _ZN2at6native14lpnorm_cleanupIdLNS0_8NormTypeE2EfLb1EfEEvPKT3_NS0_19TensorListAddressesEi.num_vgpr, 11
	.set _ZN2at6native14lpnorm_cleanupIdLNS0_8NormTypeE2EfLb1EfEEvPKT3_NS0_19TensorListAddressesEi.num_agpr, 0
	.set _ZN2at6native14lpnorm_cleanupIdLNS0_8NormTypeE2EfLb1EfEEvPKT3_NS0_19TensorListAddressesEi.numbered_sgpr, 16
	.set _ZN2at6native14lpnorm_cleanupIdLNS0_8NormTypeE2EfLb1EfEEvPKT3_NS0_19TensorListAddressesEi.num_named_barrier, 0
	.set _ZN2at6native14lpnorm_cleanupIdLNS0_8NormTypeE2EfLb1EfEEvPKT3_NS0_19TensorListAddressesEi.private_seg_size, 0
	.set _ZN2at6native14lpnorm_cleanupIdLNS0_8NormTypeE2EfLb1EfEEvPKT3_NS0_19TensorListAddressesEi.uses_vcc, 1
	.set _ZN2at6native14lpnorm_cleanupIdLNS0_8NormTypeE2EfLb1EfEEvPKT3_NS0_19TensorListAddressesEi.uses_flat_scratch, 0
	.set _ZN2at6native14lpnorm_cleanupIdLNS0_8NormTypeE2EfLb1EfEEvPKT3_NS0_19TensorListAddressesEi.has_dyn_sized_stack, 0
	.set _ZN2at6native14lpnorm_cleanupIdLNS0_8NormTypeE2EfLb1EfEEvPKT3_NS0_19TensorListAddressesEi.has_recursion, 0
	.set _ZN2at6native14lpnorm_cleanupIdLNS0_8NormTypeE2EfLb1EfEEvPKT3_NS0_19TensorListAddressesEi.has_indirect_call, 0
	.section	.AMDGPU.csdata,"",@progbits
; Kernel info:
; codeLenInByte = 788
; TotalNumSgprs: 22
; NumVgprs: 11
; NumAgprs: 0
; TotalNumVgprs: 11
; ScratchSize: 0
; MemoryBound: 0
; FloatMode: 240
; IeeeMode: 1
; LDSByteSize: 2048 bytes/workgroup (compile time only)
; SGPRBlocks: 2
; VGPRBlocks: 1
; NumSGPRsForWavesPerEU: 22
; NumVGPRsForWavesPerEU: 11
; AccumOffset: 12
; Occupancy: 8
; WaveLimiterHint : 0
; COMPUTE_PGM_RSRC2:SCRATCH_EN: 0
; COMPUTE_PGM_RSRC2:USER_SGPR: 2
; COMPUTE_PGM_RSRC2:TRAP_HANDLER: 0
; COMPUTE_PGM_RSRC2:TGID_X_EN: 1
; COMPUTE_PGM_RSRC2:TGID_Y_EN: 0
; COMPUTE_PGM_RSRC2:TGID_Z_EN: 0
; COMPUTE_PGM_RSRC2:TIDIG_COMP_CNT: 0
; COMPUTE_PGM_RSRC3_GFX90A:ACCUM_OFFSET: 2
; COMPUTE_PGM_RSRC3_GFX90A:TG_SPLIT: 0
	.section	.text._ZN2at6native14lpnorm_cleanupIdLNS0_8NormTypeE3EfLb1EfEEvPKT3_NS0_19TensorListAddressesEi,"axG",@progbits,_ZN2at6native14lpnorm_cleanupIdLNS0_8NormTypeE3EfLb1EfEEvPKT3_NS0_19TensorListAddressesEi,comdat
	.protected	_ZN2at6native14lpnorm_cleanupIdLNS0_8NormTypeE3EfLb1EfEEvPKT3_NS0_19TensorListAddressesEi ; -- Begin function _ZN2at6native14lpnorm_cleanupIdLNS0_8NormTypeE3EfLb1EfEEvPKT3_NS0_19TensorListAddressesEi
	.globl	_ZN2at6native14lpnorm_cleanupIdLNS0_8NormTypeE3EfLb1EfEEvPKT3_NS0_19TensorListAddressesEi
	.p2align	8
	.type	_ZN2at6native14lpnorm_cleanupIdLNS0_8NormTypeE3EfLb1EfEEvPKT3_NS0_19TensorListAddressesEi,@function
_ZN2at6native14lpnorm_cleanupIdLNS0_8NormTypeE3EfLb1EfEEvPKT3_NS0_19TensorListAddressesEi: ; @_ZN2at6native14lpnorm_cleanupIdLNS0_8NormTypeE3EfLb1EfEEvPKT3_NS0_19TensorListAddressesEi
; %bb.0:
	s_load_dword s10, s[0:1], 0xc88
	v_mov_b32_e32 v1, 0
	s_waitcnt lgkmcnt(0)
	v_cmp_gt_u32_e32 vcc, s10, v0
	s_and_saveexec_b64 s[8:9], vcc
	s_cbranch_execz .LBB35_4
; %bb.1:
	s_load_dwordx2 s[4:5], s[0:1], 0x0
	s_load_dword s3, s[0:1], 0xc9c
	s_mul_i32 s12, s10, s2
	s_mov_b32 s13, 0
	s_ashr_i32 s11, s10, 31
	s_lshl_b64 s[6:7], s[12:13], 2
	s_waitcnt lgkmcnt(0)
	s_and_b32 s14, s3, 0xffff
	v_mov_b32_e32 v1, 0
	s_add_u32 s4, s4, s6
	v_lshlrev_b32_e32 v2, 2, v0
	v_mov_b32_e32 v3, v1
	s_addc_u32 s5, s5, s7
	s_mov_b32 s15, s13
	v_lshl_add_u64 v[2:3], s[4:5], 0, v[2:3]
	s_lshl_b32 s12, s14, 2
	s_mov_b64 s[16:17], 0
	v_mov_b64_e32 v[4:5], v[0:1]
.LBB35_2:                               ; =>This Inner Loop Header: Depth=1
	global_load_dword v6, v[2:3], off
	v_lshl_add_u64 v[4:5], v[4:5], 0, s[14:15]
	v_cmp_le_u64_e32 vcc, s[10:11], v[4:5]
	v_lshl_add_u64 v[2:3], v[2:3], 0, s[12:13]
	s_waitcnt vmcnt(0)
	v_cmp_u_f32_e64 s[4:5], v6, v6
	v_cmp_lt_f32_e64 s[6:7], v1, v6
	s_or_b64 s[4:5], s[4:5], s[6:7]
	s_or_b64 s[16:17], vcc, s[16:17]
	v_cndmask_b32_e64 v1, v1, v6, s[4:5]
	s_andn2_b64 exec, exec, s[16:17]
	s_cbranch_execnz .LBB35_2
; %bb.3:
	s_or_b64 exec, exec, s[16:17]
.LBB35_4:
	s_or_b64 exec, exec, s[8:9]
	v_mbcnt_lo_u32_b32 v2, -1, 0
	v_mbcnt_hi_u32_b32 v6, -1, v2
	v_mov_b32_e32 v2, 0x80
	v_lshl_or_b32 v2, v6, 2, v2
	ds_bpermute_b32 v3, v2, v1
	v_and_b32_e32 v9, 63, v6
	v_and_b32_e32 v8, 63, v0
	s_waitcnt lgkmcnt(0)
	s_barrier
	v_cmp_u_f32_e32 vcc, v3, v3
	v_cmp_lt_f32_e64 s[4:5], v1, v3
	s_or_b64 vcc, vcc, s[4:5]
	v_cndmask_b32_e32 v3, v1, v3, vcc
	v_cmp_gt_u32_e32 vcc, 48, v9
	s_nop 1
	v_cndmask_b32_e64 v1, 0, 16, vcc
	v_add_lshl_u32 v1, v1, v6, 2
	ds_bpermute_b32 v4, v1, v3
	s_waitcnt lgkmcnt(0)
	v_cmp_u_f32_e32 vcc, v4, v4
	v_cmp_lt_f32_e64 s[4:5], v3, v4
	s_or_b64 vcc, vcc, s[4:5]
	v_cndmask_b32_e32 v4, v3, v4, vcc
	v_cmp_gt_u32_e32 vcc, 56, v9
	s_nop 1
	v_cndmask_b32_e64 v3, 0, 8, vcc
	v_add_lshl_u32 v3, v3, v6, 2
	ds_bpermute_b32 v5, v3, v4
	s_waitcnt lgkmcnt(0)
	;; [unrolled: 10-line block ×4, first 2 shown]
	v_cmp_u_f32_e32 vcc, v10, v10
	v_cmp_lt_f32_e64 s[4:5], v7, v10
	s_or_b64 vcc, vcc, s[4:5]
	v_cndmask_b32_e32 v7, v7, v10, vcc
	v_cmp_ne_u32_e32 vcc, 63, v9
	s_nop 1
	v_addc_co_u32_e32 v6, vcc, 0, v6, vcc
	v_lshlrev_b32_e32 v6, 2, v6
	ds_bpermute_b32 v9, v6, v7
	v_cmp_eq_u32_e32 vcc, 0, v8
	s_and_saveexec_b64 s[6:7], vcc
	s_cbranch_execz .LBB35_6
; %bb.5:
	s_waitcnt lgkmcnt(0)
	v_cmp_u_f32_e32 vcc, v9, v9
	v_cmp_lt_f32_e64 s[4:5], v7, v9
	s_or_b64 vcc, vcc, s[4:5]
	v_cndmask_b32_e32 v7, v7, v9, vcc
	v_lshrrev_b32_e32 v9, 4, v0
	ds_write_b32 v9, v7
.LBB35_6:
	s_or_b64 exec, exec, s[6:7]
	s_waitcnt lgkmcnt(0)
	s_barrier
	s_load_dword s3, s[0:1], 0xc9c
	v_mov_b32_e32 v7, 0xff7fffff
	s_waitcnt lgkmcnt(0)
	s_bfe_u32 s3, s3, 0xa0006
	v_cmp_gt_u32_e32 vcc, s3, v0
	s_and_saveexec_b64 s[4:5], vcc
; %bb.7:
	v_lshlrev_b32_e32 v7, 2, v8
	ds_read_b32 v7, v7
; %bb.8:
	s_or_b64 exec, exec, s[4:5]
	v_cmp_gt_u32_e32 vcc, 64, v0
	s_and_saveexec_b64 s[6:7], vcc
	s_cbranch_execz .LBB35_10
; %bb.9:
	s_waitcnt lgkmcnt(0)
	ds_bpermute_b32 v2, v2, v7
	s_waitcnt lgkmcnt(0)
	v_cmp_u_f32_e32 vcc, v2, v2
	v_cmp_lt_f32_e64 s[4:5], v7, v2
	s_or_b64 vcc, vcc, s[4:5]
	v_cndmask_b32_e32 v2, v7, v2, vcc
	ds_bpermute_b32 v1, v1, v2
	s_waitcnt lgkmcnt(0)
	v_cmp_u_f32_e32 vcc, v1, v1
	v_cmp_lt_f32_e64 s[4:5], v2, v1
	s_or_b64 vcc, vcc, s[4:5]
	v_cndmask_b32_e32 v1, v2, v1, vcc
	ds_bpermute_b32 v2, v3, v1
	s_waitcnt lgkmcnt(0)
	v_cmp_u_f32_e32 vcc, v2, v2
	v_cmp_lt_f32_e64 s[4:5], v1, v2
	s_or_b64 vcc, vcc, s[4:5]
	v_cndmask_b32_e32 v1, v1, v2, vcc
	ds_bpermute_b32 v2, v4, v1
	s_waitcnt lgkmcnt(0)
	v_cmp_u_f32_e32 vcc, v2, v2
	v_cmp_lt_f32_e64 s[4:5], v1, v2
	s_or_b64 vcc, vcc, s[4:5]
	v_cndmask_b32_e32 v1, v1, v2, vcc
	ds_bpermute_b32 v2, v5, v1
	s_waitcnt lgkmcnt(0)
	v_cmp_u_f32_e32 vcc, v2, v2
	v_cmp_lt_f32_e64 s[4:5], v1, v2
	s_or_b64 vcc, vcc, s[4:5]
	v_cndmask_b32_e32 v1, v1, v2, vcc
	ds_bpermute_b32 v2, v6, v1
	s_waitcnt lgkmcnt(0)
	v_cmp_u_f32_e32 vcc, v2, v2
	v_cmp_lt_f32_e64 s[4:5], v1, v2
	s_or_b64 vcc, vcc, s[4:5]
	v_cndmask_b32_e32 v7, v1, v2, vcc
.LBB35_10:
	s_or_b64 exec, exec, s[6:7]
	s_mov_b32 s3, 0
	v_cmp_eq_u32_e32 vcc, 0, v0
	s_and_saveexec_b64 s[4:5], vcc
	s_cbranch_execz .LBB35_12
; %bb.11:
	s_lshl_b64 s[2:3], s[2:3], 3
	s_add_u32 s0, s0, s2
	s_addc_u32 s1, s1, s3
	s_load_dwordx2 s[0:1], s[0:1], 0x8
	v_mov_b32_e32 v0, 0
	s_waitcnt lgkmcnt(0)
	global_store_dword v0, v7, s[0:1]
.LBB35_12:
	s_endpgm
	.section	.rodata,"a",@progbits
	.p2align	6, 0x0
	.amdhsa_kernel _ZN2at6native14lpnorm_cleanupIdLNS0_8NormTypeE3EfLb1EfEEvPKT3_NS0_19TensorListAddressesEi
		.amdhsa_group_segment_fixed_size 2048
		.amdhsa_private_segment_fixed_size 0
		.amdhsa_kernarg_size 3472
		.amdhsa_user_sgpr_count 2
		.amdhsa_user_sgpr_dispatch_ptr 0
		.amdhsa_user_sgpr_queue_ptr 0
		.amdhsa_user_sgpr_kernarg_segment_ptr 1
		.amdhsa_user_sgpr_dispatch_id 0
		.amdhsa_user_sgpr_kernarg_preload_length 0
		.amdhsa_user_sgpr_kernarg_preload_offset 0
		.amdhsa_user_sgpr_private_segment_size 0
		.amdhsa_uses_dynamic_stack 0
		.amdhsa_enable_private_segment 0
		.amdhsa_system_sgpr_workgroup_id_x 1
		.amdhsa_system_sgpr_workgroup_id_y 0
		.amdhsa_system_sgpr_workgroup_id_z 0
		.amdhsa_system_sgpr_workgroup_info 0
		.amdhsa_system_vgpr_workitem_id 0
		.amdhsa_next_free_vgpr 11
		.amdhsa_next_free_sgpr 18
		.amdhsa_accum_offset 12
		.amdhsa_reserve_vcc 1
		.amdhsa_float_round_mode_32 0
		.amdhsa_float_round_mode_16_64 0
		.amdhsa_float_denorm_mode_32 3
		.amdhsa_float_denorm_mode_16_64 3
		.amdhsa_dx10_clamp 1
		.amdhsa_ieee_mode 1
		.amdhsa_fp16_overflow 0
		.amdhsa_tg_split 0
		.amdhsa_exception_fp_ieee_invalid_op 0
		.amdhsa_exception_fp_denorm_src 0
		.amdhsa_exception_fp_ieee_div_zero 0
		.amdhsa_exception_fp_ieee_overflow 0
		.amdhsa_exception_fp_ieee_underflow 0
		.amdhsa_exception_fp_ieee_inexact 0
		.amdhsa_exception_int_div_zero 0
	.end_amdhsa_kernel
	.section	.text._ZN2at6native14lpnorm_cleanupIdLNS0_8NormTypeE3EfLb1EfEEvPKT3_NS0_19TensorListAddressesEi,"axG",@progbits,_ZN2at6native14lpnorm_cleanupIdLNS0_8NormTypeE3EfLb1EfEEvPKT3_NS0_19TensorListAddressesEi,comdat
.Lfunc_end35:
	.size	_ZN2at6native14lpnorm_cleanupIdLNS0_8NormTypeE3EfLb1EfEEvPKT3_NS0_19TensorListAddressesEi, .Lfunc_end35-_ZN2at6native14lpnorm_cleanupIdLNS0_8NormTypeE3EfLb1EfEEvPKT3_NS0_19TensorListAddressesEi
                                        ; -- End function
	.set _ZN2at6native14lpnorm_cleanupIdLNS0_8NormTypeE3EfLb1EfEEvPKT3_NS0_19TensorListAddressesEi.num_vgpr, 11
	.set _ZN2at6native14lpnorm_cleanupIdLNS0_8NormTypeE3EfLb1EfEEvPKT3_NS0_19TensorListAddressesEi.num_agpr, 0
	.set _ZN2at6native14lpnorm_cleanupIdLNS0_8NormTypeE3EfLb1EfEEvPKT3_NS0_19TensorListAddressesEi.numbered_sgpr, 18
	.set _ZN2at6native14lpnorm_cleanupIdLNS0_8NormTypeE3EfLb1EfEEvPKT3_NS0_19TensorListAddressesEi.num_named_barrier, 0
	.set _ZN2at6native14lpnorm_cleanupIdLNS0_8NormTypeE3EfLb1EfEEvPKT3_NS0_19TensorListAddressesEi.private_seg_size, 0
	.set _ZN2at6native14lpnorm_cleanupIdLNS0_8NormTypeE3EfLb1EfEEvPKT3_NS0_19TensorListAddressesEi.uses_vcc, 1
	.set _ZN2at6native14lpnorm_cleanupIdLNS0_8NormTypeE3EfLb1EfEEvPKT3_NS0_19TensorListAddressesEi.uses_flat_scratch, 0
	.set _ZN2at6native14lpnorm_cleanupIdLNS0_8NormTypeE3EfLb1EfEEvPKT3_NS0_19TensorListAddressesEi.has_dyn_sized_stack, 0
	.set _ZN2at6native14lpnorm_cleanupIdLNS0_8NormTypeE3EfLb1EfEEvPKT3_NS0_19TensorListAddressesEi.has_recursion, 0
	.set _ZN2at6native14lpnorm_cleanupIdLNS0_8NormTypeE3EfLb1EfEEvPKT3_NS0_19TensorListAddressesEi.has_indirect_call, 0
	.section	.AMDGPU.csdata,"",@progbits
; Kernel info:
; codeLenInByte = 900
; TotalNumSgprs: 24
; NumVgprs: 11
; NumAgprs: 0
; TotalNumVgprs: 11
; ScratchSize: 0
; MemoryBound: 0
; FloatMode: 240
; IeeeMode: 1
; LDSByteSize: 2048 bytes/workgroup (compile time only)
; SGPRBlocks: 2
; VGPRBlocks: 1
; NumSGPRsForWavesPerEU: 24
; NumVGPRsForWavesPerEU: 11
; AccumOffset: 12
; Occupancy: 8
; WaveLimiterHint : 0
; COMPUTE_PGM_RSRC2:SCRATCH_EN: 0
; COMPUTE_PGM_RSRC2:USER_SGPR: 2
; COMPUTE_PGM_RSRC2:TRAP_HANDLER: 0
; COMPUTE_PGM_RSRC2:TGID_X_EN: 1
; COMPUTE_PGM_RSRC2:TGID_Y_EN: 0
; COMPUTE_PGM_RSRC2:TGID_Z_EN: 0
; COMPUTE_PGM_RSRC2:TIDIG_COMP_CNT: 0
; COMPUTE_PGM_RSRC3_GFX90A:ACCUM_OFFSET: 2
; COMPUTE_PGM_RSRC3_GFX90A:TG_SPLIT: 0
	.section	.text._ZN2at6native12_GLOBAL__N_125multi_tensor_apply_kernelINS1_18TensorListMetadataILi1EEENS0_13LpNormFunctorIdLNS0_8NormTypeE0EN3c104HalfELi1ELi1ELi0EEEJPfiEEEvT_T0_DpT1_,"axG",@progbits,_ZN2at6native12_GLOBAL__N_125multi_tensor_apply_kernelINS1_18TensorListMetadataILi1EEENS0_13LpNormFunctorIdLNS0_8NormTypeE0EN3c104HalfELi1ELi1ELi0EEEJPfiEEEvT_T0_DpT1_,comdat
	.globl	_ZN2at6native12_GLOBAL__N_125multi_tensor_apply_kernelINS1_18TensorListMetadataILi1EEENS0_13LpNormFunctorIdLNS0_8NormTypeE0EN3c104HalfELi1ELi1ELi0EEEJPfiEEEvT_T0_DpT1_ ; -- Begin function _ZN2at6native12_GLOBAL__N_125multi_tensor_apply_kernelINS1_18TensorListMetadataILi1EEENS0_13LpNormFunctorIdLNS0_8NormTypeE0EN3c104HalfELi1ELi1ELi0EEEJPfiEEEvT_T0_DpT1_
	.p2align	8
	.type	_ZN2at6native12_GLOBAL__N_125multi_tensor_apply_kernelINS1_18TensorListMetadataILi1EEENS0_13LpNormFunctorIdLNS0_8NormTypeE0EN3c104HalfELi1ELi1ELi0EEEJPfiEEEvT_T0_DpT1_,@function
_ZN2at6native12_GLOBAL__N_125multi_tensor_apply_kernelINS1_18TensorListMetadataILi1EEENS0_13LpNormFunctorIdLNS0_8NormTypeE0EN3c104HalfELi1ELi1ELi0EEEJPfiEEEvT_T0_DpT1_: ; @_ZN2at6native12_GLOBAL__N_125multi_tensor_apply_kernelINS1_18TensorListMetadataILi1EEENS0_13LpNormFunctorIdLNS0_8NormTypeE0EN3c104HalfELi1ELi1ELi0EEEJPfiEEEvT_T0_DpT1_
; %bb.0:
	v_mov_b32_e32 v1, s2
	global_load_ubyte v1, v1, s[0:1] offset:1760
	s_add_u32 s3, s0, s2
	s_mul_hi_u32 s4, s2, 3
	s_mul_i32 s2, s2, 3
	s_addc_u32 s5, s1, 0
	s_add_u32 s2, s3, s2
	s_addc_u32 s3, s5, s4
	s_load_dword s4, s[2:3], 0x820
	s_mov_b32 s15, 0
	s_waitcnt vmcnt(0)
	v_readfirstlane_b32 s2, v1
	s_and_b32 s16, s2, 0xff
	s_lshl_b32 s5, s16, 3
	s_load_dwordx2 s[2:3], s[0:1], s5 offset:0x370
	s_load_dwordx2 s[6:7], s[0:1], s5 offset:0x0
	s_waitcnt lgkmcnt(0)
	s_ashr_i32 s5, s4, 31
	s_lshl_b64 s[10:11], s[4:5], 16
	s_lshl_b64 s[8:9], s[4:5], 19
	s_add_u32 s12, s6, s8
	s_addc_u32 s13, s7, s9
	s_sub_u32 s10, s2, s10
	s_subb_u32 s11, s3, s11
	s_and_b32 s14, s2, 3
	s_and_b32 s2, s12, 31
	s_mov_b32 s3, s15
	s_or_b64 s[2:3], s[14:15], s[2:3]
	s_cmp_eq_u64 s[2:3], 0
	s_cbranch_scc1 .LBB36_12
; %bb.1:
	v_cmp_lt_i64_e64 s[2:3], s[10:11], 1
	s_and_b64 vcc, exec, s[2:3]
	s_cbranch_vccnz .LBB36_13
; %bb.2:
	s_load_dword s14, s[0:1], 0xd4c
	v_mov_b64_e32 v[2:3], 0x10000
	v_cmp_lt_i64_e32 vcc, s[10:11], v[2:3]
	s_and_b64 s[2:3], vcc, exec
	v_mov_b32_e32 v7, 0
	s_cselect_b32 s3, s11, 0
	s_cselect_b32 s2, s10, 0x10000
	s_waitcnt lgkmcnt(0)
	s_and_b32 s18, s14, 0xffff
	v_mov_b32_e32 v6, v7
	v_mad_u64_u32 v[12:13], s[14:15], s18, 3, v[0:1]
	v_mov_b32_e32 v8, v7
	v_mov_b32_e32 v9, v7
	v_mov_b64_e32 v[2:3], v[6:7]
	s_mov_b32 s5, 0x10000
	s_lshl_b32 s17, s18, 2
	v_lshl_add_u32 v10, s18, 1, v0
	v_add_u32_e32 v14, s18, v0
	s_mov_b64 s[14:15], 0
	v_mov_b64_e32 v[16:17], s[2:3]
	v_mov_b64_e32 v[4:5], v[8:9]
	s_branch .LBB36_4
.LBB36_3:                               ;   in Loop: Header=BB36_4 Depth=1
	s_or_b64 exec, exec, s[2:3]
	s_add_u32 s14, s14, s17
	s_addc_u32 s15, s15, 0
	v_cmp_lt_i64_e32 vcc, s[14:15], v[16:17]
	s_cbranch_vccz .LBB36_14
.LBB36_4:                               ; =>This Inner Loop Header: Depth=1
	v_add_u32_e32 v6, s14, v0
	v_cmp_gt_i64_e32 vcc, s[10:11], v[6:7]
	v_cmp_gt_u32_e64 s[2:3], s5, v6
	s_and_b64 s[18:19], s[2:3], vcc
	s_and_saveexec_b64 s[2:3], s[18:19]
	s_cbranch_execz .LBB36_6
; %bb.5:                                ;   in Loop: Header=BB36_4 Depth=1
	v_lshl_add_u64 v[8:9], v[6:7], 3, s[12:13]
	global_load_dwordx2 v[8:9], v[8:9], off
	s_waitcnt vmcnt(0)
	v_cvt_f32_f64_e32 v1, v[8:9]
	v_cmp_neq_f32_e32 vcc, 0, v1
	s_nop 1
	v_cndmask_b32_e64 v1, 0, 1.0, vcc
	v_add_f32_e32 v2, v2, v1
.LBB36_6:                               ;   in Loop: Header=BB36_4 Depth=1
	s_or_b64 exec, exec, s[2:3]
	v_add_u32_e32 v6, s14, v14
	v_cmp_gt_i64_e32 vcc, s[10:11], v[6:7]
	v_cmp_gt_u32_e64 s[2:3], s5, v6
	s_and_b64 s[18:19], s[2:3], vcc
	s_and_saveexec_b64 s[2:3], s[18:19]
	s_cbranch_execz .LBB36_8
; %bb.7:                                ;   in Loop: Header=BB36_4 Depth=1
	v_lshl_add_u64 v[8:9], v[6:7], 3, s[12:13]
	global_load_dwordx2 v[8:9], v[8:9], off
	s_waitcnt vmcnt(0)
	v_cvt_f32_f64_e32 v1, v[8:9]
	v_cmp_neq_f32_e32 vcc, 0, v1
	s_nop 1
	v_cndmask_b32_e64 v1, 0, 1.0, vcc
	v_add_f32_e32 v3, v3, v1
.LBB36_8:                               ;   in Loop: Header=BB36_4 Depth=1
	s_or_b64 exec, exec, s[2:3]
	v_add_u32_e32 v6, s14, v10
	v_cmp_gt_i64_e32 vcc, s[10:11], v[6:7]
	v_cmp_gt_u32_e64 s[2:3], s5, v6
	s_and_b64 s[18:19], s[2:3], vcc
	s_and_saveexec_b64 s[2:3], s[18:19]
	s_cbranch_execz .LBB36_10
; %bb.9:                                ;   in Loop: Header=BB36_4 Depth=1
	v_lshl_add_u64 v[8:9], v[6:7], 3, s[12:13]
	global_load_dwordx2 v[8:9], v[8:9], off
	s_waitcnt vmcnt(0)
	v_cvt_f32_f64_e32 v1, v[8:9]
	v_cmp_neq_f32_e32 vcc, 0, v1
	s_nop 1
	v_cndmask_b32_e64 v1, 0, 1.0, vcc
	v_add_f32_e32 v4, v4, v1
.LBB36_10:                              ;   in Loop: Header=BB36_4 Depth=1
	s_or_b64 exec, exec, s[2:3]
	v_add_u32_e32 v6, s14, v12
	v_cmp_gt_i64_e32 vcc, s[10:11], v[6:7]
	v_cmp_gt_u32_e64 s[2:3], s5, v6
	s_and_b64 s[18:19], s[2:3], vcc
	s_and_saveexec_b64 s[2:3], s[18:19]
	s_cbranch_execz .LBB36_3
; %bb.11:                               ;   in Loop: Header=BB36_4 Depth=1
	v_lshl_add_u64 v[8:9], v[6:7], 3, s[12:13]
	global_load_dwordx2 v[8:9], v[8:9], off
	s_waitcnt vmcnt(0)
	v_cvt_f32_f64_e32 v1, v[8:9]
	v_cmp_neq_f32_e32 vcc, 0, v1
	s_nop 1
	v_cndmask_b32_e64 v1, 0, 1.0, vcc
	v_add_f32_e32 v5, v5, v1
	s_branch .LBB36_3
.LBB36_12:
                                        ; implicit-def: $vgpr2_vgpr3_vgpr4_vgpr5
	s_branch .LBB36_15
.LBB36_13:
	v_mov_b32_e32 v2, 0
	v_mov_b32_e32 v3, v2
	;; [unrolled: 1-line block ×4, first 2 shown]
.LBB36_14:
	s_cbranch_execnz .LBB36_20
.LBB36_15:
	v_mov_b64_e32 v[4:5], 0x10000
	v_cmp_lt_i64_e32 vcc, s[10:11], v[4:5]
	s_and_b64 s[2:3], vcc, exec
	v_mov_b32_e32 v3, 0
	s_cselect_b32 s3, s11, 0
	s_cselect_b32 s2, s10, 0x10000
	v_lshlrev_b32_e32 v2, 2, v0
	v_cmp_gt_i64_e32 vcc, s[2:3], v[2:3]
	s_mov_b32 s13, 0
	v_mov_b32_e32 v2, v3
	v_mov_b32_e32 v4, v3
	;; [unrolled: 1-line block ×3, first 2 shown]
	s_and_saveexec_b64 s[10:11], vcc
	s_cbranch_execz .LBB36_19
; %bb.16:
	s_load_dword s5, s[0:1], 0xd4c
	v_lshlrev_b32_e32 v2, 5, v0
	v_mov_b32_e32 v1, v3
	s_mov_b32 s15, s13
	v_mov_b64_e32 v[10:11], v[0:1]
	s_waitcnt lgkmcnt(0)
	s_and_b32 s12, s5, 0xffff
	s_add_u32 s6, s6, s8
	s_addc_u32 s7, s7, s9
	v_lshl_add_u64 v[4:5], s[6:7], 0, v[2:3]
	s_lshl_b32 s14, s12, 5
	v_lshl_add_u64 v[8:9], v[4:5], 0, 16
	s_mov_b64 s[6:7], 0
	v_mov_b32_e32 v5, 0
	v_mov_b32_e32 v6, 0
	;; [unrolled: 1-line block ×3, first 2 shown]
.LBB36_17:                              ; =>This Inner Loop Header: Depth=1
	global_load_dwordx4 v[12:15], v[8:9], off offset:-16
	global_load_dwordx4 v[16:19], v[8:9], off
	v_lshl_add_u64 v[10:11], v[10:11], 0, s[12:13]
	v_lshlrev_b64 v[20:21], 2, v[10:11]
	v_cmp_le_i64_e32 vcc, s[2:3], v[20:21]
	s_or_b64 s[6:7], vcc, s[6:7]
	v_lshl_add_u64 v[8:9], v[8:9], 0, s[14:15]
	s_waitcnt vmcnt(1)
	v_cvt_f32_f64_e32 v1, v[12:13]
	v_cvt_f32_f64_e32 v2, v[14:15]
	v_cmp_neq_f32_e32 vcc, 0, v1
	s_waitcnt vmcnt(0)
	v_cvt_f32_f64_e32 v4, v[16:17]
	v_cvt_f32_f64_e32 v12, v[18:19]
	v_cndmask_b32_e64 v1, 0, 1.0, vcc
	v_cmp_neq_f32_e32 vcc, 0, v2
	v_add_f32_e32 v3, v3, v1
	s_nop 0
	v_cndmask_b32_e64 v2, 0, 1.0, vcc
	v_cmp_neq_f32_e32 vcc, 0, v4
	v_add_f32_e32 v5, v5, v2
	s_nop 0
	;; [unrolled: 4-line block ×3, first 2 shown]
	v_cndmask_b32_e64 v12, 0, 1.0, vcc
	v_add_f32_e32 v7, v7, v12
	s_andn2_b64 exec, exec, s[6:7]
	s_cbranch_execnz .LBB36_17
; %bb.18:
	s_or_b64 exec, exec, s[6:7]
	v_mov_b32_e32 v4, v3
	v_mov_b64_e32 v[2:3], v[4:5]
	v_mov_b64_e32 v[4:5], v[6:7]
.LBB36_19:
	s_or_b64 exec, exec, s[10:11]
.LBB36_20:
	v_add_f32_e32 v1, 0, v2
	v_add_f32_e32 v1, v3, v1
	;; [unrolled: 1-line block ×4, first 2 shown]
	v_mbcnt_lo_u32_b32 v1, -1, 0
	v_mbcnt_hi_u32_b32 v6, -1, v1
	v_mov_b32_e32 v1, 0x80
	v_lshl_or_b32 v1, v6, 2, v1
	ds_bpermute_b32 v3, v1, v2
	v_and_b32_e32 v9, 63, v6
	v_cmp_gt_u32_e32 vcc, 48, v9
	s_waitcnt lgkmcnt(0)
	s_barrier
	v_add_f32_e32 v3, v2, v3
	v_cndmask_b32_e64 v2, 0, 16, vcc
	v_add_lshl_u32 v2, v2, v6, 2
	ds_bpermute_b32 v4, v2, v3
	v_cmp_gt_u32_e32 vcc, 56, v9
	s_waitcnt lgkmcnt(0)
	v_add_f32_e32 v4, v3, v4
	v_cndmask_b32_e64 v3, 0, 8, vcc
	v_add_lshl_u32 v3, v3, v6, 2
	ds_bpermute_b32 v5, v3, v4
	v_cmp_gt_u32_e32 vcc, 60, v9
	s_waitcnt lgkmcnt(0)
	;; [unrolled: 6-line block ×3, first 2 shown]
	v_add_f32_e32 v7, v5, v7
	v_cndmask_b32_e64 v8, 0, 2, vcc
	v_add_lshl_u32 v5, v8, v6, 2
	ds_bpermute_b32 v10, v5, v7
	v_cmp_ne_u32_e32 vcc, 63, v9
	v_and_b32_e32 v8, 63, v0
	s_waitcnt lgkmcnt(0)
	v_add_f32_e32 v7, v7, v10
	v_addc_co_u32_e32 v6, vcc, 0, v6, vcc
	v_lshlrev_b32_e32 v6, 2, v6
	ds_bpermute_b32 v9, v6, v7
	v_cmp_eq_u32_e32 vcc, 0, v8
	s_and_saveexec_b64 s[2:3], vcc
	s_cbranch_execz .LBB36_22
; %bb.21:
	v_lshrrev_b32_e32 v10, 4, v0
	s_waitcnt lgkmcnt(0)
	v_add_f32_e32 v7, v7, v9
	ds_write_b32 v10, v7
.LBB36_22:
	s_or_b64 exec, exec, s[2:3]
	s_waitcnt lgkmcnt(0)
	s_barrier
	s_load_dword s2, s[0:1], 0xd4c
	v_mov_b32_e32 v7, 0
	s_waitcnt lgkmcnt(0)
	s_bfe_u32 s2, s2, 0xa0006
	v_cmp_gt_u32_e32 vcc, s2, v0
	s_and_saveexec_b64 s[2:3], vcc
	s_cbranch_execnz .LBB36_26
; %bb.23:
	s_or_b64 exec, exec, s[2:3]
	v_cmp_gt_u32_e32 vcc, 64, v0
	s_and_saveexec_b64 s[2:3], vcc
	s_cbranch_execnz .LBB36_27
.LBB36_24:
	s_or_b64 exec, exec, s[2:3]
	v_cmp_eq_u32_e32 vcc, 0, v0
	s_and_saveexec_b64 s[2:3], vcc
	s_cbranch_execnz .LBB36_28
.LBB36_25:
	s_endpgm
.LBB36_26:
	v_lshlrev_b32_e32 v7, 2, v8
	ds_read_b32 v7, v7
	s_or_b64 exec, exec, s[2:3]
	v_cmp_gt_u32_e32 vcc, 64, v0
	s_and_saveexec_b64 s[2:3], vcc
	s_cbranch_execz .LBB36_24
.LBB36_27:
	s_waitcnt lgkmcnt(0)
	ds_bpermute_b32 v1, v1, v7
	s_waitcnt lgkmcnt(0)
	v_add_f32_e32 v1, v7, v1
	ds_bpermute_b32 v2, v2, v1
	s_waitcnt lgkmcnt(0)
	v_add_f32_e32 v1, v1, v2
	;; [unrolled: 3-line block ×6, first 2 shown]
	s_or_b64 exec, exec, s[2:3]
	v_cmp_eq_u32_e32 vcc, 0, v0
	s_and_saveexec_b64 s[2:3], vcc
	s_cbranch_execz .LBB36_25
.LBB36_28:
	s_load_dword s5, s[0:1], 0xd20
	s_load_dword s6, s[0:1], 0xd38
	s_load_dwordx2 s[2:3], s[0:1], 0xd30
	v_mov_b32_e32 v0, 0
	s_waitcnt lgkmcnt(0)
	s_add_i32 s0, s5, s16
	s_mul_i32 s0, s0, s6
	s_add_i32 s0, s0, s4
	s_ashr_i32 s1, s0, 31
	s_lshl_b64 s[0:1], s[0:1], 2
	s_add_u32 s0, s2, s0
	s_addc_u32 s1, s3, s1
	global_store_dword v0, v7, s[0:1]
	s_endpgm
	.section	.rodata,"a",@progbits
	.p2align	6, 0x0
	.amdhsa_kernel _ZN2at6native12_GLOBAL__N_125multi_tensor_apply_kernelINS1_18TensorListMetadataILi1EEENS0_13LpNormFunctorIdLNS0_8NormTypeE0EN3c104HalfELi1ELi1ELi0EEEJPfiEEEvT_T0_DpT1_
		.amdhsa_group_segment_fixed_size 2048
		.amdhsa_private_segment_fixed_size 0
		.amdhsa_kernarg_size 3648
		.amdhsa_user_sgpr_count 2
		.amdhsa_user_sgpr_dispatch_ptr 0
		.amdhsa_user_sgpr_queue_ptr 0
		.amdhsa_user_sgpr_kernarg_segment_ptr 1
		.amdhsa_user_sgpr_dispatch_id 0
		.amdhsa_user_sgpr_kernarg_preload_length 0
		.amdhsa_user_sgpr_kernarg_preload_offset 0
		.amdhsa_user_sgpr_private_segment_size 0
		.amdhsa_uses_dynamic_stack 0
		.amdhsa_enable_private_segment 0
		.amdhsa_system_sgpr_workgroup_id_x 1
		.amdhsa_system_sgpr_workgroup_id_y 0
		.amdhsa_system_sgpr_workgroup_id_z 0
		.amdhsa_system_sgpr_workgroup_info 0
		.amdhsa_system_vgpr_workitem_id 0
		.amdhsa_next_free_vgpr 22
		.amdhsa_next_free_sgpr 20
		.amdhsa_accum_offset 24
		.amdhsa_reserve_vcc 1
		.amdhsa_float_round_mode_32 0
		.amdhsa_float_round_mode_16_64 0
		.amdhsa_float_denorm_mode_32 3
		.amdhsa_float_denorm_mode_16_64 3
		.amdhsa_dx10_clamp 1
		.amdhsa_ieee_mode 1
		.amdhsa_fp16_overflow 0
		.amdhsa_tg_split 0
		.amdhsa_exception_fp_ieee_invalid_op 0
		.amdhsa_exception_fp_denorm_src 0
		.amdhsa_exception_fp_ieee_div_zero 0
		.amdhsa_exception_fp_ieee_overflow 0
		.amdhsa_exception_fp_ieee_underflow 0
		.amdhsa_exception_fp_ieee_inexact 0
		.amdhsa_exception_int_div_zero 0
	.end_amdhsa_kernel
	.section	.text._ZN2at6native12_GLOBAL__N_125multi_tensor_apply_kernelINS1_18TensorListMetadataILi1EEENS0_13LpNormFunctorIdLNS0_8NormTypeE0EN3c104HalfELi1ELi1ELi0EEEJPfiEEEvT_T0_DpT1_,"axG",@progbits,_ZN2at6native12_GLOBAL__N_125multi_tensor_apply_kernelINS1_18TensorListMetadataILi1EEENS0_13LpNormFunctorIdLNS0_8NormTypeE0EN3c104HalfELi1ELi1ELi0EEEJPfiEEEvT_T0_DpT1_,comdat
.Lfunc_end36:
	.size	_ZN2at6native12_GLOBAL__N_125multi_tensor_apply_kernelINS1_18TensorListMetadataILi1EEENS0_13LpNormFunctorIdLNS0_8NormTypeE0EN3c104HalfELi1ELi1ELi0EEEJPfiEEEvT_T0_DpT1_, .Lfunc_end36-_ZN2at6native12_GLOBAL__N_125multi_tensor_apply_kernelINS1_18TensorListMetadataILi1EEENS0_13LpNormFunctorIdLNS0_8NormTypeE0EN3c104HalfELi1ELi1ELi0EEEJPfiEEEvT_T0_DpT1_
                                        ; -- End function
	.set _ZN2at6native12_GLOBAL__N_125multi_tensor_apply_kernelINS1_18TensorListMetadataILi1EEENS0_13LpNormFunctorIdLNS0_8NormTypeE0EN3c104HalfELi1ELi1ELi0EEEJPfiEEEvT_T0_DpT1_.num_vgpr, 22
	.set _ZN2at6native12_GLOBAL__N_125multi_tensor_apply_kernelINS1_18TensorListMetadataILi1EEENS0_13LpNormFunctorIdLNS0_8NormTypeE0EN3c104HalfELi1ELi1ELi0EEEJPfiEEEvT_T0_DpT1_.num_agpr, 0
	.set _ZN2at6native12_GLOBAL__N_125multi_tensor_apply_kernelINS1_18TensorListMetadataILi1EEENS0_13LpNormFunctorIdLNS0_8NormTypeE0EN3c104HalfELi1ELi1ELi0EEEJPfiEEEvT_T0_DpT1_.numbered_sgpr, 20
	.set _ZN2at6native12_GLOBAL__N_125multi_tensor_apply_kernelINS1_18TensorListMetadataILi1EEENS0_13LpNormFunctorIdLNS0_8NormTypeE0EN3c104HalfELi1ELi1ELi0EEEJPfiEEEvT_T0_DpT1_.num_named_barrier, 0
	.set _ZN2at6native12_GLOBAL__N_125multi_tensor_apply_kernelINS1_18TensorListMetadataILi1EEENS0_13LpNormFunctorIdLNS0_8NormTypeE0EN3c104HalfELi1ELi1ELi0EEEJPfiEEEvT_T0_DpT1_.private_seg_size, 0
	.set _ZN2at6native12_GLOBAL__N_125multi_tensor_apply_kernelINS1_18TensorListMetadataILi1EEENS0_13LpNormFunctorIdLNS0_8NormTypeE0EN3c104HalfELi1ELi1ELi0EEEJPfiEEEvT_T0_DpT1_.uses_vcc, 1
	.set _ZN2at6native12_GLOBAL__N_125multi_tensor_apply_kernelINS1_18TensorListMetadataILi1EEENS0_13LpNormFunctorIdLNS0_8NormTypeE0EN3c104HalfELi1ELi1ELi0EEEJPfiEEEvT_T0_DpT1_.uses_flat_scratch, 0
	.set _ZN2at6native12_GLOBAL__N_125multi_tensor_apply_kernelINS1_18TensorListMetadataILi1EEENS0_13LpNormFunctorIdLNS0_8NormTypeE0EN3c104HalfELi1ELi1ELi0EEEJPfiEEEvT_T0_DpT1_.has_dyn_sized_stack, 0
	.set _ZN2at6native12_GLOBAL__N_125multi_tensor_apply_kernelINS1_18TensorListMetadataILi1EEENS0_13LpNormFunctorIdLNS0_8NormTypeE0EN3c104HalfELi1ELi1ELi0EEEJPfiEEEvT_T0_DpT1_.has_recursion, 0
	.set _ZN2at6native12_GLOBAL__N_125multi_tensor_apply_kernelINS1_18TensorListMetadataILi1EEENS0_13LpNormFunctorIdLNS0_8NormTypeE0EN3c104HalfELi1ELi1ELi0EEEJPfiEEEvT_T0_DpT1_.has_indirect_call, 0
	.section	.AMDGPU.csdata,"",@progbits
; Kernel info:
; codeLenInByte = 1512
; TotalNumSgprs: 26
; NumVgprs: 22
; NumAgprs: 0
; TotalNumVgprs: 22
; ScratchSize: 0
; MemoryBound: 0
; FloatMode: 240
; IeeeMode: 1
; LDSByteSize: 2048 bytes/workgroup (compile time only)
; SGPRBlocks: 3
; VGPRBlocks: 2
; NumSGPRsForWavesPerEU: 26
; NumVGPRsForWavesPerEU: 22
; AccumOffset: 24
; Occupancy: 8
; WaveLimiterHint : 0
; COMPUTE_PGM_RSRC2:SCRATCH_EN: 0
; COMPUTE_PGM_RSRC2:USER_SGPR: 2
; COMPUTE_PGM_RSRC2:TRAP_HANDLER: 0
; COMPUTE_PGM_RSRC2:TGID_X_EN: 1
; COMPUTE_PGM_RSRC2:TGID_Y_EN: 0
; COMPUTE_PGM_RSRC2:TGID_Z_EN: 0
; COMPUTE_PGM_RSRC2:TIDIG_COMP_CNT: 0
; COMPUTE_PGM_RSRC3_GFX90A:ACCUM_OFFSET: 5
; COMPUTE_PGM_RSRC3_GFX90A:TG_SPLIT: 0
	.section	.text._ZN2at6native12_GLOBAL__N_125multi_tensor_apply_kernelINS1_18TensorListMetadataILi1EEENS0_13LpNormFunctorIdLNS0_8NormTypeE1EN3c104HalfELi1ELi1ELi0EEEJPfiEEEvT_T0_DpT1_,"axG",@progbits,_ZN2at6native12_GLOBAL__N_125multi_tensor_apply_kernelINS1_18TensorListMetadataILi1EEENS0_13LpNormFunctorIdLNS0_8NormTypeE1EN3c104HalfELi1ELi1ELi0EEEJPfiEEEvT_T0_DpT1_,comdat
	.globl	_ZN2at6native12_GLOBAL__N_125multi_tensor_apply_kernelINS1_18TensorListMetadataILi1EEENS0_13LpNormFunctorIdLNS0_8NormTypeE1EN3c104HalfELi1ELi1ELi0EEEJPfiEEEvT_T0_DpT1_ ; -- Begin function _ZN2at6native12_GLOBAL__N_125multi_tensor_apply_kernelINS1_18TensorListMetadataILi1EEENS0_13LpNormFunctorIdLNS0_8NormTypeE1EN3c104HalfELi1ELi1ELi0EEEJPfiEEEvT_T0_DpT1_
	.p2align	8
	.type	_ZN2at6native12_GLOBAL__N_125multi_tensor_apply_kernelINS1_18TensorListMetadataILi1EEENS0_13LpNormFunctorIdLNS0_8NormTypeE1EN3c104HalfELi1ELi1ELi0EEEJPfiEEEvT_T0_DpT1_,@function
_ZN2at6native12_GLOBAL__N_125multi_tensor_apply_kernelINS1_18TensorListMetadataILi1EEENS0_13LpNormFunctorIdLNS0_8NormTypeE1EN3c104HalfELi1ELi1ELi0EEEJPfiEEEvT_T0_DpT1_: ; @_ZN2at6native12_GLOBAL__N_125multi_tensor_apply_kernelINS1_18TensorListMetadataILi1EEENS0_13LpNormFunctorIdLNS0_8NormTypeE1EN3c104HalfELi1ELi1ELi0EEEJPfiEEEvT_T0_DpT1_
; %bb.0:
	v_mov_b32_e32 v1, s2
	global_load_ubyte v1, v1, s[0:1] offset:1760
	s_add_u32 s3, s0, s2
	s_mul_hi_u32 s4, s2, 3
	s_mul_i32 s2, s2, 3
	s_addc_u32 s5, s1, 0
	s_add_u32 s2, s3, s2
	s_addc_u32 s3, s5, s4
	s_load_dword s4, s[2:3], 0x820
	s_mov_b32 s15, 0
	s_waitcnt vmcnt(0)
	v_readfirstlane_b32 s2, v1
	s_and_b32 s16, s2, 0xff
	s_lshl_b32 s5, s16, 3
	s_load_dwordx2 s[2:3], s[0:1], s5 offset:0x370
	s_load_dwordx2 s[6:7], s[0:1], s5 offset:0x0
	s_waitcnt lgkmcnt(0)
	s_ashr_i32 s5, s4, 31
	s_lshl_b64 s[10:11], s[4:5], 16
	s_lshl_b64 s[8:9], s[4:5], 19
	s_add_u32 s12, s6, s8
	s_addc_u32 s13, s7, s9
	s_sub_u32 s10, s2, s10
	s_subb_u32 s11, s3, s11
	s_and_b32 s14, s2, 3
	s_and_b32 s2, s12, 31
	s_mov_b32 s3, s15
	s_or_b64 s[2:3], s[14:15], s[2:3]
	s_cmp_eq_u64 s[2:3], 0
	s_cbranch_scc1 .LBB37_12
; %bb.1:
	v_cmp_lt_i64_e64 s[2:3], s[10:11], 1
	s_and_b64 vcc, exec, s[2:3]
	s_cbranch_vccnz .LBB37_13
; %bb.2:
	s_load_dword s14, s[0:1], 0xd4c
	v_mov_b64_e32 v[2:3], 0x10000
	v_cmp_lt_i64_e32 vcc, s[10:11], v[2:3]
	s_and_b64 s[2:3], vcc, exec
	v_mov_b32_e32 v7, 0
	s_cselect_b32 s3, s11, 0
	s_cselect_b32 s2, s10, 0x10000
	s_waitcnt lgkmcnt(0)
	s_and_b32 s18, s14, 0xffff
	v_mov_b32_e32 v6, v7
	v_mad_u64_u32 v[12:13], s[14:15], s18, 3, v[0:1]
	v_mov_b32_e32 v8, v7
	v_mov_b32_e32 v9, v7
	v_mov_b64_e32 v[2:3], v[6:7]
	s_mov_b32 s5, 0x10000
	s_lshl_b32 s17, s18, 2
	v_lshl_add_u32 v10, s18, 1, v0
	v_add_u32_e32 v14, s18, v0
	s_mov_b64 s[14:15], 0
	v_mov_b64_e32 v[16:17], s[2:3]
	v_mov_b64_e32 v[4:5], v[8:9]
	s_branch .LBB37_4
.LBB37_3:                               ;   in Loop: Header=BB37_4 Depth=1
	s_or_b64 exec, exec, s[2:3]
	s_add_u32 s14, s14, s17
	s_addc_u32 s15, s15, 0
	v_cmp_lt_i64_e32 vcc, s[14:15], v[16:17]
	s_cbranch_vccz .LBB37_14
.LBB37_4:                               ; =>This Inner Loop Header: Depth=1
	v_add_u32_e32 v6, s14, v0
	v_cmp_gt_i64_e32 vcc, s[10:11], v[6:7]
	v_cmp_gt_u32_e64 s[2:3], s5, v6
	s_and_b64 s[18:19], s[2:3], vcc
	s_and_saveexec_b64 s[2:3], s[18:19]
	s_cbranch_execz .LBB37_6
; %bb.5:                                ;   in Loop: Header=BB37_4 Depth=1
	v_lshl_add_u64 v[8:9], v[6:7], 3, s[12:13]
	global_load_dwordx2 v[8:9], v[8:9], off
	s_waitcnt vmcnt(0)
	v_cvt_f32_f64_e32 v1, v[8:9]
	v_add_f32_e64 v2, v2, |v1|
.LBB37_6:                               ;   in Loop: Header=BB37_4 Depth=1
	s_or_b64 exec, exec, s[2:3]
	v_add_u32_e32 v6, s14, v14
	v_cmp_gt_i64_e32 vcc, s[10:11], v[6:7]
	v_cmp_gt_u32_e64 s[2:3], s5, v6
	s_and_b64 s[18:19], s[2:3], vcc
	s_and_saveexec_b64 s[2:3], s[18:19]
	s_cbranch_execz .LBB37_8
; %bb.7:                                ;   in Loop: Header=BB37_4 Depth=1
	v_lshl_add_u64 v[8:9], v[6:7], 3, s[12:13]
	global_load_dwordx2 v[8:9], v[8:9], off
	s_waitcnt vmcnt(0)
	v_cvt_f32_f64_e32 v1, v[8:9]
	v_add_f32_e64 v3, v3, |v1|
.LBB37_8:                               ;   in Loop: Header=BB37_4 Depth=1
	s_or_b64 exec, exec, s[2:3]
	v_add_u32_e32 v6, s14, v10
	v_cmp_gt_i64_e32 vcc, s[10:11], v[6:7]
	v_cmp_gt_u32_e64 s[2:3], s5, v6
	s_and_b64 s[18:19], s[2:3], vcc
	s_and_saveexec_b64 s[2:3], s[18:19]
	s_cbranch_execz .LBB37_10
; %bb.9:                                ;   in Loop: Header=BB37_4 Depth=1
	v_lshl_add_u64 v[8:9], v[6:7], 3, s[12:13]
	global_load_dwordx2 v[8:9], v[8:9], off
	s_waitcnt vmcnt(0)
	v_cvt_f32_f64_e32 v1, v[8:9]
	v_add_f32_e64 v4, v4, |v1|
.LBB37_10:                              ;   in Loop: Header=BB37_4 Depth=1
	s_or_b64 exec, exec, s[2:3]
	v_add_u32_e32 v6, s14, v12
	v_cmp_gt_i64_e32 vcc, s[10:11], v[6:7]
	v_cmp_gt_u32_e64 s[2:3], s5, v6
	s_and_b64 s[18:19], s[2:3], vcc
	s_and_saveexec_b64 s[2:3], s[18:19]
	s_cbranch_execz .LBB37_3
; %bb.11:                               ;   in Loop: Header=BB37_4 Depth=1
	v_lshl_add_u64 v[8:9], v[6:7], 3, s[12:13]
	global_load_dwordx2 v[8:9], v[8:9], off
	s_waitcnt vmcnt(0)
	v_cvt_f32_f64_e32 v1, v[8:9]
	v_add_f32_e64 v5, v5, |v1|
	s_branch .LBB37_3
.LBB37_12:
                                        ; implicit-def: $vgpr2_vgpr3_vgpr4_vgpr5
	s_branch .LBB37_15
.LBB37_13:
	v_mov_b32_e32 v2, 0
	v_mov_b32_e32 v3, v2
	;; [unrolled: 1-line block ×4, first 2 shown]
.LBB37_14:
	s_cbranch_execnz .LBB37_20
.LBB37_15:
	v_mov_b64_e32 v[4:5], 0x10000
	v_cmp_lt_i64_e32 vcc, s[10:11], v[4:5]
	v_mov_b32_e32 v2, 0
	s_and_b64 s[2:3], vcc, exec
	s_cselect_b32 s3, s11, 0
	s_cselect_b32 s2, s10, 0x10000
	v_lshlrev_b32_e32 v4, 2, v0
	v_mov_b32_e32 v5, v2
	v_cmp_gt_i64_e32 vcc, s[2:3], v[4:5]
	s_mov_b32 s13, 0
	v_mov_b32_e32 v3, v2
	v_mov_b32_e32 v4, v2
	s_and_saveexec_b64 s[10:11], vcc
	s_cbranch_execz .LBB37_19
; %bb.16:
	s_load_dword s5, s[0:1], 0xd4c
	v_lshlrev_b32_e32 v4, 5, v0
	v_mov_b32_e32 v5, v2
	v_mov_b32_e32 v1, v2
	v_mov_b64_e32 v[8:9], v[0:1]
	s_waitcnt lgkmcnt(0)
	s_and_b32 s12, s5, 0xffff
	s_add_u32 s8, s6, s8
	s_addc_u32 s9, s7, s9
	v_lshl_add_u64 v[4:5], s[8:9], 0, v[4:5]
	s_lshl_b32 s6, s12, 5
	v_lshl_add_u64 v[6:7], v[4:5], 0, 16
	s_mov_b32 s7, s13
	s_mov_b64 s[8:9], 0
	v_mov_b32_e32 v3, v2
	v_mov_b32_e32 v4, v2
	;; [unrolled: 1-line block ×3, first 2 shown]
.LBB37_17:                              ; =>This Inner Loop Header: Depth=1
	global_load_dwordx4 v[10:13], v[6:7], off offset:-16
	global_load_dwordx4 v[14:17], v[6:7], off
	v_lshl_add_u64 v[8:9], v[8:9], 0, s[12:13]
	v_lshlrev_b64 v[18:19], 2, v[8:9]
	v_cmp_le_i64_e32 vcc, s[2:3], v[18:19]
	v_lshl_add_u64 v[6:7], v[6:7], 0, s[6:7]
	s_or_b64 s[8:9], vcc, s[8:9]
	s_waitcnt vmcnt(1)
	v_cvt_f32_f64_e32 v1, v[10:11]
	v_cvt_f32_f64_e32 v10, v[12:13]
	s_waitcnt vmcnt(0)
	v_cvt_f32_f64_e32 v12, v[14:15]
	v_cvt_f32_f64_e32 v13, v[16:17]
	v_and_b32_e32 v11, 0x7fffffff, v10
	v_and_b32_e32 v10, 0x7fffffff, v1
	;; [unrolled: 1-line block ×4, first 2 shown]
	v_pk_add_f32 v[4:5], v[4:5], v[12:13]
	v_pk_add_f32 v[2:3], v[2:3], v[10:11]
	s_andn2_b64 exec, exec, s[8:9]
	s_cbranch_execnz .LBB37_17
; %bb.18:
	s_or_b64 exec, exec, s[8:9]
.LBB37_19:
	s_or_b64 exec, exec, s[10:11]
.LBB37_20:
	v_add_f32_e32 v1, 0, v2
	v_add_f32_e32 v1, v3, v1
	;; [unrolled: 1-line block ×4, first 2 shown]
	v_mbcnt_lo_u32_b32 v1, -1, 0
	v_mbcnt_hi_u32_b32 v6, -1, v1
	v_mov_b32_e32 v1, 0x80
	v_lshl_or_b32 v1, v6, 2, v1
	ds_bpermute_b32 v3, v1, v2
	v_and_b32_e32 v9, 63, v6
	v_cmp_gt_u32_e32 vcc, 48, v9
	s_waitcnt lgkmcnt(0)
	s_barrier
	v_add_f32_e32 v3, v2, v3
	v_cndmask_b32_e64 v2, 0, 16, vcc
	v_add_lshl_u32 v2, v2, v6, 2
	ds_bpermute_b32 v4, v2, v3
	v_cmp_gt_u32_e32 vcc, 56, v9
	s_waitcnt lgkmcnt(0)
	v_add_f32_e32 v4, v3, v4
	v_cndmask_b32_e64 v3, 0, 8, vcc
	v_add_lshl_u32 v3, v3, v6, 2
	ds_bpermute_b32 v5, v3, v4
	v_cmp_gt_u32_e32 vcc, 60, v9
	s_waitcnt lgkmcnt(0)
	;; [unrolled: 6-line block ×3, first 2 shown]
	v_add_f32_e32 v7, v5, v7
	v_cndmask_b32_e64 v8, 0, 2, vcc
	v_add_lshl_u32 v5, v8, v6, 2
	ds_bpermute_b32 v10, v5, v7
	v_cmp_ne_u32_e32 vcc, 63, v9
	v_and_b32_e32 v8, 63, v0
	s_waitcnt lgkmcnt(0)
	v_add_f32_e32 v7, v7, v10
	v_addc_co_u32_e32 v6, vcc, 0, v6, vcc
	v_lshlrev_b32_e32 v6, 2, v6
	ds_bpermute_b32 v9, v6, v7
	v_cmp_eq_u32_e32 vcc, 0, v8
	s_and_saveexec_b64 s[2:3], vcc
	s_cbranch_execz .LBB37_22
; %bb.21:
	v_lshrrev_b32_e32 v10, 4, v0
	s_waitcnt lgkmcnt(0)
	v_add_f32_e32 v7, v7, v9
	ds_write_b32 v10, v7
.LBB37_22:
	s_or_b64 exec, exec, s[2:3]
	s_waitcnt lgkmcnt(0)
	s_barrier
	s_load_dword s2, s[0:1], 0xd4c
	v_mov_b32_e32 v7, 0
	s_waitcnt lgkmcnt(0)
	s_bfe_u32 s2, s2, 0xa0006
	v_cmp_gt_u32_e32 vcc, s2, v0
	s_and_saveexec_b64 s[2:3], vcc
	s_cbranch_execnz .LBB37_26
; %bb.23:
	s_or_b64 exec, exec, s[2:3]
	v_cmp_gt_u32_e32 vcc, 64, v0
	s_and_saveexec_b64 s[2:3], vcc
	s_cbranch_execnz .LBB37_27
.LBB37_24:
	s_or_b64 exec, exec, s[2:3]
	v_cmp_eq_u32_e32 vcc, 0, v0
	s_and_saveexec_b64 s[2:3], vcc
	s_cbranch_execnz .LBB37_28
.LBB37_25:
	s_endpgm
.LBB37_26:
	v_lshlrev_b32_e32 v7, 2, v8
	ds_read_b32 v7, v7
	s_or_b64 exec, exec, s[2:3]
	v_cmp_gt_u32_e32 vcc, 64, v0
	s_and_saveexec_b64 s[2:3], vcc
	s_cbranch_execz .LBB37_24
.LBB37_27:
	s_waitcnt lgkmcnt(0)
	ds_bpermute_b32 v1, v1, v7
	s_waitcnt lgkmcnt(0)
	v_add_f32_e32 v1, v7, v1
	ds_bpermute_b32 v2, v2, v1
	s_waitcnt lgkmcnt(0)
	v_add_f32_e32 v1, v1, v2
	;; [unrolled: 3-line block ×6, first 2 shown]
	s_or_b64 exec, exec, s[2:3]
	v_cmp_eq_u32_e32 vcc, 0, v0
	s_and_saveexec_b64 s[2:3], vcc
	s_cbranch_execz .LBB37_25
.LBB37_28:
	s_load_dword s5, s[0:1], 0xd20
	s_load_dword s6, s[0:1], 0xd38
	s_load_dwordx2 s[2:3], s[0:1], 0xd30
	v_mov_b32_e32 v0, 0
	s_waitcnt lgkmcnt(0)
	s_add_i32 s0, s5, s16
	s_mul_i32 s0, s0, s6
	s_add_i32 s0, s0, s4
	s_ashr_i32 s1, s0, 31
	s_lshl_b64 s[0:1], s[0:1], 2
	s_add_u32 s0, s2, s0
	s_addc_u32 s1, s3, s1
	global_store_dword v0, v7, s[0:1]
	s_endpgm
	.section	.rodata,"a",@progbits
	.p2align	6, 0x0
	.amdhsa_kernel _ZN2at6native12_GLOBAL__N_125multi_tensor_apply_kernelINS1_18TensorListMetadataILi1EEENS0_13LpNormFunctorIdLNS0_8NormTypeE1EN3c104HalfELi1ELi1ELi0EEEJPfiEEEvT_T0_DpT1_
		.amdhsa_group_segment_fixed_size 2048
		.amdhsa_private_segment_fixed_size 0
		.amdhsa_kernarg_size 3648
		.amdhsa_user_sgpr_count 2
		.amdhsa_user_sgpr_dispatch_ptr 0
		.amdhsa_user_sgpr_queue_ptr 0
		.amdhsa_user_sgpr_kernarg_segment_ptr 1
		.amdhsa_user_sgpr_dispatch_id 0
		.amdhsa_user_sgpr_kernarg_preload_length 0
		.amdhsa_user_sgpr_kernarg_preload_offset 0
		.amdhsa_user_sgpr_private_segment_size 0
		.amdhsa_uses_dynamic_stack 0
		.amdhsa_enable_private_segment 0
		.amdhsa_system_sgpr_workgroup_id_x 1
		.amdhsa_system_sgpr_workgroup_id_y 0
		.amdhsa_system_sgpr_workgroup_id_z 0
		.amdhsa_system_sgpr_workgroup_info 0
		.amdhsa_system_vgpr_workitem_id 0
		.amdhsa_next_free_vgpr 20
		.amdhsa_next_free_sgpr 20
		.amdhsa_accum_offset 20
		.amdhsa_reserve_vcc 1
		.amdhsa_float_round_mode_32 0
		.amdhsa_float_round_mode_16_64 0
		.amdhsa_float_denorm_mode_32 3
		.amdhsa_float_denorm_mode_16_64 3
		.amdhsa_dx10_clamp 1
		.amdhsa_ieee_mode 1
		.amdhsa_fp16_overflow 0
		.amdhsa_tg_split 0
		.amdhsa_exception_fp_ieee_invalid_op 0
		.amdhsa_exception_fp_denorm_src 0
		.amdhsa_exception_fp_ieee_div_zero 0
		.amdhsa_exception_fp_ieee_overflow 0
		.amdhsa_exception_fp_ieee_underflow 0
		.amdhsa_exception_fp_ieee_inexact 0
		.amdhsa_exception_int_div_zero 0
	.end_amdhsa_kernel
	.section	.text._ZN2at6native12_GLOBAL__N_125multi_tensor_apply_kernelINS1_18TensorListMetadataILi1EEENS0_13LpNormFunctorIdLNS0_8NormTypeE1EN3c104HalfELi1ELi1ELi0EEEJPfiEEEvT_T0_DpT1_,"axG",@progbits,_ZN2at6native12_GLOBAL__N_125multi_tensor_apply_kernelINS1_18TensorListMetadataILi1EEENS0_13LpNormFunctorIdLNS0_8NormTypeE1EN3c104HalfELi1ELi1ELi0EEEJPfiEEEvT_T0_DpT1_,comdat
.Lfunc_end37:
	.size	_ZN2at6native12_GLOBAL__N_125multi_tensor_apply_kernelINS1_18TensorListMetadataILi1EEENS0_13LpNormFunctorIdLNS0_8NormTypeE1EN3c104HalfELi1ELi1ELi0EEEJPfiEEEvT_T0_DpT1_, .Lfunc_end37-_ZN2at6native12_GLOBAL__N_125multi_tensor_apply_kernelINS1_18TensorListMetadataILi1EEENS0_13LpNormFunctorIdLNS0_8NormTypeE1EN3c104HalfELi1ELi1ELi0EEEJPfiEEEvT_T0_DpT1_
                                        ; -- End function
	.set _ZN2at6native12_GLOBAL__N_125multi_tensor_apply_kernelINS1_18TensorListMetadataILi1EEENS0_13LpNormFunctorIdLNS0_8NormTypeE1EN3c104HalfELi1ELi1ELi0EEEJPfiEEEvT_T0_DpT1_.num_vgpr, 20
	.set _ZN2at6native12_GLOBAL__N_125multi_tensor_apply_kernelINS1_18TensorListMetadataILi1EEENS0_13LpNormFunctorIdLNS0_8NormTypeE1EN3c104HalfELi1ELi1ELi0EEEJPfiEEEvT_T0_DpT1_.num_agpr, 0
	.set _ZN2at6native12_GLOBAL__N_125multi_tensor_apply_kernelINS1_18TensorListMetadataILi1EEENS0_13LpNormFunctorIdLNS0_8NormTypeE1EN3c104HalfELi1ELi1ELi0EEEJPfiEEEvT_T0_DpT1_.numbered_sgpr, 20
	.set _ZN2at6native12_GLOBAL__N_125multi_tensor_apply_kernelINS1_18TensorListMetadataILi1EEENS0_13LpNormFunctorIdLNS0_8NormTypeE1EN3c104HalfELi1ELi1ELi0EEEJPfiEEEvT_T0_DpT1_.num_named_barrier, 0
	.set _ZN2at6native12_GLOBAL__N_125multi_tensor_apply_kernelINS1_18TensorListMetadataILi1EEENS0_13LpNormFunctorIdLNS0_8NormTypeE1EN3c104HalfELi1ELi1ELi0EEEJPfiEEEvT_T0_DpT1_.private_seg_size, 0
	.set _ZN2at6native12_GLOBAL__N_125multi_tensor_apply_kernelINS1_18TensorListMetadataILi1EEENS0_13LpNormFunctorIdLNS0_8NormTypeE1EN3c104HalfELi1ELi1ELi0EEEJPfiEEEvT_T0_DpT1_.uses_vcc, 1
	.set _ZN2at6native12_GLOBAL__N_125multi_tensor_apply_kernelINS1_18TensorListMetadataILi1EEENS0_13LpNormFunctorIdLNS0_8NormTypeE1EN3c104HalfELi1ELi1ELi0EEEJPfiEEEvT_T0_DpT1_.uses_flat_scratch, 0
	.set _ZN2at6native12_GLOBAL__N_125multi_tensor_apply_kernelINS1_18TensorListMetadataILi1EEENS0_13LpNormFunctorIdLNS0_8NormTypeE1EN3c104HalfELi1ELi1ELi0EEEJPfiEEEvT_T0_DpT1_.has_dyn_sized_stack, 0
	.set _ZN2at6native12_GLOBAL__N_125multi_tensor_apply_kernelINS1_18TensorListMetadataILi1EEENS0_13LpNormFunctorIdLNS0_8NormTypeE1EN3c104HalfELi1ELi1ELi0EEEJPfiEEEvT_T0_DpT1_.has_recursion, 0
	.set _ZN2at6native12_GLOBAL__N_125multi_tensor_apply_kernelINS1_18TensorListMetadataILi1EEENS0_13LpNormFunctorIdLNS0_8NormTypeE1EN3c104HalfELi1ELi1ELi0EEEJPfiEEEvT_T0_DpT1_.has_indirect_call, 0
	.section	.AMDGPU.csdata,"",@progbits
; Kernel info:
; codeLenInByte = 1428
; TotalNumSgprs: 26
; NumVgprs: 20
; NumAgprs: 0
; TotalNumVgprs: 20
; ScratchSize: 0
; MemoryBound: 0
; FloatMode: 240
; IeeeMode: 1
; LDSByteSize: 2048 bytes/workgroup (compile time only)
; SGPRBlocks: 3
; VGPRBlocks: 2
; NumSGPRsForWavesPerEU: 26
; NumVGPRsForWavesPerEU: 20
; AccumOffset: 20
; Occupancy: 8
; WaveLimiterHint : 0
; COMPUTE_PGM_RSRC2:SCRATCH_EN: 0
; COMPUTE_PGM_RSRC2:USER_SGPR: 2
; COMPUTE_PGM_RSRC2:TRAP_HANDLER: 0
; COMPUTE_PGM_RSRC2:TGID_X_EN: 1
; COMPUTE_PGM_RSRC2:TGID_Y_EN: 0
; COMPUTE_PGM_RSRC2:TGID_Z_EN: 0
; COMPUTE_PGM_RSRC2:TIDIG_COMP_CNT: 0
; COMPUTE_PGM_RSRC3_GFX90A:ACCUM_OFFSET: 4
; COMPUTE_PGM_RSRC3_GFX90A:TG_SPLIT: 0
	.section	.text._ZN2at6native12_GLOBAL__N_125multi_tensor_apply_kernelINS1_18TensorListMetadataILi1EEENS0_13LpNormFunctorIdLNS0_8NormTypeE2EN3c104HalfELi1ELi1ELi0EEEJPfiEEEvT_T0_DpT1_,"axG",@progbits,_ZN2at6native12_GLOBAL__N_125multi_tensor_apply_kernelINS1_18TensorListMetadataILi1EEENS0_13LpNormFunctorIdLNS0_8NormTypeE2EN3c104HalfELi1ELi1ELi0EEEJPfiEEEvT_T0_DpT1_,comdat
	.globl	_ZN2at6native12_GLOBAL__N_125multi_tensor_apply_kernelINS1_18TensorListMetadataILi1EEENS0_13LpNormFunctorIdLNS0_8NormTypeE2EN3c104HalfELi1ELi1ELi0EEEJPfiEEEvT_T0_DpT1_ ; -- Begin function _ZN2at6native12_GLOBAL__N_125multi_tensor_apply_kernelINS1_18TensorListMetadataILi1EEENS0_13LpNormFunctorIdLNS0_8NormTypeE2EN3c104HalfELi1ELi1ELi0EEEJPfiEEEvT_T0_DpT1_
	.p2align	8
	.type	_ZN2at6native12_GLOBAL__N_125multi_tensor_apply_kernelINS1_18TensorListMetadataILi1EEENS0_13LpNormFunctorIdLNS0_8NormTypeE2EN3c104HalfELi1ELi1ELi0EEEJPfiEEEvT_T0_DpT1_,@function
_ZN2at6native12_GLOBAL__N_125multi_tensor_apply_kernelINS1_18TensorListMetadataILi1EEENS0_13LpNormFunctorIdLNS0_8NormTypeE2EN3c104HalfELi1ELi1ELi0EEEJPfiEEEvT_T0_DpT1_: ; @_ZN2at6native12_GLOBAL__N_125multi_tensor_apply_kernelINS1_18TensorListMetadataILi1EEENS0_13LpNormFunctorIdLNS0_8NormTypeE2EN3c104HalfELi1ELi1ELi0EEEJPfiEEEvT_T0_DpT1_
; %bb.0:
	v_mov_b32_e32 v1, s2
	global_load_ubyte v1, v1, s[0:1] offset:1760
	s_add_u32 s3, s0, s2
	s_mul_hi_u32 s4, s2, 3
	s_mul_i32 s2, s2, 3
	s_addc_u32 s5, s1, 0
	s_add_u32 s2, s3, s2
	s_addc_u32 s3, s5, s4
	s_load_dword s4, s[2:3], 0x820
	s_mov_b32 s15, 0
	s_waitcnt vmcnt(0)
	v_readfirstlane_b32 s2, v1
	s_and_b32 s16, s2, 0xff
	s_lshl_b32 s5, s16, 3
	s_load_dwordx2 s[2:3], s[0:1], s5 offset:0x370
	s_load_dwordx2 s[6:7], s[0:1], s5 offset:0x0
	s_waitcnt lgkmcnt(0)
	s_ashr_i32 s5, s4, 31
	s_lshl_b64 s[10:11], s[4:5], 16
	s_lshl_b64 s[8:9], s[4:5], 19
	s_add_u32 s12, s6, s8
	s_addc_u32 s13, s7, s9
	s_sub_u32 s10, s2, s10
	s_subb_u32 s11, s3, s11
	s_and_b32 s14, s2, 3
	s_and_b32 s2, s12, 31
	s_mov_b32 s3, s15
	s_or_b64 s[2:3], s[14:15], s[2:3]
	s_cmp_eq_u64 s[2:3], 0
	s_cbranch_scc1 .LBB38_12
; %bb.1:
	v_cmp_lt_i64_e64 s[2:3], s[10:11], 1
	s_and_b64 vcc, exec, s[2:3]
	s_cbranch_vccnz .LBB38_13
; %bb.2:
	s_load_dword s14, s[0:1], 0xd4c
	v_mov_b64_e32 v[2:3], 0x10000
	v_cmp_lt_i64_e32 vcc, s[10:11], v[2:3]
	s_and_b64 s[2:3], vcc, exec
	v_mov_b32_e32 v7, 0
	s_cselect_b32 s3, s11, 0
	s_cselect_b32 s2, s10, 0x10000
	s_waitcnt lgkmcnt(0)
	s_and_b32 s18, s14, 0xffff
	v_mov_b32_e32 v6, v7
	v_mad_u64_u32 v[12:13], s[14:15], s18, 3, v[0:1]
	v_mov_b32_e32 v8, v7
	v_mov_b32_e32 v9, v7
	v_mov_b64_e32 v[2:3], v[6:7]
	s_mov_b32 s5, 0x10000
	s_lshl_b32 s17, s18, 2
	v_lshl_add_u32 v10, s18, 1, v0
	v_add_u32_e32 v14, s18, v0
	s_mov_b64 s[14:15], 0
	v_mov_b64_e32 v[16:17], s[2:3]
	v_mov_b64_e32 v[4:5], v[8:9]
	s_branch .LBB38_4
.LBB38_3:                               ;   in Loop: Header=BB38_4 Depth=1
	s_or_b64 exec, exec, s[2:3]
	s_add_u32 s14, s14, s17
	s_addc_u32 s15, s15, 0
	v_cmp_lt_i64_e32 vcc, s[14:15], v[16:17]
	s_cbranch_vccz .LBB38_14
.LBB38_4:                               ; =>This Inner Loop Header: Depth=1
	v_add_u32_e32 v6, s14, v0
	v_cmp_gt_i64_e32 vcc, s[10:11], v[6:7]
	v_cmp_gt_u32_e64 s[2:3], s5, v6
	s_and_b64 s[18:19], s[2:3], vcc
	s_and_saveexec_b64 s[2:3], s[18:19]
	s_cbranch_execz .LBB38_6
; %bb.5:                                ;   in Loop: Header=BB38_4 Depth=1
	v_lshl_add_u64 v[8:9], v[6:7], 3, s[12:13]
	global_load_dwordx2 v[8:9], v[8:9], off
	s_waitcnt vmcnt(0)
	v_cvt_f32_f64_e32 v1, v[8:9]
	v_fma_f32 v2, v1, v1, v2
.LBB38_6:                               ;   in Loop: Header=BB38_4 Depth=1
	s_or_b64 exec, exec, s[2:3]
	v_add_u32_e32 v6, s14, v14
	v_cmp_gt_i64_e32 vcc, s[10:11], v[6:7]
	v_cmp_gt_u32_e64 s[2:3], s5, v6
	s_and_b64 s[18:19], s[2:3], vcc
	s_and_saveexec_b64 s[2:3], s[18:19]
	s_cbranch_execz .LBB38_8
; %bb.7:                                ;   in Loop: Header=BB38_4 Depth=1
	v_lshl_add_u64 v[8:9], v[6:7], 3, s[12:13]
	global_load_dwordx2 v[8:9], v[8:9], off
	s_waitcnt vmcnt(0)
	v_cvt_f32_f64_e32 v1, v[8:9]
	v_fma_f32 v3, v1, v1, v3
.LBB38_8:                               ;   in Loop: Header=BB38_4 Depth=1
	s_or_b64 exec, exec, s[2:3]
	v_add_u32_e32 v6, s14, v10
	v_cmp_gt_i64_e32 vcc, s[10:11], v[6:7]
	v_cmp_gt_u32_e64 s[2:3], s5, v6
	s_and_b64 s[18:19], s[2:3], vcc
	s_and_saveexec_b64 s[2:3], s[18:19]
	s_cbranch_execz .LBB38_10
; %bb.9:                                ;   in Loop: Header=BB38_4 Depth=1
	v_lshl_add_u64 v[8:9], v[6:7], 3, s[12:13]
	global_load_dwordx2 v[8:9], v[8:9], off
	s_waitcnt vmcnt(0)
	v_cvt_f32_f64_e32 v1, v[8:9]
	v_fma_f32 v4, v1, v1, v4
.LBB38_10:                              ;   in Loop: Header=BB38_4 Depth=1
	s_or_b64 exec, exec, s[2:3]
	v_add_u32_e32 v6, s14, v12
	v_cmp_gt_i64_e32 vcc, s[10:11], v[6:7]
	v_cmp_gt_u32_e64 s[2:3], s5, v6
	s_and_b64 s[18:19], s[2:3], vcc
	s_and_saveexec_b64 s[2:3], s[18:19]
	s_cbranch_execz .LBB38_3
; %bb.11:                               ;   in Loop: Header=BB38_4 Depth=1
	v_lshl_add_u64 v[8:9], v[6:7], 3, s[12:13]
	global_load_dwordx2 v[8:9], v[8:9], off
	s_waitcnt vmcnt(0)
	v_cvt_f32_f64_e32 v1, v[8:9]
	v_fma_f32 v5, v1, v1, v5
	s_branch .LBB38_3
.LBB38_12:
                                        ; implicit-def: $vgpr2_vgpr3_vgpr4_vgpr5
	s_branch .LBB38_15
.LBB38_13:
	v_mov_b32_e32 v2, 0
	v_mov_b32_e32 v3, v2
	;; [unrolled: 1-line block ×4, first 2 shown]
.LBB38_14:
	s_cbranch_execnz .LBB38_20
.LBB38_15:
	v_mov_b64_e32 v[4:5], 0x10000
	v_cmp_lt_i64_e32 vcc, s[10:11], v[4:5]
	s_and_b64 s[2:3], vcc, exec
	v_mov_b32_e32 v3, 0
	s_cselect_b32 s3, s11, 0
	s_cselect_b32 s2, s10, 0x10000
	v_lshlrev_b32_e32 v2, 2, v0
	v_cmp_gt_i64_e32 vcc, s[2:3], v[2:3]
	s_mov_b32 s13, 0
	v_mov_b32_e32 v2, v3
	v_mov_b32_e32 v4, v3
	;; [unrolled: 1-line block ×3, first 2 shown]
	s_and_saveexec_b64 s[10:11], vcc
	s_cbranch_execz .LBB38_19
; %bb.16:
	s_load_dword s5, s[0:1], 0xd4c
	v_lshlrev_b32_e32 v2, 5, v0
	v_mov_b32_e32 v1, v3
	s_mov_b32 s15, s13
	v_mov_b64_e32 v[10:11], v[0:1]
	s_waitcnt lgkmcnt(0)
	s_and_b32 s12, s5, 0xffff
	s_add_u32 s6, s6, s8
	s_addc_u32 s7, s7, s9
	v_lshl_add_u64 v[4:5], s[6:7], 0, v[2:3]
	s_lshl_b32 s14, s12, 5
	v_lshl_add_u64 v[8:9], v[4:5], 0, 16
	s_mov_b64 s[6:7], 0
	v_mov_b32_e32 v5, 0
	v_mov_b32_e32 v6, 0
	;; [unrolled: 1-line block ×3, first 2 shown]
.LBB38_17:                              ; =>This Inner Loop Header: Depth=1
	global_load_dwordx4 v[12:15], v[8:9], off offset:-16
	global_load_dwordx4 v[16:19], v[8:9], off
	v_lshl_add_u64 v[10:11], v[10:11], 0, s[12:13]
	v_lshlrev_b64 v[20:21], 2, v[10:11]
	v_cmp_le_i64_e32 vcc, s[2:3], v[20:21]
	v_lshl_add_u64 v[8:9], v[8:9], 0, s[14:15]
	s_or_b64 s[6:7], vcc, s[6:7]
	s_waitcnt vmcnt(1)
	v_cvt_f32_f64_e32 v1, v[12:13]
	v_cvt_f32_f64_e32 v2, v[14:15]
	s_waitcnt vmcnt(0)
	v_cvt_f32_f64_e32 v4, v[16:17]
	v_cvt_f32_f64_e32 v12, v[18:19]
	v_fmac_f32_e32 v3, v1, v1
	v_fmac_f32_e32 v5, v2, v2
	;; [unrolled: 1-line block ×4, first 2 shown]
	s_andn2_b64 exec, exec, s[6:7]
	s_cbranch_execnz .LBB38_17
; %bb.18:
	s_or_b64 exec, exec, s[6:7]
	v_mov_b32_e32 v4, v3
	v_mov_b64_e32 v[2:3], v[4:5]
	v_mov_b64_e32 v[4:5], v[6:7]
.LBB38_19:
	s_or_b64 exec, exec, s[10:11]
.LBB38_20:
	v_add_f32_e32 v1, 0, v2
	v_add_f32_e32 v1, v3, v1
	;; [unrolled: 1-line block ×4, first 2 shown]
	v_mbcnt_lo_u32_b32 v1, -1, 0
	v_mbcnt_hi_u32_b32 v6, -1, v1
	v_mov_b32_e32 v1, 0x80
	v_lshl_or_b32 v1, v6, 2, v1
	ds_bpermute_b32 v3, v1, v2
	v_and_b32_e32 v9, 63, v6
	v_cmp_gt_u32_e32 vcc, 48, v9
	s_waitcnt lgkmcnt(0)
	s_barrier
	v_add_f32_e32 v3, v2, v3
	v_cndmask_b32_e64 v2, 0, 16, vcc
	v_add_lshl_u32 v2, v2, v6, 2
	ds_bpermute_b32 v4, v2, v3
	v_cmp_gt_u32_e32 vcc, 56, v9
	s_waitcnt lgkmcnt(0)
	v_add_f32_e32 v4, v3, v4
	v_cndmask_b32_e64 v3, 0, 8, vcc
	v_add_lshl_u32 v3, v3, v6, 2
	ds_bpermute_b32 v5, v3, v4
	v_cmp_gt_u32_e32 vcc, 60, v9
	s_waitcnt lgkmcnt(0)
	;; [unrolled: 6-line block ×3, first 2 shown]
	v_add_f32_e32 v7, v5, v7
	v_cndmask_b32_e64 v8, 0, 2, vcc
	v_add_lshl_u32 v5, v8, v6, 2
	ds_bpermute_b32 v10, v5, v7
	v_cmp_ne_u32_e32 vcc, 63, v9
	v_and_b32_e32 v8, 63, v0
	s_waitcnt lgkmcnt(0)
	v_add_f32_e32 v7, v7, v10
	v_addc_co_u32_e32 v6, vcc, 0, v6, vcc
	v_lshlrev_b32_e32 v6, 2, v6
	ds_bpermute_b32 v9, v6, v7
	v_cmp_eq_u32_e32 vcc, 0, v8
	s_and_saveexec_b64 s[2:3], vcc
	s_cbranch_execz .LBB38_22
; %bb.21:
	v_lshrrev_b32_e32 v10, 4, v0
	s_waitcnt lgkmcnt(0)
	v_add_f32_e32 v7, v7, v9
	ds_write_b32 v10, v7
.LBB38_22:
	s_or_b64 exec, exec, s[2:3]
	s_waitcnt lgkmcnt(0)
	s_barrier
	s_load_dword s2, s[0:1], 0xd4c
	v_mov_b32_e32 v7, 0
	s_waitcnt lgkmcnt(0)
	s_bfe_u32 s2, s2, 0xa0006
	v_cmp_gt_u32_e32 vcc, s2, v0
	s_and_saveexec_b64 s[2:3], vcc
	s_cbranch_execnz .LBB38_26
; %bb.23:
	s_or_b64 exec, exec, s[2:3]
	v_cmp_gt_u32_e32 vcc, 64, v0
	s_and_saveexec_b64 s[2:3], vcc
	s_cbranch_execnz .LBB38_27
.LBB38_24:
	s_or_b64 exec, exec, s[2:3]
	v_cmp_eq_u32_e32 vcc, 0, v0
	s_and_saveexec_b64 s[2:3], vcc
	s_cbranch_execnz .LBB38_28
.LBB38_25:
	s_endpgm
.LBB38_26:
	v_lshlrev_b32_e32 v7, 2, v8
	ds_read_b32 v7, v7
	s_or_b64 exec, exec, s[2:3]
	v_cmp_gt_u32_e32 vcc, 64, v0
	s_and_saveexec_b64 s[2:3], vcc
	s_cbranch_execz .LBB38_24
.LBB38_27:
	s_waitcnt lgkmcnt(0)
	ds_bpermute_b32 v1, v1, v7
	s_waitcnt lgkmcnt(0)
	v_add_f32_e32 v1, v7, v1
	ds_bpermute_b32 v2, v2, v1
	s_waitcnt lgkmcnt(0)
	v_add_f32_e32 v1, v1, v2
	;; [unrolled: 3-line block ×6, first 2 shown]
	s_or_b64 exec, exec, s[2:3]
	v_cmp_eq_u32_e32 vcc, 0, v0
	s_and_saveexec_b64 s[2:3], vcc
	s_cbranch_execz .LBB38_25
.LBB38_28:
	s_load_dword s5, s[0:1], 0xd20
	s_load_dword s6, s[0:1], 0xd38
	s_load_dwordx2 s[2:3], s[0:1], 0xd30
	v_mov_b32_e32 v0, 0
	s_waitcnt lgkmcnt(0)
	s_add_i32 s0, s5, s16
	s_mul_i32 s0, s0, s6
	s_add_i32 s0, s0, s4
	s_ashr_i32 s1, s0, 31
	s_lshl_b64 s[0:1], s[0:1], 2
	s_add_u32 s0, s2, s0
	s_addc_u32 s1, s3, s1
	global_store_dword v0, v7, s[0:1]
	s_endpgm
	.section	.rodata,"a",@progbits
	.p2align	6, 0x0
	.amdhsa_kernel _ZN2at6native12_GLOBAL__N_125multi_tensor_apply_kernelINS1_18TensorListMetadataILi1EEENS0_13LpNormFunctorIdLNS0_8NormTypeE2EN3c104HalfELi1ELi1ELi0EEEJPfiEEEvT_T0_DpT1_
		.amdhsa_group_segment_fixed_size 2048
		.amdhsa_private_segment_fixed_size 0
		.amdhsa_kernarg_size 3648
		.amdhsa_user_sgpr_count 2
		.amdhsa_user_sgpr_dispatch_ptr 0
		.amdhsa_user_sgpr_queue_ptr 0
		.amdhsa_user_sgpr_kernarg_segment_ptr 1
		.amdhsa_user_sgpr_dispatch_id 0
		.amdhsa_user_sgpr_kernarg_preload_length 0
		.amdhsa_user_sgpr_kernarg_preload_offset 0
		.amdhsa_user_sgpr_private_segment_size 0
		.amdhsa_uses_dynamic_stack 0
		.amdhsa_enable_private_segment 0
		.amdhsa_system_sgpr_workgroup_id_x 1
		.amdhsa_system_sgpr_workgroup_id_y 0
		.amdhsa_system_sgpr_workgroup_id_z 0
		.amdhsa_system_sgpr_workgroup_info 0
		.amdhsa_system_vgpr_workitem_id 0
		.amdhsa_next_free_vgpr 22
		.amdhsa_next_free_sgpr 20
		.amdhsa_accum_offset 24
		.amdhsa_reserve_vcc 1
		.amdhsa_float_round_mode_32 0
		.amdhsa_float_round_mode_16_64 0
		.amdhsa_float_denorm_mode_32 3
		.amdhsa_float_denorm_mode_16_64 3
		.amdhsa_dx10_clamp 1
		.amdhsa_ieee_mode 1
		.amdhsa_fp16_overflow 0
		.amdhsa_tg_split 0
		.amdhsa_exception_fp_ieee_invalid_op 0
		.amdhsa_exception_fp_denorm_src 0
		.amdhsa_exception_fp_ieee_div_zero 0
		.amdhsa_exception_fp_ieee_overflow 0
		.amdhsa_exception_fp_ieee_underflow 0
		.amdhsa_exception_fp_ieee_inexact 0
		.amdhsa_exception_int_div_zero 0
	.end_amdhsa_kernel
	.section	.text._ZN2at6native12_GLOBAL__N_125multi_tensor_apply_kernelINS1_18TensorListMetadataILi1EEENS0_13LpNormFunctorIdLNS0_8NormTypeE2EN3c104HalfELi1ELi1ELi0EEEJPfiEEEvT_T0_DpT1_,"axG",@progbits,_ZN2at6native12_GLOBAL__N_125multi_tensor_apply_kernelINS1_18TensorListMetadataILi1EEENS0_13LpNormFunctorIdLNS0_8NormTypeE2EN3c104HalfELi1ELi1ELi0EEEJPfiEEEvT_T0_DpT1_,comdat
.Lfunc_end38:
	.size	_ZN2at6native12_GLOBAL__N_125multi_tensor_apply_kernelINS1_18TensorListMetadataILi1EEENS0_13LpNormFunctorIdLNS0_8NormTypeE2EN3c104HalfELi1ELi1ELi0EEEJPfiEEEvT_T0_DpT1_, .Lfunc_end38-_ZN2at6native12_GLOBAL__N_125multi_tensor_apply_kernelINS1_18TensorListMetadataILi1EEENS0_13LpNormFunctorIdLNS0_8NormTypeE2EN3c104HalfELi1ELi1ELi0EEEJPfiEEEvT_T0_DpT1_
                                        ; -- End function
	.set _ZN2at6native12_GLOBAL__N_125multi_tensor_apply_kernelINS1_18TensorListMetadataILi1EEENS0_13LpNormFunctorIdLNS0_8NormTypeE2EN3c104HalfELi1ELi1ELi0EEEJPfiEEEvT_T0_DpT1_.num_vgpr, 22
	.set _ZN2at6native12_GLOBAL__N_125multi_tensor_apply_kernelINS1_18TensorListMetadataILi1EEENS0_13LpNormFunctorIdLNS0_8NormTypeE2EN3c104HalfELi1ELi1ELi0EEEJPfiEEEvT_T0_DpT1_.num_agpr, 0
	.set _ZN2at6native12_GLOBAL__N_125multi_tensor_apply_kernelINS1_18TensorListMetadataILi1EEENS0_13LpNormFunctorIdLNS0_8NormTypeE2EN3c104HalfELi1ELi1ELi0EEEJPfiEEEvT_T0_DpT1_.numbered_sgpr, 20
	.set _ZN2at6native12_GLOBAL__N_125multi_tensor_apply_kernelINS1_18TensorListMetadataILi1EEENS0_13LpNormFunctorIdLNS0_8NormTypeE2EN3c104HalfELi1ELi1ELi0EEEJPfiEEEvT_T0_DpT1_.num_named_barrier, 0
	.set _ZN2at6native12_GLOBAL__N_125multi_tensor_apply_kernelINS1_18TensorListMetadataILi1EEENS0_13LpNormFunctorIdLNS0_8NormTypeE2EN3c104HalfELi1ELi1ELi0EEEJPfiEEEvT_T0_DpT1_.private_seg_size, 0
	.set _ZN2at6native12_GLOBAL__N_125multi_tensor_apply_kernelINS1_18TensorListMetadataILi1EEENS0_13LpNormFunctorIdLNS0_8NormTypeE2EN3c104HalfELi1ELi1ELi0EEEJPfiEEEvT_T0_DpT1_.uses_vcc, 1
	.set _ZN2at6native12_GLOBAL__N_125multi_tensor_apply_kernelINS1_18TensorListMetadataILi1EEENS0_13LpNormFunctorIdLNS0_8NormTypeE2EN3c104HalfELi1ELi1ELi0EEEJPfiEEEvT_T0_DpT1_.uses_flat_scratch, 0
	.set _ZN2at6native12_GLOBAL__N_125multi_tensor_apply_kernelINS1_18TensorListMetadataILi1EEENS0_13LpNormFunctorIdLNS0_8NormTypeE2EN3c104HalfELi1ELi1ELi0EEEJPfiEEEvT_T0_DpT1_.has_dyn_sized_stack, 0
	.set _ZN2at6native12_GLOBAL__N_125multi_tensor_apply_kernelINS1_18TensorListMetadataILi1EEENS0_13LpNormFunctorIdLNS0_8NormTypeE2EN3c104HalfELi1ELi1ELi0EEEJPfiEEEvT_T0_DpT1_.has_recursion, 0
	.set _ZN2at6native12_GLOBAL__N_125multi_tensor_apply_kernelINS1_18TensorListMetadataILi1EEENS0_13LpNormFunctorIdLNS0_8NormTypeE2EN3c104HalfELi1ELi1ELi0EEEJPfiEEEvT_T0_DpT1_.has_indirect_call, 0
	.section	.AMDGPU.csdata,"",@progbits
; Kernel info:
; codeLenInByte = 1404
; TotalNumSgprs: 26
; NumVgprs: 22
; NumAgprs: 0
; TotalNumVgprs: 22
; ScratchSize: 0
; MemoryBound: 0
; FloatMode: 240
; IeeeMode: 1
; LDSByteSize: 2048 bytes/workgroup (compile time only)
; SGPRBlocks: 3
; VGPRBlocks: 2
; NumSGPRsForWavesPerEU: 26
; NumVGPRsForWavesPerEU: 22
; AccumOffset: 24
; Occupancy: 8
; WaveLimiterHint : 0
; COMPUTE_PGM_RSRC2:SCRATCH_EN: 0
; COMPUTE_PGM_RSRC2:USER_SGPR: 2
; COMPUTE_PGM_RSRC2:TRAP_HANDLER: 0
; COMPUTE_PGM_RSRC2:TGID_X_EN: 1
; COMPUTE_PGM_RSRC2:TGID_Y_EN: 0
; COMPUTE_PGM_RSRC2:TGID_Z_EN: 0
; COMPUTE_PGM_RSRC2:TIDIG_COMP_CNT: 0
; COMPUTE_PGM_RSRC3_GFX90A:ACCUM_OFFSET: 5
; COMPUTE_PGM_RSRC3_GFX90A:TG_SPLIT: 0
	.section	.text._ZN2at6native12_GLOBAL__N_125multi_tensor_apply_kernelINS1_18TensorListMetadataILi1EEENS0_13LpNormFunctorIdLNS0_8NormTypeE3EN3c104HalfELi1ELi1ELi0EEEJPfiEEEvT_T0_DpT1_,"axG",@progbits,_ZN2at6native12_GLOBAL__N_125multi_tensor_apply_kernelINS1_18TensorListMetadataILi1EEENS0_13LpNormFunctorIdLNS0_8NormTypeE3EN3c104HalfELi1ELi1ELi0EEEJPfiEEEvT_T0_DpT1_,comdat
	.globl	_ZN2at6native12_GLOBAL__N_125multi_tensor_apply_kernelINS1_18TensorListMetadataILi1EEENS0_13LpNormFunctorIdLNS0_8NormTypeE3EN3c104HalfELi1ELi1ELi0EEEJPfiEEEvT_T0_DpT1_ ; -- Begin function _ZN2at6native12_GLOBAL__N_125multi_tensor_apply_kernelINS1_18TensorListMetadataILi1EEENS0_13LpNormFunctorIdLNS0_8NormTypeE3EN3c104HalfELi1ELi1ELi0EEEJPfiEEEvT_T0_DpT1_
	.p2align	8
	.type	_ZN2at6native12_GLOBAL__N_125multi_tensor_apply_kernelINS1_18TensorListMetadataILi1EEENS0_13LpNormFunctorIdLNS0_8NormTypeE3EN3c104HalfELi1ELi1ELi0EEEJPfiEEEvT_T0_DpT1_,@function
_ZN2at6native12_GLOBAL__N_125multi_tensor_apply_kernelINS1_18TensorListMetadataILi1EEENS0_13LpNormFunctorIdLNS0_8NormTypeE3EN3c104HalfELi1ELi1ELi0EEEJPfiEEEvT_T0_DpT1_: ; @_ZN2at6native12_GLOBAL__N_125multi_tensor_apply_kernelINS1_18TensorListMetadataILi1EEENS0_13LpNormFunctorIdLNS0_8NormTypeE3EN3c104HalfELi1ELi1ELi0EEEJPfiEEEvT_T0_DpT1_
; %bb.0:
	v_mov_b32_e32 v1, s2
	global_load_ubyte v1, v1, s[0:1] offset:1760
	s_add_u32 s3, s0, s2
	s_mul_hi_u32 s4, s2, 3
	s_mul_i32 s2, s2, 3
	s_addc_u32 s5, s1, 0
	s_add_u32 s2, s3, s2
	s_addc_u32 s3, s5, s4
	s_load_dword s10, s[2:3], 0x820
	s_mov_b32 s15, 0
	s_waitcnt lgkmcnt(0)
	s_ashr_i32 s11, s10, 31
	s_lshl_b64 s[8:9], s[10:11], 16
	s_waitcnt vmcnt(0)
	v_readfirstlane_b32 s2, v1
	s_and_b32 s22, s2, 0xff
	s_lshl_b32 s6, s22, 3
	s_load_dwordx2 s[2:3], s[0:1], s6 offset:0x370
	s_load_dwordx2 s[4:5], s[0:1], s6 offset:0x0
	s_lshl_b64 s[6:7], s[10:11], 19
	s_waitcnt lgkmcnt(0)
	s_add_u32 s12, s4, s6
	s_addc_u32 s13, s5, s7
	s_sub_u32 s8, s2, s8
	s_subb_u32 s9, s3, s9
	s_and_b32 s14, s2, 3
	s_and_b32 s2, s12, 31
	s_mov_b32 s3, s15
	s_or_b64 s[2:3], s[14:15], s[2:3]
	s_cmp_eq_u64 s[2:3], 0
	s_cbranch_scc1 .LBB39_12
; %bb.1:
	v_cmp_lt_i64_e64 s[2:3], s[8:9], 1
	s_and_b64 vcc, exec, s[2:3]
	s_cbranch_vccnz .LBB39_13
; %bb.2:
	s_load_dword s14, s[0:1], 0xd4c
	v_mov_b64_e32 v[2:3], 0x10000
	v_cmp_lt_i64_e32 vcc, s[8:9], v[2:3]
	s_and_b64 s[2:3], vcc, exec
	v_mov_b32_e32 v7, 0
	s_cselect_b32 s3, s9, 0
	s_cselect_b32 s2, s8, 0x10000
	s_waitcnt lgkmcnt(0)
	s_and_b32 s17, s14, 0xffff
	v_mov_b32_e32 v6, v7
	v_mad_u64_u32 v[12:13], s[14:15], s17, 3, v[0:1]
	v_mov_b32_e32 v8, v7
	v_mov_b32_e32 v9, v7
	v_mov_b64_e32 v[2:3], v[6:7]
	s_mov_b32 s11, 0x10000
	s_lshl_b32 s16, s17, 2
	v_lshl_add_u32 v10, s17, 1, v0
	v_add_u32_e32 v14, s17, v0
	s_mov_b64 s[14:15], 0
	v_mov_b64_e32 v[16:17], s[2:3]
	v_mov_b64_e32 v[4:5], v[8:9]
	s_branch .LBB39_4
.LBB39_3:                               ;   in Loop: Header=BB39_4 Depth=1
	s_or_b64 exec, exec, s[2:3]
	s_add_u32 s14, s14, s16
	s_addc_u32 s15, s15, 0
	v_cmp_lt_i64_e32 vcc, s[14:15], v[16:17]
	s_cbranch_vccz .LBB39_14
.LBB39_4:                               ; =>This Inner Loop Header: Depth=1
	v_add_u32_e32 v6, s14, v0
	v_cmp_gt_i64_e32 vcc, s[8:9], v[6:7]
	v_cmp_gt_u32_e64 s[2:3], s11, v6
	s_and_b64 s[18:19], s[2:3], vcc
	s_and_saveexec_b64 s[2:3], s[18:19]
	s_cbranch_execz .LBB39_6
; %bb.5:                                ;   in Loop: Header=BB39_4 Depth=1
	v_lshl_add_u64 v[8:9], v[6:7], 3, s[12:13]
	global_load_dwordx2 v[8:9], v[8:9], off
	s_waitcnt vmcnt(0)
	v_cvt_f32_f64_e32 v1, v[8:9]
	v_cmp_u_f32_e32 vcc, v1, v1
	v_cmp_lt_f32_e64 s[18:19], v2, |v1|
	s_or_b64 s[18:19], vcc, s[18:19]
	s_nop 0
	v_cndmask_b32_e64 v2, v2, |v1|, s[18:19]
.LBB39_6:                               ;   in Loop: Header=BB39_4 Depth=1
	s_or_b64 exec, exec, s[2:3]
	v_add_u32_e32 v6, s14, v14
	v_cmp_gt_i64_e32 vcc, s[8:9], v[6:7]
	v_cmp_gt_u32_e64 s[2:3], s11, v6
	s_and_b64 s[18:19], s[2:3], vcc
	s_and_saveexec_b64 s[2:3], s[18:19]
	s_cbranch_execz .LBB39_8
; %bb.7:                                ;   in Loop: Header=BB39_4 Depth=1
	v_lshl_add_u64 v[8:9], v[6:7], 3, s[12:13]
	global_load_dwordx2 v[8:9], v[8:9], off
	s_waitcnt vmcnt(0)
	v_cvt_f32_f64_e32 v1, v[8:9]
	v_cmp_u_f32_e32 vcc, v1, v1
	v_cmp_lt_f32_e64 s[18:19], v3, |v1|
	s_or_b64 s[18:19], vcc, s[18:19]
	s_nop 0
	v_cndmask_b32_e64 v3, v3, |v1|, s[18:19]
.LBB39_8:                               ;   in Loop: Header=BB39_4 Depth=1
	s_or_b64 exec, exec, s[2:3]
	v_add_u32_e32 v6, s14, v10
	v_cmp_gt_i64_e32 vcc, s[8:9], v[6:7]
	v_cmp_gt_u32_e64 s[2:3], s11, v6
	s_and_b64 s[18:19], s[2:3], vcc
	s_and_saveexec_b64 s[2:3], s[18:19]
	s_cbranch_execz .LBB39_10
; %bb.9:                                ;   in Loop: Header=BB39_4 Depth=1
	v_lshl_add_u64 v[8:9], v[6:7], 3, s[12:13]
	global_load_dwordx2 v[8:9], v[8:9], off
	s_waitcnt vmcnt(0)
	v_cvt_f32_f64_e32 v1, v[8:9]
	v_cmp_u_f32_e32 vcc, v1, v1
	v_cmp_lt_f32_e64 s[18:19], v4, |v1|
	s_or_b64 s[18:19], vcc, s[18:19]
	s_nop 0
	v_cndmask_b32_e64 v4, v4, |v1|, s[18:19]
.LBB39_10:                              ;   in Loop: Header=BB39_4 Depth=1
	s_or_b64 exec, exec, s[2:3]
	v_add_u32_e32 v6, s14, v12
	v_cmp_gt_i64_e32 vcc, s[8:9], v[6:7]
	v_cmp_gt_u32_e64 s[2:3], s11, v6
	s_and_b64 s[18:19], s[2:3], vcc
	s_and_saveexec_b64 s[2:3], s[18:19]
	s_cbranch_execz .LBB39_3
; %bb.11:                               ;   in Loop: Header=BB39_4 Depth=1
	v_lshl_add_u64 v[8:9], v[6:7], 3, s[12:13]
	global_load_dwordx2 v[8:9], v[8:9], off
	s_waitcnt vmcnt(0)
	v_cvt_f32_f64_e32 v1, v[8:9]
	v_cmp_u_f32_e32 vcc, v1, v1
	v_cmp_lt_f32_e64 s[18:19], v5, |v1|
	s_or_b64 s[18:19], vcc, s[18:19]
	s_nop 0
	v_cndmask_b32_e64 v5, v5, |v1|, s[18:19]
	s_branch .LBB39_3
.LBB39_12:
                                        ; implicit-def: $vgpr2_vgpr3_vgpr4_vgpr5
	s_branch .LBB39_15
.LBB39_13:
	v_mov_b32_e32 v2, 0
	v_mov_b32_e32 v3, v2
	;; [unrolled: 1-line block ×4, first 2 shown]
.LBB39_14:
	s_cbranch_execnz .LBB39_20
.LBB39_15:
	v_mov_b64_e32 v[4:5], 0x10000
	v_cmp_lt_i64_e32 vcc, s[8:9], v[4:5]
	s_and_b64 s[2:3], vcc, exec
	v_mov_b32_e32 v3, 0
	s_cselect_b32 s13, s9, 0
	s_cselect_b32 s12, s8, 0x10000
	v_lshlrev_b32_e32 v2, 2, v0
	v_cmp_gt_i64_e32 vcc, s[12:13], v[2:3]
	s_mov_b32 s17, 0
	v_mov_b32_e32 v2, v3
	v_mov_b32_e32 v4, v3
	;; [unrolled: 1-line block ×3, first 2 shown]
	s_and_saveexec_b64 s[14:15], vcc
	s_cbranch_execz .LBB39_19
; %bb.16:
	s_load_dword s2, s[0:1], 0xd4c
	v_lshlrev_b32_e32 v2, 5, v0
	v_mov_b32_e32 v1, v3
	s_mov_b32 s19, s17
	s_mov_b64 s[20:21], 0
	s_waitcnt lgkmcnt(0)
	s_and_b32 s16, s2, 0xffff
	s_add_u32 s2, s4, s6
	s_addc_u32 s3, s5, s7
	v_lshl_add_u64 v[4:5], s[2:3], 0, v[2:3]
	s_lshl_b32 s18, s16, 5
	v_lshl_add_u64 v[8:9], v[4:5], 0, 16
	v_mov_b64_e32 v[10:11], v[0:1]
	v_mov_b32_e32 v5, 0
	v_mov_b32_e32 v6, 0
	;; [unrolled: 1-line block ×3, first 2 shown]
.LBB39_17:                              ; =>This Inner Loop Header: Depth=1
	global_load_dwordx4 v[12:15], v[8:9], off offset:-16
	global_load_dwordx4 v[16:19], v[8:9], off
	v_lshl_add_u64 v[10:11], v[10:11], 0, s[16:17]
	v_lshlrev_b64 v[20:21], 2, v[10:11]
	v_cmp_le_i64_e32 vcc, s[12:13], v[20:21]
	v_lshl_add_u64 v[8:9], v[8:9], 0, s[18:19]
	s_waitcnt vmcnt(1)
	v_cvt_f32_f64_e32 v1, v[12:13]
	s_waitcnt vmcnt(0)
	v_cvt_f32_f64_e32 v12, v[18:19]
	v_cvt_f32_f64_e32 v4, v[16:17]
	v_cmp_u_f32_e64 s[2:3], v12, v12
	v_cmp_lt_f32_e64 s[24:25], v7, |v12|
	v_cvt_f32_f64_e32 v2, v[14:15]
	v_cmp_u_f32_e64 s[4:5], v4, v4
	v_cmp_lt_f32_e64 s[26:27], v6, |v4|
	s_or_b64 s[2:3], s[2:3], s[24:25]
	v_cmp_u_f32_e64 s[6:7], v2, v2
	v_cmp_u_f32_e64 s[8:9], v1, v1
	v_cmp_lt_f32_e64 s[28:29], v5, |v2|
	v_cmp_lt_f32_e64 s[30:31], v3, |v1|
	v_cndmask_b32_e64 v7, v7, |v12|, s[2:3]
	s_or_b64 s[2:3], s[4:5], s[26:27]
	s_or_b64 s[8:9], s[8:9], s[30:31]
	v_cndmask_b32_e64 v6, v6, |v4|, s[2:3]
	s_or_b64 s[2:3], s[6:7], s[28:29]
	v_cndmask_b32_e64 v5, v5, |v2|, s[2:3]
	s_or_b64 s[20:21], vcc, s[20:21]
	v_cndmask_b32_e64 v3, v3, |v1|, s[8:9]
	s_andn2_b64 exec, exec, s[20:21]
	s_cbranch_execnz .LBB39_17
; %bb.18:
	s_or_b64 exec, exec, s[20:21]
	v_mov_b32_e32 v4, v3
	v_mov_b64_e32 v[2:3], v[4:5]
	v_mov_b64_e32 v[4:5], v[6:7]
.LBB39_19:
	s_or_b64 exec, exec, s[14:15]
.LBB39_20:
	v_cmp_nge_f32_e32 vcc, 0, v2
	v_and_b32_e32 v8, 63, v0
	s_nop 0
	v_cndmask_b32_e32 v1, 0, v2, vcc
	v_cmp_u_f32_e32 vcc, v3, v3
	v_cmp_lt_f32_e64 s[2:3], v1, v3
	s_or_b64 vcc, vcc, s[2:3]
	v_cndmask_b32_e32 v1, v1, v3, vcc
	v_cmp_u_f32_e32 vcc, v4, v4
	v_cmp_lt_f32_e64 s[2:3], v1, v4
	s_or_b64 vcc, vcc, s[2:3]
	;; [unrolled: 4-line block ×3, first 2 shown]
	v_cndmask_b32_e32 v2, v1, v5, vcc
	v_mbcnt_lo_u32_b32 v1, -1, 0
	v_mbcnt_hi_u32_b32 v6, -1, v1
	v_mov_b32_e32 v1, 0x80
	v_lshl_or_b32 v1, v6, 2, v1
	ds_bpermute_b32 v3, v1, v2
	v_and_b32_e32 v9, 63, v6
	s_barrier
	s_waitcnt lgkmcnt(0)
	v_cmp_u_f32_e32 vcc, v3, v3
	v_cmp_lt_f32_e64 s[2:3], v2, v3
	s_or_b64 vcc, vcc, s[2:3]
	v_cndmask_b32_e32 v3, v2, v3, vcc
	v_cmp_gt_u32_e32 vcc, 48, v9
	s_nop 1
	v_cndmask_b32_e64 v2, 0, 16, vcc
	v_add_lshl_u32 v2, v2, v6, 2
	ds_bpermute_b32 v4, v2, v3
	s_waitcnt lgkmcnt(0)
	v_cmp_u_f32_e32 vcc, v4, v4
	v_cmp_lt_f32_e64 s[2:3], v3, v4
	s_or_b64 vcc, vcc, s[2:3]
	v_cndmask_b32_e32 v4, v3, v4, vcc
	v_cmp_gt_u32_e32 vcc, 56, v9
	s_nop 1
	v_cndmask_b32_e64 v3, 0, 8, vcc
	v_add_lshl_u32 v3, v3, v6, 2
	ds_bpermute_b32 v5, v3, v4
	;; [unrolled: 10-line block ×4, first 2 shown]
	s_waitcnt lgkmcnt(0)
	v_cmp_u_f32_e32 vcc, v10, v10
	v_cmp_lt_f32_e64 s[2:3], v7, v10
	s_or_b64 vcc, vcc, s[2:3]
	v_cndmask_b32_e32 v7, v7, v10, vcc
	v_cmp_ne_u32_e32 vcc, 63, v9
	s_nop 1
	v_addc_co_u32_e32 v6, vcc, 0, v6, vcc
	v_lshlrev_b32_e32 v6, 2, v6
	ds_bpermute_b32 v9, v6, v7
	v_cmp_eq_u32_e32 vcc, 0, v8
	s_and_saveexec_b64 s[4:5], vcc
	s_cbranch_execz .LBB39_22
; %bb.21:
	s_waitcnt lgkmcnt(0)
	v_cmp_u_f32_e32 vcc, v9, v9
	v_cmp_lt_f32_e64 s[2:3], v7, v9
	s_or_b64 vcc, vcc, s[2:3]
	v_lshrrev_b32_e32 v10, 4, v0
	v_cndmask_b32_e32 v7, v7, v9, vcc
	ds_write_b32 v10, v7
.LBB39_22:
	s_or_b64 exec, exec, s[4:5]
	s_waitcnt lgkmcnt(0)
	s_barrier
	s_load_dword s2, s[0:1], 0xd4c
	v_mov_b32_e32 v7, 0xff7fffff
	s_waitcnt lgkmcnt(0)
	s_bfe_u32 s2, s2, 0xa0006
	v_cmp_gt_u32_e32 vcc, s2, v0
	s_and_saveexec_b64 s[2:3], vcc
	s_cbranch_execnz .LBB39_26
; %bb.23:
	s_or_b64 exec, exec, s[2:3]
	v_cmp_gt_u32_e32 vcc, 64, v0
	s_and_saveexec_b64 s[4:5], vcc
	s_cbranch_execnz .LBB39_27
.LBB39_24:
	s_or_b64 exec, exec, s[4:5]
	v_cmp_eq_u32_e32 vcc, 0, v0
	s_and_saveexec_b64 s[2:3], vcc
	s_cbranch_execnz .LBB39_28
.LBB39_25:
	s_endpgm
.LBB39_26:
	v_lshlrev_b32_e32 v7, 2, v8
	ds_read_b32 v7, v7
	s_or_b64 exec, exec, s[2:3]
	v_cmp_gt_u32_e32 vcc, 64, v0
	s_and_saveexec_b64 s[4:5], vcc
	s_cbranch_execz .LBB39_24
.LBB39_27:
	s_waitcnt lgkmcnt(0)
	ds_bpermute_b32 v1, v1, v7
	s_waitcnt lgkmcnt(0)
	v_cmp_u_f32_e32 vcc, v1, v1
	v_cmp_lt_f32_e64 s[2:3], v7, v1
	s_or_b64 vcc, vcc, s[2:3]
	v_cndmask_b32_e32 v1, v7, v1, vcc
	ds_bpermute_b32 v2, v2, v1
	s_waitcnt lgkmcnt(0)
	v_cmp_u_f32_e32 vcc, v2, v2
	v_cmp_lt_f32_e64 s[2:3], v1, v2
	s_or_b64 vcc, vcc, s[2:3]
	v_cndmask_b32_e32 v1, v1, v2, vcc
	;; [unrolled: 6-line block ×6, first 2 shown]
	s_or_b64 exec, exec, s[4:5]
	v_cmp_eq_u32_e32 vcc, 0, v0
	s_and_saveexec_b64 s[2:3], vcc
	s_cbranch_execz .LBB39_25
.LBB39_28:
	s_load_dword s4, s[0:1], 0xd20
	s_load_dword s5, s[0:1], 0xd38
	s_load_dwordx2 s[2:3], s[0:1], 0xd30
	v_mov_b32_e32 v0, 0
	s_waitcnt lgkmcnt(0)
	s_add_i32 s0, s4, s22
	s_mul_i32 s0, s0, s5
	s_add_i32 s0, s0, s10
	s_ashr_i32 s1, s0, 31
	s_lshl_b64 s[0:1], s[0:1], 2
	s_add_u32 s0, s2, s0
	s_addc_u32 s1, s3, s1
	global_store_dword v0, v7, s[0:1]
	s_endpgm
	.section	.rodata,"a",@progbits
	.p2align	6, 0x0
	.amdhsa_kernel _ZN2at6native12_GLOBAL__N_125multi_tensor_apply_kernelINS1_18TensorListMetadataILi1EEENS0_13LpNormFunctorIdLNS0_8NormTypeE3EN3c104HalfELi1ELi1ELi0EEEJPfiEEEvT_T0_DpT1_
		.amdhsa_group_segment_fixed_size 2048
		.amdhsa_private_segment_fixed_size 0
		.amdhsa_kernarg_size 3648
		.amdhsa_user_sgpr_count 2
		.amdhsa_user_sgpr_dispatch_ptr 0
		.amdhsa_user_sgpr_queue_ptr 0
		.amdhsa_user_sgpr_kernarg_segment_ptr 1
		.amdhsa_user_sgpr_dispatch_id 0
		.amdhsa_user_sgpr_kernarg_preload_length 0
		.amdhsa_user_sgpr_kernarg_preload_offset 0
		.amdhsa_user_sgpr_private_segment_size 0
		.amdhsa_uses_dynamic_stack 0
		.amdhsa_enable_private_segment 0
		.amdhsa_system_sgpr_workgroup_id_x 1
		.amdhsa_system_sgpr_workgroup_id_y 0
		.amdhsa_system_sgpr_workgroup_id_z 0
		.amdhsa_system_sgpr_workgroup_info 0
		.amdhsa_system_vgpr_workitem_id 0
		.amdhsa_next_free_vgpr 22
		.amdhsa_next_free_sgpr 32
		.amdhsa_accum_offset 24
		.amdhsa_reserve_vcc 1
		.amdhsa_float_round_mode_32 0
		.amdhsa_float_round_mode_16_64 0
		.amdhsa_float_denorm_mode_32 3
		.amdhsa_float_denorm_mode_16_64 3
		.amdhsa_dx10_clamp 1
		.amdhsa_ieee_mode 1
		.amdhsa_fp16_overflow 0
		.amdhsa_tg_split 0
		.amdhsa_exception_fp_ieee_invalid_op 0
		.amdhsa_exception_fp_denorm_src 0
		.amdhsa_exception_fp_ieee_div_zero 0
		.amdhsa_exception_fp_ieee_overflow 0
		.amdhsa_exception_fp_ieee_underflow 0
		.amdhsa_exception_fp_ieee_inexact 0
		.amdhsa_exception_int_div_zero 0
	.end_amdhsa_kernel
	.section	.text._ZN2at6native12_GLOBAL__N_125multi_tensor_apply_kernelINS1_18TensorListMetadataILi1EEENS0_13LpNormFunctorIdLNS0_8NormTypeE3EN3c104HalfELi1ELi1ELi0EEEJPfiEEEvT_T0_DpT1_,"axG",@progbits,_ZN2at6native12_GLOBAL__N_125multi_tensor_apply_kernelINS1_18TensorListMetadataILi1EEENS0_13LpNormFunctorIdLNS0_8NormTypeE3EN3c104HalfELi1ELi1ELi0EEEJPfiEEEvT_T0_DpT1_,comdat
.Lfunc_end39:
	.size	_ZN2at6native12_GLOBAL__N_125multi_tensor_apply_kernelINS1_18TensorListMetadataILi1EEENS0_13LpNormFunctorIdLNS0_8NormTypeE3EN3c104HalfELi1ELi1ELi0EEEJPfiEEEvT_T0_DpT1_, .Lfunc_end39-_ZN2at6native12_GLOBAL__N_125multi_tensor_apply_kernelINS1_18TensorListMetadataILi1EEENS0_13LpNormFunctorIdLNS0_8NormTypeE3EN3c104HalfELi1ELi1ELi0EEEJPfiEEEvT_T0_DpT1_
                                        ; -- End function
	.set _ZN2at6native12_GLOBAL__N_125multi_tensor_apply_kernelINS1_18TensorListMetadataILi1EEENS0_13LpNormFunctorIdLNS0_8NormTypeE3EN3c104HalfELi1ELi1ELi0EEEJPfiEEEvT_T0_DpT1_.num_vgpr, 22
	.set _ZN2at6native12_GLOBAL__N_125multi_tensor_apply_kernelINS1_18TensorListMetadataILi1EEENS0_13LpNormFunctorIdLNS0_8NormTypeE3EN3c104HalfELi1ELi1ELi0EEEJPfiEEEvT_T0_DpT1_.num_agpr, 0
	.set _ZN2at6native12_GLOBAL__N_125multi_tensor_apply_kernelINS1_18TensorListMetadataILi1EEENS0_13LpNormFunctorIdLNS0_8NormTypeE3EN3c104HalfELi1ELi1ELi0EEEJPfiEEEvT_T0_DpT1_.numbered_sgpr, 32
	.set _ZN2at6native12_GLOBAL__N_125multi_tensor_apply_kernelINS1_18TensorListMetadataILi1EEENS0_13LpNormFunctorIdLNS0_8NormTypeE3EN3c104HalfELi1ELi1ELi0EEEJPfiEEEvT_T0_DpT1_.num_named_barrier, 0
	.set _ZN2at6native12_GLOBAL__N_125multi_tensor_apply_kernelINS1_18TensorListMetadataILi1EEENS0_13LpNormFunctorIdLNS0_8NormTypeE3EN3c104HalfELi1ELi1ELi0EEEJPfiEEEvT_T0_DpT1_.private_seg_size, 0
	.set _ZN2at6native12_GLOBAL__N_125multi_tensor_apply_kernelINS1_18TensorListMetadataILi1EEENS0_13LpNormFunctorIdLNS0_8NormTypeE3EN3c104HalfELi1ELi1ELi0EEEJPfiEEEvT_T0_DpT1_.uses_vcc, 1
	.set _ZN2at6native12_GLOBAL__N_125multi_tensor_apply_kernelINS1_18TensorListMetadataILi1EEENS0_13LpNormFunctorIdLNS0_8NormTypeE3EN3c104HalfELi1ELi1ELi0EEEJPfiEEEvT_T0_DpT1_.uses_flat_scratch, 0
	.set _ZN2at6native12_GLOBAL__N_125multi_tensor_apply_kernelINS1_18TensorListMetadataILi1EEENS0_13LpNormFunctorIdLNS0_8NormTypeE3EN3c104HalfELi1ELi1ELi0EEEJPfiEEEvT_T0_DpT1_.has_dyn_sized_stack, 0
	.set _ZN2at6native12_GLOBAL__N_125multi_tensor_apply_kernelINS1_18TensorListMetadataILi1EEENS0_13LpNormFunctorIdLNS0_8NormTypeE3EN3c104HalfELi1ELi1ELi0EEEJPfiEEEvT_T0_DpT1_.has_recursion, 0
	.set _ZN2at6native12_GLOBAL__N_125multi_tensor_apply_kernelINS1_18TensorListMetadataILi1EEENS0_13LpNormFunctorIdLNS0_8NormTypeE3EN3c104HalfELi1ELi1ELi0EEEJPfiEEEvT_T0_DpT1_.has_indirect_call, 0
	.section	.AMDGPU.csdata,"",@progbits
; Kernel info:
; codeLenInByte = 1856
; TotalNumSgprs: 38
; NumVgprs: 22
; NumAgprs: 0
; TotalNumVgprs: 22
; ScratchSize: 0
; MemoryBound: 0
; FloatMode: 240
; IeeeMode: 1
; LDSByteSize: 2048 bytes/workgroup (compile time only)
; SGPRBlocks: 4
; VGPRBlocks: 2
; NumSGPRsForWavesPerEU: 38
; NumVGPRsForWavesPerEU: 22
; AccumOffset: 24
; Occupancy: 8
; WaveLimiterHint : 0
; COMPUTE_PGM_RSRC2:SCRATCH_EN: 0
; COMPUTE_PGM_RSRC2:USER_SGPR: 2
; COMPUTE_PGM_RSRC2:TRAP_HANDLER: 0
; COMPUTE_PGM_RSRC2:TGID_X_EN: 1
; COMPUTE_PGM_RSRC2:TGID_Y_EN: 0
; COMPUTE_PGM_RSRC2:TGID_Z_EN: 0
; COMPUTE_PGM_RSRC2:TIDIG_COMP_CNT: 0
; COMPUTE_PGM_RSRC3_GFX90A:ACCUM_OFFSET: 5
; COMPUTE_PGM_RSRC3_GFX90A:TG_SPLIT: 0
	.section	.text._ZN2at6native14lpnorm_cleanupIdLNS0_8NormTypeE0EN3c104HalfELb1EfEEvPKT3_NS0_19TensorListAddressesEi,"axG",@progbits,_ZN2at6native14lpnorm_cleanupIdLNS0_8NormTypeE0EN3c104HalfELb1EfEEvPKT3_NS0_19TensorListAddressesEi,comdat
	.protected	_ZN2at6native14lpnorm_cleanupIdLNS0_8NormTypeE0EN3c104HalfELb1EfEEvPKT3_NS0_19TensorListAddressesEi ; -- Begin function _ZN2at6native14lpnorm_cleanupIdLNS0_8NormTypeE0EN3c104HalfELb1EfEEvPKT3_NS0_19TensorListAddressesEi
	.globl	_ZN2at6native14lpnorm_cleanupIdLNS0_8NormTypeE0EN3c104HalfELb1EfEEvPKT3_NS0_19TensorListAddressesEi
	.p2align	8
	.type	_ZN2at6native14lpnorm_cleanupIdLNS0_8NormTypeE0EN3c104HalfELb1EfEEvPKT3_NS0_19TensorListAddressesEi,@function
_ZN2at6native14lpnorm_cleanupIdLNS0_8NormTypeE0EN3c104HalfELb1EfEEvPKT3_NS0_19TensorListAddressesEi: ; @_ZN2at6native14lpnorm_cleanupIdLNS0_8NormTypeE0EN3c104HalfELb1EfEEvPKT3_NS0_19TensorListAddressesEi
; %bb.0:
	s_load_dword s6, s[0:1], 0xc88
	v_mov_b32_e32 v1, 0
	s_waitcnt lgkmcnt(0)
	v_cmp_gt_u32_e32 vcc, s6, v0
	s_and_saveexec_b64 s[4:5], vcc
	s_cbranch_execz .LBB40_4
; %bb.1:
	s_load_dwordx2 s[12:13], s[0:1], 0x0
	s_load_dword s3, s[0:1], 0xc9c
	s_mul_i32 s8, s6, s2
	s_mov_b32 s9, 0
	s_ashr_i32 s7, s6, 31
	s_lshl_b64 s[14:15], s[8:9], 2
	s_waitcnt lgkmcnt(0)
	s_and_b32 s10, s3, 0xffff
	v_mov_b32_e32 v1, 0
	s_add_u32 s12, s12, s14
	v_lshlrev_b32_e32 v2, 2, v0
	v_mov_b32_e32 v3, v1
	s_addc_u32 s13, s13, s15
	s_mov_b32 s11, s9
	v_lshl_add_u64 v[2:3], s[12:13], 0, v[2:3]
	s_lshl_b32 s8, s10, 2
	s_mov_b64 s[12:13], 0
	v_mov_b64_e32 v[4:5], v[0:1]
.LBB40_2:                               ; =>This Inner Loop Header: Depth=1
	global_load_dword v6, v[2:3], off
	v_lshl_add_u64 v[4:5], v[4:5], 0, s[10:11]
	v_cmp_le_u64_e32 vcc, s[6:7], v[4:5]
	v_lshl_add_u64 v[2:3], v[2:3], 0, s[8:9]
	s_or_b64 s[12:13], vcc, s[12:13]
	s_waitcnt vmcnt(0)
	v_add_f32_e32 v1, v1, v6
	s_andn2_b64 exec, exec, s[12:13]
	s_cbranch_execnz .LBB40_2
; %bb.3:
	s_or_b64 exec, exec, s[12:13]
.LBB40_4:
	s_or_b64 exec, exec, s[4:5]
	v_mbcnt_lo_u32_b32 v2, -1, 0
	v_mbcnt_hi_u32_b32 v6, -1, v2
	v_mov_b32_e32 v2, 0x80
	v_lshl_or_b32 v2, v6, 2, v2
	ds_bpermute_b32 v3, v2, v1
	v_and_b32_e32 v7, 63, v6
	v_cmp_gt_u32_e32 vcc, 48, v7
	s_waitcnt lgkmcnt(0)
	s_barrier
	v_cndmask_b32_e64 v4, 0, 16, vcc
	v_add_f32_e32 v5, v1, v3
	v_add_lshl_u32 v1, v4, v6, 2
	ds_bpermute_b32 v4, v1, v5
	v_cmp_gt_u32_e32 vcc, 56, v7
	s_waitcnt lgkmcnt(0)
	v_add_f32_e32 v5, v5, v4
	v_cndmask_b32_e64 v3, 0, 8, vcc
	v_add_lshl_u32 v3, v3, v6, 2
	ds_bpermute_b32 v8, v3, v5
	v_cmp_gt_u32_e32 vcc, 60, v7
	s_waitcnt lgkmcnt(0)
	v_add_f32_e32 v8, v5, v8
	v_cndmask_b32_e64 v4, 0, 4, vcc
	;; [unrolled: 6-line block ×3, first 2 shown]
	v_add_lshl_u32 v5, v5, v6, 2
	ds_bpermute_b32 v10, v5, v9
	v_cmp_ne_u32_e32 vcc, 63, v7
	v_and_b32_e32 v8, 63, v0
	s_waitcnt lgkmcnt(0)
	v_add_f32_e32 v7, v9, v10
	v_addc_co_u32_e32 v6, vcc, 0, v6, vcc
	v_lshlrev_b32_e32 v6, 2, v6
	ds_bpermute_b32 v9, v6, v7
	v_cmp_eq_u32_e32 vcc, 0, v8
	s_and_saveexec_b64 s[4:5], vcc
	s_cbranch_execz .LBB40_6
; %bb.5:
	s_waitcnt lgkmcnt(0)
	v_add_f32_e32 v7, v7, v9
	v_lshrrev_b32_e32 v9, 4, v0
	ds_write_b32 v9, v7
.LBB40_6:
	s_or_b64 exec, exec, s[4:5]
	s_waitcnt lgkmcnt(0)
	s_barrier
	s_load_dword s3, s[0:1], 0xc9c
	v_mov_b32_e32 v7, 0
	s_waitcnt lgkmcnt(0)
	s_bfe_u32 s3, s3, 0xa0006
	v_cmp_gt_u32_e32 vcc, s3, v0
	s_and_saveexec_b64 s[4:5], vcc
; %bb.7:
	v_lshlrev_b32_e32 v7, 2, v8
	ds_read_b32 v7, v7
; %bb.8:
	s_or_b64 exec, exec, s[4:5]
	v_cmp_gt_u32_e32 vcc, 64, v0
	s_and_saveexec_b64 s[4:5], vcc
	s_cbranch_execz .LBB40_10
; %bb.9:
	s_waitcnt lgkmcnt(0)
	ds_bpermute_b32 v2, v2, v7
	s_waitcnt lgkmcnt(0)
	v_add_f32_e32 v2, v7, v2
	ds_bpermute_b32 v1, v1, v2
	s_waitcnt lgkmcnt(0)
	v_add_f32_e32 v1, v2, v1
	;; [unrolled: 3-line block ×6, first 2 shown]
.LBB40_10:
	s_or_b64 exec, exec, s[4:5]
	s_mov_b32 s3, 0
	v_cmp_eq_u32_e32 vcc, 0, v0
	s_and_saveexec_b64 s[4:5], vcc
	s_cbranch_execz .LBB40_12
; %bb.11:
	s_lshl_b64 s[2:3], s[2:3], 3
	s_add_u32 s0, s0, s2
	s_addc_u32 s1, s1, s3
	s_load_dwordx2 s[0:1], s[0:1], 0x8
	s_waitcnt lgkmcnt(0)
	v_cvt_f16_f32_e32 v0, v7
	v_mov_b32_e32 v1, 0
	global_store_short v1, v0, s[0:1]
.LBB40_12:
	s_endpgm
	.section	.rodata,"a",@progbits
	.p2align	6, 0x0
	.amdhsa_kernel _ZN2at6native14lpnorm_cleanupIdLNS0_8NormTypeE0EN3c104HalfELb1EfEEvPKT3_NS0_19TensorListAddressesEi
		.amdhsa_group_segment_fixed_size 2048
		.amdhsa_private_segment_fixed_size 0
		.amdhsa_kernarg_size 3472
		.amdhsa_user_sgpr_count 2
		.amdhsa_user_sgpr_dispatch_ptr 0
		.amdhsa_user_sgpr_queue_ptr 0
		.amdhsa_user_sgpr_kernarg_segment_ptr 1
		.amdhsa_user_sgpr_dispatch_id 0
		.amdhsa_user_sgpr_kernarg_preload_length 0
		.amdhsa_user_sgpr_kernarg_preload_offset 0
		.amdhsa_user_sgpr_private_segment_size 0
		.amdhsa_uses_dynamic_stack 0
		.amdhsa_enable_private_segment 0
		.amdhsa_system_sgpr_workgroup_id_x 1
		.amdhsa_system_sgpr_workgroup_id_y 0
		.amdhsa_system_sgpr_workgroup_id_z 0
		.amdhsa_system_sgpr_workgroup_info 0
		.amdhsa_system_vgpr_workitem_id 0
		.amdhsa_next_free_vgpr 11
		.amdhsa_next_free_sgpr 16
		.amdhsa_accum_offset 12
		.amdhsa_reserve_vcc 1
		.amdhsa_float_round_mode_32 0
		.amdhsa_float_round_mode_16_64 0
		.amdhsa_float_denorm_mode_32 3
		.amdhsa_float_denorm_mode_16_64 3
		.amdhsa_dx10_clamp 1
		.amdhsa_ieee_mode 1
		.amdhsa_fp16_overflow 0
		.amdhsa_tg_split 0
		.amdhsa_exception_fp_ieee_invalid_op 0
		.amdhsa_exception_fp_denorm_src 0
		.amdhsa_exception_fp_ieee_div_zero 0
		.amdhsa_exception_fp_ieee_overflow 0
		.amdhsa_exception_fp_ieee_underflow 0
		.amdhsa_exception_fp_ieee_inexact 0
		.amdhsa_exception_int_div_zero 0
	.end_amdhsa_kernel
	.section	.text._ZN2at6native14lpnorm_cleanupIdLNS0_8NormTypeE0EN3c104HalfELb1EfEEvPKT3_NS0_19TensorListAddressesEi,"axG",@progbits,_ZN2at6native14lpnorm_cleanupIdLNS0_8NormTypeE0EN3c104HalfELb1EfEEvPKT3_NS0_19TensorListAddressesEi,comdat
.Lfunc_end40:
	.size	_ZN2at6native14lpnorm_cleanupIdLNS0_8NormTypeE0EN3c104HalfELb1EfEEvPKT3_NS0_19TensorListAddressesEi, .Lfunc_end40-_ZN2at6native14lpnorm_cleanupIdLNS0_8NormTypeE0EN3c104HalfELb1EfEEvPKT3_NS0_19TensorListAddressesEi
                                        ; -- End function
	.set _ZN2at6native14lpnorm_cleanupIdLNS0_8NormTypeE0EN3c104HalfELb1EfEEvPKT3_NS0_19TensorListAddressesEi.num_vgpr, 11
	.set _ZN2at6native14lpnorm_cleanupIdLNS0_8NormTypeE0EN3c104HalfELb1EfEEvPKT3_NS0_19TensorListAddressesEi.num_agpr, 0
	.set _ZN2at6native14lpnorm_cleanupIdLNS0_8NormTypeE0EN3c104HalfELb1EfEEvPKT3_NS0_19TensorListAddressesEi.numbered_sgpr, 16
	.set _ZN2at6native14lpnorm_cleanupIdLNS0_8NormTypeE0EN3c104HalfELb1EfEEvPKT3_NS0_19TensorListAddressesEi.num_named_barrier, 0
	.set _ZN2at6native14lpnorm_cleanupIdLNS0_8NormTypeE0EN3c104HalfELb1EfEEvPKT3_NS0_19TensorListAddressesEi.private_seg_size, 0
	.set _ZN2at6native14lpnorm_cleanupIdLNS0_8NormTypeE0EN3c104HalfELb1EfEEvPKT3_NS0_19TensorListAddressesEi.uses_vcc, 1
	.set _ZN2at6native14lpnorm_cleanupIdLNS0_8NormTypeE0EN3c104HalfELb1EfEEvPKT3_NS0_19TensorListAddressesEi.uses_flat_scratch, 0
	.set _ZN2at6native14lpnorm_cleanupIdLNS0_8NormTypeE0EN3c104HalfELb1EfEEvPKT3_NS0_19TensorListAddressesEi.has_dyn_sized_stack, 0
	.set _ZN2at6native14lpnorm_cleanupIdLNS0_8NormTypeE0EN3c104HalfELb1EfEEvPKT3_NS0_19TensorListAddressesEi.has_recursion, 0
	.set _ZN2at6native14lpnorm_cleanupIdLNS0_8NormTypeE0EN3c104HalfELb1EfEEvPKT3_NS0_19TensorListAddressesEi.has_indirect_call, 0
	.section	.AMDGPU.csdata,"",@progbits
; Kernel info:
; codeLenInByte = 664
; TotalNumSgprs: 22
; NumVgprs: 11
; NumAgprs: 0
; TotalNumVgprs: 11
; ScratchSize: 0
; MemoryBound: 0
; FloatMode: 240
; IeeeMode: 1
; LDSByteSize: 2048 bytes/workgroup (compile time only)
; SGPRBlocks: 2
; VGPRBlocks: 1
; NumSGPRsForWavesPerEU: 22
; NumVGPRsForWavesPerEU: 11
; AccumOffset: 12
; Occupancy: 8
; WaveLimiterHint : 0
; COMPUTE_PGM_RSRC2:SCRATCH_EN: 0
; COMPUTE_PGM_RSRC2:USER_SGPR: 2
; COMPUTE_PGM_RSRC2:TRAP_HANDLER: 0
; COMPUTE_PGM_RSRC2:TGID_X_EN: 1
; COMPUTE_PGM_RSRC2:TGID_Y_EN: 0
; COMPUTE_PGM_RSRC2:TGID_Z_EN: 0
; COMPUTE_PGM_RSRC2:TIDIG_COMP_CNT: 0
; COMPUTE_PGM_RSRC3_GFX90A:ACCUM_OFFSET: 2
; COMPUTE_PGM_RSRC3_GFX90A:TG_SPLIT: 0
	.section	.text._ZN2at6native14lpnorm_cleanupIdLNS0_8NormTypeE1EN3c104HalfELb1EfEEvPKT3_NS0_19TensorListAddressesEi,"axG",@progbits,_ZN2at6native14lpnorm_cleanupIdLNS0_8NormTypeE1EN3c104HalfELb1EfEEvPKT3_NS0_19TensorListAddressesEi,comdat
	.protected	_ZN2at6native14lpnorm_cleanupIdLNS0_8NormTypeE1EN3c104HalfELb1EfEEvPKT3_NS0_19TensorListAddressesEi ; -- Begin function _ZN2at6native14lpnorm_cleanupIdLNS0_8NormTypeE1EN3c104HalfELb1EfEEvPKT3_NS0_19TensorListAddressesEi
	.globl	_ZN2at6native14lpnorm_cleanupIdLNS0_8NormTypeE1EN3c104HalfELb1EfEEvPKT3_NS0_19TensorListAddressesEi
	.p2align	8
	.type	_ZN2at6native14lpnorm_cleanupIdLNS0_8NormTypeE1EN3c104HalfELb1EfEEvPKT3_NS0_19TensorListAddressesEi,@function
_ZN2at6native14lpnorm_cleanupIdLNS0_8NormTypeE1EN3c104HalfELb1EfEEvPKT3_NS0_19TensorListAddressesEi: ; @_ZN2at6native14lpnorm_cleanupIdLNS0_8NormTypeE1EN3c104HalfELb1EfEEvPKT3_NS0_19TensorListAddressesEi
; %bb.0:
	s_load_dword s6, s[0:1], 0xc88
	v_mov_b32_e32 v1, 0
	s_waitcnt lgkmcnt(0)
	v_cmp_gt_u32_e32 vcc, s6, v0
	s_and_saveexec_b64 s[4:5], vcc
	s_cbranch_execz .LBB41_4
; %bb.1:
	s_load_dwordx2 s[12:13], s[0:1], 0x0
	s_load_dword s3, s[0:1], 0xc9c
	s_mul_i32 s8, s6, s2
	s_mov_b32 s9, 0
	s_ashr_i32 s7, s6, 31
	s_lshl_b64 s[14:15], s[8:9], 2
	s_waitcnt lgkmcnt(0)
	s_and_b32 s10, s3, 0xffff
	v_mov_b32_e32 v1, 0
	s_add_u32 s12, s12, s14
	v_lshlrev_b32_e32 v2, 2, v0
	v_mov_b32_e32 v3, v1
	s_addc_u32 s13, s13, s15
	s_mov_b32 s11, s9
	v_lshl_add_u64 v[2:3], s[12:13], 0, v[2:3]
	s_lshl_b32 s8, s10, 2
	s_mov_b64 s[12:13], 0
	v_mov_b64_e32 v[4:5], v[0:1]
.LBB41_2:                               ; =>This Inner Loop Header: Depth=1
	global_load_dword v6, v[2:3], off
	v_lshl_add_u64 v[4:5], v[4:5], 0, s[10:11]
	v_cmp_le_u64_e32 vcc, s[6:7], v[4:5]
	v_lshl_add_u64 v[2:3], v[2:3], 0, s[8:9]
	s_or_b64 s[12:13], vcc, s[12:13]
	s_waitcnt vmcnt(0)
	v_add_f32_e32 v1, v1, v6
	s_andn2_b64 exec, exec, s[12:13]
	s_cbranch_execnz .LBB41_2
; %bb.3:
	s_or_b64 exec, exec, s[12:13]
.LBB41_4:
	s_or_b64 exec, exec, s[4:5]
	v_mbcnt_lo_u32_b32 v2, -1, 0
	v_mbcnt_hi_u32_b32 v6, -1, v2
	v_mov_b32_e32 v2, 0x80
	v_lshl_or_b32 v2, v6, 2, v2
	ds_bpermute_b32 v3, v2, v1
	v_and_b32_e32 v7, 63, v6
	v_cmp_gt_u32_e32 vcc, 48, v7
	s_waitcnt lgkmcnt(0)
	s_barrier
	v_cndmask_b32_e64 v4, 0, 16, vcc
	v_add_f32_e32 v5, v1, v3
	v_add_lshl_u32 v1, v4, v6, 2
	ds_bpermute_b32 v4, v1, v5
	v_cmp_gt_u32_e32 vcc, 56, v7
	s_waitcnt lgkmcnt(0)
	v_add_f32_e32 v5, v5, v4
	v_cndmask_b32_e64 v3, 0, 8, vcc
	v_add_lshl_u32 v3, v3, v6, 2
	ds_bpermute_b32 v8, v3, v5
	v_cmp_gt_u32_e32 vcc, 60, v7
	s_waitcnt lgkmcnt(0)
	v_add_f32_e32 v8, v5, v8
	v_cndmask_b32_e64 v4, 0, 4, vcc
	;; [unrolled: 6-line block ×3, first 2 shown]
	v_add_lshl_u32 v5, v5, v6, 2
	ds_bpermute_b32 v10, v5, v9
	v_cmp_ne_u32_e32 vcc, 63, v7
	v_and_b32_e32 v8, 63, v0
	s_waitcnt lgkmcnt(0)
	v_add_f32_e32 v7, v9, v10
	v_addc_co_u32_e32 v6, vcc, 0, v6, vcc
	v_lshlrev_b32_e32 v6, 2, v6
	ds_bpermute_b32 v9, v6, v7
	v_cmp_eq_u32_e32 vcc, 0, v8
	s_and_saveexec_b64 s[4:5], vcc
	s_cbranch_execz .LBB41_6
; %bb.5:
	s_waitcnt lgkmcnt(0)
	v_add_f32_e32 v7, v7, v9
	v_lshrrev_b32_e32 v9, 4, v0
	ds_write_b32 v9, v7
.LBB41_6:
	s_or_b64 exec, exec, s[4:5]
	s_waitcnt lgkmcnt(0)
	s_barrier
	s_load_dword s3, s[0:1], 0xc9c
	v_mov_b32_e32 v7, 0
	s_waitcnt lgkmcnt(0)
	s_bfe_u32 s3, s3, 0xa0006
	v_cmp_gt_u32_e32 vcc, s3, v0
	s_and_saveexec_b64 s[4:5], vcc
; %bb.7:
	v_lshlrev_b32_e32 v7, 2, v8
	ds_read_b32 v7, v7
; %bb.8:
	s_or_b64 exec, exec, s[4:5]
	v_cmp_gt_u32_e32 vcc, 64, v0
	s_and_saveexec_b64 s[4:5], vcc
	s_cbranch_execz .LBB41_10
; %bb.9:
	s_waitcnt lgkmcnt(0)
	ds_bpermute_b32 v2, v2, v7
	s_waitcnt lgkmcnt(0)
	v_add_f32_e32 v2, v7, v2
	ds_bpermute_b32 v1, v1, v2
	s_waitcnt lgkmcnt(0)
	v_add_f32_e32 v1, v2, v1
	;; [unrolled: 3-line block ×6, first 2 shown]
.LBB41_10:
	s_or_b64 exec, exec, s[4:5]
	s_mov_b32 s3, 0
	v_cmp_eq_u32_e32 vcc, 0, v0
	s_and_saveexec_b64 s[4:5], vcc
	s_cbranch_execz .LBB41_12
; %bb.11:
	s_lshl_b64 s[2:3], s[2:3], 3
	s_add_u32 s0, s0, s2
	s_addc_u32 s1, s1, s3
	s_load_dwordx2 s[0:1], s[0:1], 0x8
	s_waitcnt lgkmcnt(0)
	v_cvt_f16_f32_e32 v0, v7
	v_mov_b32_e32 v1, 0
	global_store_short v1, v0, s[0:1]
.LBB41_12:
	s_endpgm
	.section	.rodata,"a",@progbits
	.p2align	6, 0x0
	.amdhsa_kernel _ZN2at6native14lpnorm_cleanupIdLNS0_8NormTypeE1EN3c104HalfELb1EfEEvPKT3_NS0_19TensorListAddressesEi
		.amdhsa_group_segment_fixed_size 2048
		.amdhsa_private_segment_fixed_size 0
		.amdhsa_kernarg_size 3472
		.amdhsa_user_sgpr_count 2
		.amdhsa_user_sgpr_dispatch_ptr 0
		.amdhsa_user_sgpr_queue_ptr 0
		.amdhsa_user_sgpr_kernarg_segment_ptr 1
		.amdhsa_user_sgpr_dispatch_id 0
		.amdhsa_user_sgpr_kernarg_preload_length 0
		.amdhsa_user_sgpr_kernarg_preload_offset 0
		.amdhsa_user_sgpr_private_segment_size 0
		.amdhsa_uses_dynamic_stack 0
		.amdhsa_enable_private_segment 0
		.amdhsa_system_sgpr_workgroup_id_x 1
		.amdhsa_system_sgpr_workgroup_id_y 0
		.amdhsa_system_sgpr_workgroup_id_z 0
		.amdhsa_system_sgpr_workgroup_info 0
		.amdhsa_system_vgpr_workitem_id 0
		.amdhsa_next_free_vgpr 11
		.amdhsa_next_free_sgpr 16
		.amdhsa_accum_offset 12
		.amdhsa_reserve_vcc 1
		.amdhsa_float_round_mode_32 0
		.amdhsa_float_round_mode_16_64 0
		.amdhsa_float_denorm_mode_32 3
		.amdhsa_float_denorm_mode_16_64 3
		.amdhsa_dx10_clamp 1
		.amdhsa_ieee_mode 1
		.amdhsa_fp16_overflow 0
		.amdhsa_tg_split 0
		.amdhsa_exception_fp_ieee_invalid_op 0
		.amdhsa_exception_fp_denorm_src 0
		.amdhsa_exception_fp_ieee_div_zero 0
		.amdhsa_exception_fp_ieee_overflow 0
		.amdhsa_exception_fp_ieee_underflow 0
		.amdhsa_exception_fp_ieee_inexact 0
		.amdhsa_exception_int_div_zero 0
	.end_amdhsa_kernel
	.section	.text._ZN2at6native14lpnorm_cleanupIdLNS0_8NormTypeE1EN3c104HalfELb1EfEEvPKT3_NS0_19TensorListAddressesEi,"axG",@progbits,_ZN2at6native14lpnorm_cleanupIdLNS0_8NormTypeE1EN3c104HalfELb1EfEEvPKT3_NS0_19TensorListAddressesEi,comdat
.Lfunc_end41:
	.size	_ZN2at6native14lpnorm_cleanupIdLNS0_8NormTypeE1EN3c104HalfELb1EfEEvPKT3_NS0_19TensorListAddressesEi, .Lfunc_end41-_ZN2at6native14lpnorm_cleanupIdLNS0_8NormTypeE1EN3c104HalfELb1EfEEvPKT3_NS0_19TensorListAddressesEi
                                        ; -- End function
	.set _ZN2at6native14lpnorm_cleanupIdLNS0_8NormTypeE1EN3c104HalfELb1EfEEvPKT3_NS0_19TensorListAddressesEi.num_vgpr, 11
	.set _ZN2at6native14lpnorm_cleanupIdLNS0_8NormTypeE1EN3c104HalfELb1EfEEvPKT3_NS0_19TensorListAddressesEi.num_agpr, 0
	.set _ZN2at6native14lpnorm_cleanupIdLNS0_8NormTypeE1EN3c104HalfELb1EfEEvPKT3_NS0_19TensorListAddressesEi.numbered_sgpr, 16
	.set _ZN2at6native14lpnorm_cleanupIdLNS0_8NormTypeE1EN3c104HalfELb1EfEEvPKT3_NS0_19TensorListAddressesEi.num_named_barrier, 0
	.set _ZN2at6native14lpnorm_cleanupIdLNS0_8NormTypeE1EN3c104HalfELb1EfEEvPKT3_NS0_19TensorListAddressesEi.private_seg_size, 0
	.set _ZN2at6native14lpnorm_cleanupIdLNS0_8NormTypeE1EN3c104HalfELb1EfEEvPKT3_NS0_19TensorListAddressesEi.uses_vcc, 1
	.set _ZN2at6native14lpnorm_cleanupIdLNS0_8NormTypeE1EN3c104HalfELb1EfEEvPKT3_NS0_19TensorListAddressesEi.uses_flat_scratch, 0
	.set _ZN2at6native14lpnorm_cleanupIdLNS0_8NormTypeE1EN3c104HalfELb1EfEEvPKT3_NS0_19TensorListAddressesEi.has_dyn_sized_stack, 0
	.set _ZN2at6native14lpnorm_cleanupIdLNS0_8NormTypeE1EN3c104HalfELb1EfEEvPKT3_NS0_19TensorListAddressesEi.has_recursion, 0
	.set _ZN2at6native14lpnorm_cleanupIdLNS0_8NormTypeE1EN3c104HalfELb1EfEEvPKT3_NS0_19TensorListAddressesEi.has_indirect_call, 0
	.section	.AMDGPU.csdata,"",@progbits
; Kernel info:
; codeLenInByte = 664
; TotalNumSgprs: 22
; NumVgprs: 11
; NumAgprs: 0
; TotalNumVgprs: 11
; ScratchSize: 0
; MemoryBound: 0
; FloatMode: 240
; IeeeMode: 1
; LDSByteSize: 2048 bytes/workgroup (compile time only)
; SGPRBlocks: 2
; VGPRBlocks: 1
; NumSGPRsForWavesPerEU: 22
; NumVGPRsForWavesPerEU: 11
; AccumOffset: 12
; Occupancy: 8
; WaveLimiterHint : 0
; COMPUTE_PGM_RSRC2:SCRATCH_EN: 0
; COMPUTE_PGM_RSRC2:USER_SGPR: 2
; COMPUTE_PGM_RSRC2:TRAP_HANDLER: 0
; COMPUTE_PGM_RSRC2:TGID_X_EN: 1
; COMPUTE_PGM_RSRC2:TGID_Y_EN: 0
; COMPUTE_PGM_RSRC2:TGID_Z_EN: 0
; COMPUTE_PGM_RSRC2:TIDIG_COMP_CNT: 0
; COMPUTE_PGM_RSRC3_GFX90A:ACCUM_OFFSET: 2
; COMPUTE_PGM_RSRC3_GFX90A:TG_SPLIT: 0
	.section	.text._ZN2at6native14lpnorm_cleanupIdLNS0_8NormTypeE2EN3c104HalfELb1EfEEvPKT3_NS0_19TensorListAddressesEi,"axG",@progbits,_ZN2at6native14lpnorm_cleanupIdLNS0_8NormTypeE2EN3c104HalfELb1EfEEvPKT3_NS0_19TensorListAddressesEi,comdat
	.protected	_ZN2at6native14lpnorm_cleanupIdLNS0_8NormTypeE2EN3c104HalfELb1EfEEvPKT3_NS0_19TensorListAddressesEi ; -- Begin function _ZN2at6native14lpnorm_cleanupIdLNS0_8NormTypeE2EN3c104HalfELb1EfEEvPKT3_NS0_19TensorListAddressesEi
	.globl	_ZN2at6native14lpnorm_cleanupIdLNS0_8NormTypeE2EN3c104HalfELb1EfEEvPKT3_NS0_19TensorListAddressesEi
	.p2align	8
	.type	_ZN2at6native14lpnorm_cleanupIdLNS0_8NormTypeE2EN3c104HalfELb1EfEEvPKT3_NS0_19TensorListAddressesEi,@function
_ZN2at6native14lpnorm_cleanupIdLNS0_8NormTypeE2EN3c104HalfELb1EfEEvPKT3_NS0_19TensorListAddressesEi: ; @_ZN2at6native14lpnorm_cleanupIdLNS0_8NormTypeE2EN3c104HalfELb1EfEEvPKT3_NS0_19TensorListAddressesEi
; %bb.0:
	s_load_dword s6, s[0:1], 0xc88
	v_mov_b32_e32 v1, 0
	s_waitcnt lgkmcnt(0)
	v_cmp_gt_u32_e32 vcc, s6, v0
	s_and_saveexec_b64 s[4:5], vcc
	s_cbranch_execz .LBB42_4
; %bb.1:
	s_load_dwordx2 s[12:13], s[0:1], 0x0
	s_load_dword s3, s[0:1], 0xc9c
	s_mul_i32 s8, s6, s2
	s_mov_b32 s9, 0
	s_ashr_i32 s7, s6, 31
	s_lshl_b64 s[14:15], s[8:9], 2
	s_waitcnt lgkmcnt(0)
	s_and_b32 s10, s3, 0xffff
	v_mov_b32_e32 v1, 0
	s_add_u32 s12, s12, s14
	v_lshlrev_b32_e32 v2, 2, v0
	v_mov_b32_e32 v3, v1
	s_addc_u32 s13, s13, s15
	s_mov_b32 s11, s9
	v_lshl_add_u64 v[2:3], s[12:13], 0, v[2:3]
	s_lshl_b32 s8, s10, 2
	s_mov_b64 s[12:13], 0
	v_mov_b64_e32 v[4:5], v[0:1]
.LBB42_2:                               ; =>This Inner Loop Header: Depth=1
	global_load_dword v6, v[2:3], off
	v_lshl_add_u64 v[4:5], v[4:5], 0, s[10:11]
	v_cmp_le_u64_e32 vcc, s[6:7], v[4:5]
	v_lshl_add_u64 v[2:3], v[2:3], 0, s[8:9]
	s_or_b64 s[12:13], vcc, s[12:13]
	s_waitcnt vmcnt(0)
	v_add_f32_e32 v1, v1, v6
	s_andn2_b64 exec, exec, s[12:13]
	s_cbranch_execnz .LBB42_2
; %bb.3:
	s_or_b64 exec, exec, s[12:13]
.LBB42_4:
	s_or_b64 exec, exec, s[4:5]
	v_mbcnt_lo_u32_b32 v2, -1, 0
	v_mbcnt_hi_u32_b32 v6, -1, v2
	v_mov_b32_e32 v2, 0x80
	v_lshl_or_b32 v2, v6, 2, v2
	ds_bpermute_b32 v3, v2, v1
	v_and_b32_e32 v7, 63, v6
	v_cmp_gt_u32_e32 vcc, 48, v7
	s_waitcnt lgkmcnt(0)
	s_barrier
	v_cndmask_b32_e64 v4, 0, 16, vcc
	v_add_f32_e32 v5, v1, v3
	v_add_lshl_u32 v1, v4, v6, 2
	ds_bpermute_b32 v4, v1, v5
	v_cmp_gt_u32_e32 vcc, 56, v7
	s_waitcnt lgkmcnt(0)
	v_add_f32_e32 v5, v5, v4
	v_cndmask_b32_e64 v3, 0, 8, vcc
	v_add_lshl_u32 v3, v3, v6, 2
	ds_bpermute_b32 v8, v3, v5
	v_cmp_gt_u32_e32 vcc, 60, v7
	s_waitcnt lgkmcnt(0)
	v_add_f32_e32 v8, v5, v8
	v_cndmask_b32_e64 v4, 0, 4, vcc
	;; [unrolled: 6-line block ×3, first 2 shown]
	v_add_lshl_u32 v5, v5, v6, 2
	ds_bpermute_b32 v10, v5, v9
	v_cmp_ne_u32_e32 vcc, 63, v7
	v_and_b32_e32 v8, 63, v0
	s_waitcnt lgkmcnt(0)
	v_add_f32_e32 v7, v9, v10
	v_addc_co_u32_e32 v6, vcc, 0, v6, vcc
	v_lshlrev_b32_e32 v6, 2, v6
	ds_bpermute_b32 v9, v6, v7
	v_cmp_eq_u32_e32 vcc, 0, v8
	s_and_saveexec_b64 s[4:5], vcc
	s_cbranch_execz .LBB42_6
; %bb.5:
	s_waitcnt lgkmcnt(0)
	v_add_f32_e32 v7, v7, v9
	v_lshrrev_b32_e32 v9, 4, v0
	ds_write_b32 v9, v7
.LBB42_6:
	s_or_b64 exec, exec, s[4:5]
	s_waitcnt lgkmcnt(0)
	s_barrier
	s_load_dword s3, s[0:1], 0xc9c
	v_mov_b32_e32 v7, 0
	s_waitcnt lgkmcnt(0)
	s_bfe_u32 s3, s3, 0xa0006
	v_cmp_gt_u32_e32 vcc, s3, v0
	s_and_saveexec_b64 s[4:5], vcc
; %bb.7:
	v_lshlrev_b32_e32 v7, 2, v8
	ds_read_b32 v7, v7
; %bb.8:
	s_or_b64 exec, exec, s[4:5]
	v_cmp_gt_u32_e32 vcc, 64, v0
	s_and_saveexec_b64 s[4:5], vcc
	s_cbranch_execz .LBB42_10
; %bb.9:
	s_waitcnt lgkmcnt(0)
	ds_bpermute_b32 v2, v2, v7
	s_waitcnt lgkmcnt(0)
	v_add_f32_e32 v2, v7, v2
	ds_bpermute_b32 v1, v1, v2
	s_waitcnt lgkmcnt(0)
	v_add_f32_e32 v1, v2, v1
	;; [unrolled: 3-line block ×6, first 2 shown]
.LBB42_10:
	s_or_b64 exec, exec, s[4:5]
	s_mov_b32 s3, 0
	v_cmp_eq_u32_e32 vcc, 0, v0
	s_and_saveexec_b64 s[4:5], vcc
	s_cbranch_execz .LBB42_12
; %bb.11:
	s_mov_b32 s4, 0xf800000
	s_waitcnt lgkmcnt(0)
	v_mul_f32_e32 v0, 0x4f800000, v7
	v_cmp_gt_f32_e32 vcc, s4, v7
	s_lshl_b64 s[2:3], s[2:3], 3
	s_add_u32 s2, s0, s2
	v_cndmask_b32_e32 v0, v7, v0, vcc
	v_sqrt_f32_e32 v1, v0
	s_addc_u32 s3, s1, s3
	v_add_u32_e32 v2, -1, v1
	v_fma_f32 v3, -v2, v1, v0
	v_cmp_ge_f32_e64 s[0:1], 0, v3
	v_add_u32_e32 v3, 1, v1
	s_nop 0
	v_cndmask_b32_e64 v2, v1, v2, s[0:1]
	v_fma_f32 v1, -v3, v1, v0
	v_cmp_lt_f32_e64 s[0:1], 0, v1
	s_nop 1
	v_cndmask_b32_e64 v1, v2, v3, s[0:1]
	v_mul_f32_e32 v2, 0x37800000, v1
	v_cndmask_b32_e32 v1, v1, v2, vcc
	v_mov_b32_e32 v2, 0x260
	v_cmp_class_f32_e32 vcc, v0, v2
	s_load_dwordx2 s[0:1], s[2:3], 0x8
	s_nop 0
	v_cndmask_b32_e32 v0, v1, v0, vcc
	v_cvt_f16_f32_e32 v0, v0
	v_mov_b32_e32 v1, 0
	s_waitcnt lgkmcnt(0)
	global_store_short v1, v0, s[0:1]
.LBB42_12:
	s_endpgm
	.section	.rodata,"a",@progbits
	.p2align	6, 0x0
	.amdhsa_kernel _ZN2at6native14lpnorm_cleanupIdLNS0_8NormTypeE2EN3c104HalfELb1EfEEvPKT3_NS0_19TensorListAddressesEi
		.amdhsa_group_segment_fixed_size 2048
		.amdhsa_private_segment_fixed_size 0
		.amdhsa_kernarg_size 3472
		.amdhsa_user_sgpr_count 2
		.amdhsa_user_sgpr_dispatch_ptr 0
		.amdhsa_user_sgpr_queue_ptr 0
		.amdhsa_user_sgpr_kernarg_segment_ptr 1
		.amdhsa_user_sgpr_dispatch_id 0
		.amdhsa_user_sgpr_kernarg_preload_length 0
		.amdhsa_user_sgpr_kernarg_preload_offset 0
		.amdhsa_user_sgpr_private_segment_size 0
		.amdhsa_uses_dynamic_stack 0
		.amdhsa_enable_private_segment 0
		.amdhsa_system_sgpr_workgroup_id_x 1
		.amdhsa_system_sgpr_workgroup_id_y 0
		.amdhsa_system_sgpr_workgroup_id_z 0
		.amdhsa_system_sgpr_workgroup_info 0
		.amdhsa_system_vgpr_workitem_id 0
		.amdhsa_next_free_vgpr 11
		.amdhsa_next_free_sgpr 16
		.amdhsa_accum_offset 12
		.amdhsa_reserve_vcc 1
		.amdhsa_float_round_mode_32 0
		.amdhsa_float_round_mode_16_64 0
		.amdhsa_float_denorm_mode_32 3
		.amdhsa_float_denorm_mode_16_64 3
		.amdhsa_dx10_clamp 1
		.amdhsa_ieee_mode 1
		.amdhsa_fp16_overflow 0
		.amdhsa_tg_split 0
		.amdhsa_exception_fp_ieee_invalid_op 0
		.amdhsa_exception_fp_denorm_src 0
		.amdhsa_exception_fp_ieee_div_zero 0
		.amdhsa_exception_fp_ieee_overflow 0
		.amdhsa_exception_fp_ieee_underflow 0
		.amdhsa_exception_fp_ieee_inexact 0
		.amdhsa_exception_int_div_zero 0
	.end_amdhsa_kernel
	.section	.text._ZN2at6native14lpnorm_cleanupIdLNS0_8NormTypeE2EN3c104HalfELb1EfEEvPKT3_NS0_19TensorListAddressesEi,"axG",@progbits,_ZN2at6native14lpnorm_cleanupIdLNS0_8NormTypeE2EN3c104HalfELb1EfEEvPKT3_NS0_19TensorListAddressesEi,comdat
.Lfunc_end42:
	.size	_ZN2at6native14lpnorm_cleanupIdLNS0_8NormTypeE2EN3c104HalfELb1EfEEvPKT3_NS0_19TensorListAddressesEi, .Lfunc_end42-_ZN2at6native14lpnorm_cleanupIdLNS0_8NormTypeE2EN3c104HalfELb1EfEEvPKT3_NS0_19TensorListAddressesEi
                                        ; -- End function
	.set _ZN2at6native14lpnorm_cleanupIdLNS0_8NormTypeE2EN3c104HalfELb1EfEEvPKT3_NS0_19TensorListAddressesEi.num_vgpr, 11
	.set _ZN2at6native14lpnorm_cleanupIdLNS0_8NormTypeE2EN3c104HalfELb1EfEEvPKT3_NS0_19TensorListAddressesEi.num_agpr, 0
	.set _ZN2at6native14lpnorm_cleanupIdLNS0_8NormTypeE2EN3c104HalfELb1EfEEvPKT3_NS0_19TensorListAddressesEi.numbered_sgpr, 16
	.set _ZN2at6native14lpnorm_cleanupIdLNS0_8NormTypeE2EN3c104HalfELb1EfEEvPKT3_NS0_19TensorListAddressesEi.num_named_barrier, 0
	.set _ZN2at6native14lpnorm_cleanupIdLNS0_8NormTypeE2EN3c104HalfELb1EfEEvPKT3_NS0_19TensorListAddressesEi.private_seg_size, 0
	.set _ZN2at6native14lpnorm_cleanupIdLNS0_8NormTypeE2EN3c104HalfELb1EfEEvPKT3_NS0_19TensorListAddressesEi.uses_vcc, 1
	.set _ZN2at6native14lpnorm_cleanupIdLNS0_8NormTypeE2EN3c104HalfELb1EfEEvPKT3_NS0_19TensorListAddressesEi.uses_flat_scratch, 0
	.set _ZN2at6native14lpnorm_cleanupIdLNS0_8NormTypeE2EN3c104HalfELb1EfEEvPKT3_NS0_19TensorListAddressesEi.has_dyn_sized_stack, 0
	.set _ZN2at6native14lpnorm_cleanupIdLNS0_8NormTypeE2EN3c104HalfELb1EfEEvPKT3_NS0_19TensorListAddressesEi.has_recursion, 0
	.set _ZN2at6native14lpnorm_cleanupIdLNS0_8NormTypeE2EN3c104HalfELb1EfEEvPKT3_NS0_19TensorListAddressesEi.has_indirect_call, 0
	.section	.AMDGPU.csdata,"",@progbits
; Kernel info:
; codeLenInByte = 792
; TotalNumSgprs: 22
; NumVgprs: 11
; NumAgprs: 0
; TotalNumVgprs: 11
; ScratchSize: 0
; MemoryBound: 0
; FloatMode: 240
; IeeeMode: 1
; LDSByteSize: 2048 bytes/workgroup (compile time only)
; SGPRBlocks: 2
; VGPRBlocks: 1
; NumSGPRsForWavesPerEU: 22
; NumVGPRsForWavesPerEU: 11
; AccumOffset: 12
; Occupancy: 8
; WaveLimiterHint : 0
; COMPUTE_PGM_RSRC2:SCRATCH_EN: 0
; COMPUTE_PGM_RSRC2:USER_SGPR: 2
; COMPUTE_PGM_RSRC2:TRAP_HANDLER: 0
; COMPUTE_PGM_RSRC2:TGID_X_EN: 1
; COMPUTE_PGM_RSRC2:TGID_Y_EN: 0
; COMPUTE_PGM_RSRC2:TGID_Z_EN: 0
; COMPUTE_PGM_RSRC2:TIDIG_COMP_CNT: 0
; COMPUTE_PGM_RSRC3_GFX90A:ACCUM_OFFSET: 2
; COMPUTE_PGM_RSRC3_GFX90A:TG_SPLIT: 0
	.section	.text._ZN2at6native14lpnorm_cleanupIdLNS0_8NormTypeE3EN3c104HalfELb1EfEEvPKT3_NS0_19TensorListAddressesEi,"axG",@progbits,_ZN2at6native14lpnorm_cleanupIdLNS0_8NormTypeE3EN3c104HalfELb1EfEEvPKT3_NS0_19TensorListAddressesEi,comdat
	.protected	_ZN2at6native14lpnorm_cleanupIdLNS0_8NormTypeE3EN3c104HalfELb1EfEEvPKT3_NS0_19TensorListAddressesEi ; -- Begin function _ZN2at6native14lpnorm_cleanupIdLNS0_8NormTypeE3EN3c104HalfELb1EfEEvPKT3_NS0_19TensorListAddressesEi
	.globl	_ZN2at6native14lpnorm_cleanupIdLNS0_8NormTypeE3EN3c104HalfELb1EfEEvPKT3_NS0_19TensorListAddressesEi
	.p2align	8
	.type	_ZN2at6native14lpnorm_cleanupIdLNS0_8NormTypeE3EN3c104HalfELb1EfEEvPKT3_NS0_19TensorListAddressesEi,@function
_ZN2at6native14lpnorm_cleanupIdLNS0_8NormTypeE3EN3c104HalfELb1EfEEvPKT3_NS0_19TensorListAddressesEi: ; @_ZN2at6native14lpnorm_cleanupIdLNS0_8NormTypeE3EN3c104HalfELb1EfEEvPKT3_NS0_19TensorListAddressesEi
; %bb.0:
	s_load_dword s10, s[0:1], 0xc88
	v_mov_b32_e32 v1, 0
	s_waitcnt lgkmcnt(0)
	v_cmp_gt_u32_e32 vcc, s10, v0
	s_and_saveexec_b64 s[8:9], vcc
	s_cbranch_execz .LBB43_4
; %bb.1:
	s_load_dwordx2 s[4:5], s[0:1], 0x0
	s_load_dword s3, s[0:1], 0xc9c
	s_mul_i32 s12, s10, s2
	s_mov_b32 s13, 0
	s_ashr_i32 s11, s10, 31
	s_lshl_b64 s[6:7], s[12:13], 2
	s_waitcnt lgkmcnt(0)
	s_and_b32 s14, s3, 0xffff
	v_mov_b32_e32 v1, 0
	s_add_u32 s4, s4, s6
	v_lshlrev_b32_e32 v2, 2, v0
	v_mov_b32_e32 v3, v1
	s_addc_u32 s5, s5, s7
	s_mov_b32 s15, s13
	v_lshl_add_u64 v[2:3], s[4:5], 0, v[2:3]
	s_lshl_b32 s12, s14, 2
	s_mov_b64 s[16:17], 0
	v_mov_b64_e32 v[4:5], v[0:1]
.LBB43_2:                               ; =>This Inner Loop Header: Depth=1
	global_load_dword v6, v[2:3], off
	v_lshl_add_u64 v[4:5], v[4:5], 0, s[14:15]
	v_cmp_le_u64_e32 vcc, s[10:11], v[4:5]
	v_lshl_add_u64 v[2:3], v[2:3], 0, s[12:13]
	s_waitcnt vmcnt(0)
	v_cmp_u_f32_e64 s[4:5], v6, v6
	v_cmp_lt_f32_e64 s[6:7], v1, v6
	s_or_b64 s[4:5], s[4:5], s[6:7]
	s_or_b64 s[16:17], vcc, s[16:17]
	v_cndmask_b32_e64 v1, v1, v6, s[4:5]
	s_andn2_b64 exec, exec, s[16:17]
	s_cbranch_execnz .LBB43_2
; %bb.3:
	s_or_b64 exec, exec, s[16:17]
.LBB43_4:
	s_or_b64 exec, exec, s[8:9]
	v_mbcnt_lo_u32_b32 v2, -1, 0
	v_mbcnt_hi_u32_b32 v6, -1, v2
	v_mov_b32_e32 v2, 0x80
	v_lshl_or_b32 v2, v6, 2, v2
	ds_bpermute_b32 v3, v2, v1
	v_and_b32_e32 v9, 63, v6
	v_and_b32_e32 v8, 63, v0
	s_waitcnt lgkmcnt(0)
	s_barrier
	v_cmp_u_f32_e32 vcc, v3, v3
	v_cmp_lt_f32_e64 s[4:5], v1, v3
	s_or_b64 vcc, vcc, s[4:5]
	v_cndmask_b32_e32 v3, v1, v3, vcc
	v_cmp_gt_u32_e32 vcc, 48, v9
	s_nop 1
	v_cndmask_b32_e64 v1, 0, 16, vcc
	v_add_lshl_u32 v1, v1, v6, 2
	ds_bpermute_b32 v4, v1, v3
	s_waitcnt lgkmcnt(0)
	v_cmp_u_f32_e32 vcc, v4, v4
	v_cmp_lt_f32_e64 s[4:5], v3, v4
	s_or_b64 vcc, vcc, s[4:5]
	v_cndmask_b32_e32 v4, v3, v4, vcc
	v_cmp_gt_u32_e32 vcc, 56, v9
	s_nop 1
	v_cndmask_b32_e64 v3, 0, 8, vcc
	v_add_lshl_u32 v3, v3, v6, 2
	ds_bpermute_b32 v5, v3, v4
	s_waitcnt lgkmcnt(0)
	v_cmp_u_f32_e32 vcc, v5, v5
	v_cmp_lt_f32_e64 s[4:5], v4, v5
	s_or_b64 vcc, vcc, s[4:5]
	v_cndmask_b32_e32 v5, v4, v5, vcc
	v_cmp_gt_u32_e32 vcc, 60, v9
	s_nop 1
	v_cndmask_b32_e64 v4, 0, 4, vcc
	v_add_lshl_u32 v4, v4, v6, 2
	ds_bpermute_b32 v7, v4, v5
	s_waitcnt lgkmcnt(0)
	v_cmp_u_f32_e32 vcc, v7, v7
	v_cmp_lt_f32_e64 s[4:5], v5, v7
	s_or_b64 vcc, vcc, s[4:5]
	v_cndmask_b32_e32 v7, v5, v7, vcc
	v_cmp_gt_u32_e32 vcc, 62, v9
	s_nop 1
	v_cndmask_b32_e64 v5, 0, 2, vcc
	v_add_lshl_u32 v5, v5, v6, 2
	ds_bpermute_b32 v10, v5, v7
	s_waitcnt lgkmcnt(0)
	v_cmp_u_f32_e32 vcc, v10, v10
	v_cmp_lt_f32_e64 s[4:5], v7, v10
	s_or_b64 vcc, vcc, s[4:5]
	v_cndmask_b32_e32 v7, v7, v10, vcc
	v_cmp_ne_u32_e32 vcc, 63, v9
	s_nop 1
	v_addc_co_u32_e32 v6, vcc, 0, v6, vcc
	v_lshlrev_b32_e32 v6, 2, v6
	ds_bpermute_b32 v9, v6, v7
	v_cmp_eq_u32_e32 vcc, 0, v8
	s_and_saveexec_b64 s[6:7], vcc
	s_cbranch_execz .LBB43_6
; %bb.5:
	s_waitcnt lgkmcnt(0)
	v_cmp_u_f32_e32 vcc, v9, v9
	v_cmp_lt_f32_e64 s[4:5], v7, v9
	s_or_b64 vcc, vcc, s[4:5]
	v_cndmask_b32_e32 v7, v7, v9, vcc
	v_lshrrev_b32_e32 v9, 4, v0
	ds_write_b32 v9, v7
.LBB43_6:
	s_or_b64 exec, exec, s[6:7]
	s_waitcnt lgkmcnt(0)
	s_barrier
	s_load_dword s3, s[0:1], 0xc9c
	v_mov_b32_e32 v7, 0xff7fffff
	s_waitcnt lgkmcnt(0)
	s_bfe_u32 s3, s3, 0xa0006
	v_cmp_gt_u32_e32 vcc, s3, v0
	s_and_saveexec_b64 s[4:5], vcc
; %bb.7:
	v_lshlrev_b32_e32 v7, 2, v8
	ds_read_b32 v7, v7
; %bb.8:
	s_or_b64 exec, exec, s[4:5]
	v_cmp_gt_u32_e32 vcc, 64, v0
	s_and_saveexec_b64 s[6:7], vcc
	s_cbranch_execz .LBB43_10
; %bb.9:
	s_waitcnt lgkmcnt(0)
	ds_bpermute_b32 v2, v2, v7
	s_waitcnt lgkmcnt(0)
	v_cmp_u_f32_e32 vcc, v2, v2
	v_cmp_lt_f32_e64 s[4:5], v7, v2
	s_or_b64 vcc, vcc, s[4:5]
	v_cndmask_b32_e32 v2, v7, v2, vcc
	ds_bpermute_b32 v1, v1, v2
	s_waitcnt lgkmcnt(0)
	v_cmp_u_f32_e32 vcc, v1, v1
	v_cmp_lt_f32_e64 s[4:5], v2, v1
	s_or_b64 vcc, vcc, s[4:5]
	v_cndmask_b32_e32 v1, v2, v1, vcc
	;; [unrolled: 6-line block ×6, first 2 shown]
.LBB43_10:
	s_or_b64 exec, exec, s[6:7]
	s_mov_b32 s3, 0
	v_cmp_eq_u32_e32 vcc, 0, v0
	s_and_saveexec_b64 s[4:5], vcc
	s_cbranch_execz .LBB43_12
; %bb.11:
	s_lshl_b64 s[2:3], s[2:3], 3
	s_add_u32 s0, s0, s2
	s_addc_u32 s1, s1, s3
	s_load_dwordx2 s[0:1], s[0:1], 0x8
	s_waitcnt lgkmcnt(0)
	v_cvt_f16_f32_e32 v0, v7
	v_mov_b32_e32 v1, 0
	global_store_short v1, v0, s[0:1]
.LBB43_12:
	s_endpgm
	.section	.rodata,"a",@progbits
	.p2align	6, 0x0
	.amdhsa_kernel _ZN2at6native14lpnorm_cleanupIdLNS0_8NormTypeE3EN3c104HalfELb1EfEEvPKT3_NS0_19TensorListAddressesEi
		.amdhsa_group_segment_fixed_size 2048
		.amdhsa_private_segment_fixed_size 0
		.amdhsa_kernarg_size 3472
		.amdhsa_user_sgpr_count 2
		.amdhsa_user_sgpr_dispatch_ptr 0
		.amdhsa_user_sgpr_queue_ptr 0
		.amdhsa_user_sgpr_kernarg_segment_ptr 1
		.amdhsa_user_sgpr_dispatch_id 0
		.amdhsa_user_sgpr_kernarg_preload_length 0
		.amdhsa_user_sgpr_kernarg_preload_offset 0
		.amdhsa_user_sgpr_private_segment_size 0
		.amdhsa_uses_dynamic_stack 0
		.amdhsa_enable_private_segment 0
		.amdhsa_system_sgpr_workgroup_id_x 1
		.amdhsa_system_sgpr_workgroup_id_y 0
		.amdhsa_system_sgpr_workgroup_id_z 0
		.amdhsa_system_sgpr_workgroup_info 0
		.amdhsa_system_vgpr_workitem_id 0
		.amdhsa_next_free_vgpr 11
		.amdhsa_next_free_sgpr 18
		.amdhsa_accum_offset 12
		.amdhsa_reserve_vcc 1
		.amdhsa_float_round_mode_32 0
		.amdhsa_float_round_mode_16_64 0
		.amdhsa_float_denorm_mode_32 3
		.amdhsa_float_denorm_mode_16_64 3
		.amdhsa_dx10_clamp 1
		.amdhsa_ieee_mode 1
		.amdhsa_fp16_overflow 0
		.amdhsa_tg_split 0
		.amdhsa_exception_fp_ieee_invalid_op 0
		.amdhsa_exception_fp_denorm_src 0
		.amdhsa_exception_fp_ieee_div_zero 0
		.amdhsa_exception_fp_ieee_overflow 0
		.amdhsa_exception_fp_ieee_underflow 0
		.amdhsa_exception_fp_ieee_inexact 0
		.amdhsa_exception_int_div_zero 0
	.end_amdhsa_kernel
	.section	.text._ZN2at6native14lpnorm_cleanupIdLNS0_8NormTypeE3EN3c104HalfELb1EfEEvPKT3_NS0_19TensorListAddressesEi,"axG",@progbits,_ZN2at6native14lpnorm_cleanupIdLNS0_8NormTypeE3EN3c104HalfELb1EfEEvPKT3_NS0_19TensorListAddressesEi,comdat
.Lfunc_end43:
	.size	_ZN2at6native14lpnorm_cleanupIdLNS0_8NormTypeE3EN3c104HalfELb1EfEEvPKT3_NS0_19TensorListAddressesEi, .Lfunc_end43-_ZN2at6native14lpnorm_cleanupIdLNS0_8NormTypeE3EN3c104HalfELb1EfEEvPKT3_NS0_19TensorListAddressesEi
                                        ; -- End function
	.set _ZN2at6native14lpnorm_cleanupIdLNS0_8NormTypeE3EN3c104HalfELb1EfEEvPKT3_NS0_19TensorListAddressesEi.num_vgpr, 11
	.set _ZN2at6native14lpnorm_cleanupIdLNS0_8NormTypeE3EN3c104HalfELb1EfEEvPKT3_NS0_19TensorListAddressesEi.num_agpr, 0
	.set _ZN2at6native14lpnorm_cleanupIdLNS0_8NormTypeE3EN3c104HalfELb1EfEEvPKT3_NS0_19TensorListAddressesEi.numbered_sgpr, 18
	.set _ZN2at6native14lpnorm_cleanupIdLNS0_8NormTypeE3EN3c104HalfELb1EfEEvPKT3_NS0_19TensorListAddressesEi.num_named_barrier, 0
	.set _ZN2at6native14lpnorm_cleanupIdLNS0_8NormTypeE3EN3c104HalfELb1EfEEvPKT3_NS0_19TensorListAddressesEi.private_seg_size, 0
	.set _ZN2at6native14lpnorm_cleanupIdLNS0_8NormTypeE3EN3c104HalfELb1EfEEvPKT3_NS0_19TensorListAddressesEi.uses_vcc, 1
	.set _ZN2at6native14lpnorm_cleanupIdLNS0_8NormTypeE3EN3c104HalfELb1EfEEvPKT3_NS0_19TensorListAddressesEi.uses_flat_scratch, 0
	.set _ZN2at6native14lpnorm_cleanupIdLNS0_8NormTypeE3EN3c104HalfELb1EfEEvPKT3_NS0_19TensorListAddressesEi.has_dyn_sized_stack, 0
	.set _ZN2at6native14lpnorm_cleanupIdLNS0_8NormTypeE3EN3c104HalfELb1EfEEvPKT3_NS0_19TensorListAddressesEi.has_recursion, 0
	.set _ZN2at6native14lpnorm_cleanupIdLNS0_8NormTypeE3EN3c104HalfELb1EfEEvPKT3_NS0_19TensorListAddressesEi.has_indirect_call, 0
	.section	.AMDGPU.csdata,"",@progbits
; Kernel info:
; codeLenInByte = 904
; TotalNumSgprs: 24
; NumVgprs: 11
; NumAgprs: 0
; TotalNumVgprs: 11
; ScratchSize: 0
; MemoryBound: 0
; FloatMode: 240
; IeeeMode: 1
; LDSByteSize: 2048 bytes/workgroup (compile time only)
; SGPRBlocks: 2
; VGPRBlocks: 1
; NumSGPRsForWavesPerEU: 24
; NumVGPRsForWavesPerEU: 11
; AccumOffset: 12
; Occupancy: 8
; WaveLimiterHint : 0
; COMPUTE_PGM_RSRC2:SCRATCH_EN: 0
; COMPUTE_PGM_RSRC2:USER_SGPR: 2
; COMPUTE_PGM_RSRC2:TRAP_HANDLER: 0
; COMPUTE_PGM_RSRC2:TGID_X_EN: 1
; COMPUTE_PGM_RSRC2:TGID_Y_EN: 0
; COMPUTE_PGM_RSRC2:TGID_Z_EN: 0
; COMPUTE_PGM_RSRC2:TIDIG_COMP_CNT: 0
; COMPUTE_PGM_RSRC3_GFX90A:ACCUM_OFFSET: 2
; COMPUTE_PGM_RSRC3_GFX90A:TG_SPLIT: 0
	.section	.text._ZN2at6native12_GLOBAL__N_125multi_tensor_apply_kernelINS1_18TensorListMetadataILi1EEENS0_13LpNormFunctorIdLNS0_8NormTypeE0EN3c108BFloat16ELi1ELi1ELi0EEEJPfiEEEvT_T0_DpT1_,"axG",@progbits,_ZN2at6native12_GLOBAL__N_125multi_tensor_apply_kernelINS1_18TensorListMetadataILi1EEENS0_13LpNormFunctorIdLNS0_8NormTypeE0EN3c108BFloat16ELi1ELi1ELi0EEEJPfiEEEvT_T0_DpT1_,comdat
	.globl	_ZN2at6native12_GLOBAL__N_125multi_tensor_apply_kernelINS1_18TensorListMetadataILi1EEENS0_13LpNormFunctorIdLNS0_8NormTypeE0EN3c108BFloat16ELi1ELi1ELi0EEEJPfiEEEvT_T0_DpT1_ ; -- Begin function _ZN2at6native12_GLOBAL__N_125multi_tensor_apply_kernelINS1_18TensorListMetadataILi1EEENS0_13LpNormFunctorIdLNS0_8NormTypeE0EN3c108BFloat16ELi1ELi1ELi0EEEJPfiEEEvT_T0_DpT1_
	.p2align	8
	.type	_ZN2at6native12_GLOBAL__N_125multi_tensor_apply_kernelINS1_18TensorListMetadataILi1EEENS0_13LpNormFunctorIdLNS0_8NormTypeE0EN3c108BFloat16ELi1ELi1ELi0EEEJPfiEEEvT_T0_DpT1_,@function
_ZN2at6native12_GLOBAL__N_125multi_tensor_apply_kernelINS1_18TensorListMetadataILi1EEENS0_13LpNormFunctorIdLNS0_8NormTypeE0EN3c108BFloat16ELi1ELi1ELi0EEEJPfiEEEvT_T0_DpT1_: ; @_ZN2at6native12_GLOBAL__N_125multi_tensor_apply_kernelINS1_18TensorListMetadataILi1EEENS0_13LpNormFunctorIdLNS0_8NormTypeE0EN3c108BFloat16ELi1ELi1ELi0EEEJPfiEEEvT_T0_DpT1_
; %bb.0:
	v_mov_b32_e32 v1, s2
	global_load_ubyte v1, v1, s[0:1] offset:1760
	s_add_u32 s3, s0, s2
	s_mul_hi_u32 s4, s2, 3
	s_mul_i32 s2, s2, 3
	s_addc_u32 s5, s1, 0
	s_add_u32 s2, s3, s2
	s_addc_u32 s3, s5, s4
	s_load_dword s4, s[2:3], 0x820
	s_mov_b32 s15, 0
	s_waitcnt vmcnt(0)
	v_readfirstlane_b32 s2, v1
	s_and_b32 s16, s2, 0xff
	s_lshl_b32 s5, s16, 3
	s_load_dwordx2 s[2:3], s[0:1], s5 offset:0x370
	s_load_dwordx2 s[6:7], s[0:1], s5 offset:0x0
	s_waitcnt lgkmcnt(0)
	s_ashr_i32 s5, s4, 31
	s_lshl_b64 s[10:11], s[4:5], 16
	s_lshl_b64 s[8:9], s[4:5], 19
	s_add_u32 s12, s6, s8
	s_addc_u32 s13, s7, s9
	s_sub_u32 s10, s2, s10
	s_subb_u32 s11, s3, s11
	s_and_b32 s14, s2, 3
	s_and_b32 s2, s12, 31
	s_mov_b32 s3, s15
	s_or_b64 s[2:3], s[14:15], s[2:3]
	s_cmp_eq_u64 s[2:3], 0
	s_cbranch_scc1 .LBB44_12
; %bb.1:
	v_cmp_lt_i64_e64 s[2:3], s[10:11], 1
	s_and_b64 vcc, exec, s[2:3]
	s_cbranch_vccnz .LBB44_13
; %bb.2:
	s_load_dword s14, s[0:1], 0xd4c
	v_mov_b64_e32 v[2:3], 0x10000
	v_cmp_lt_i64_e32 vcc, s[10:11], v[2:3]
	s_and_b64 s[2:3], vcc, exec
	v_mov_b32_e32 v7, 0
	s_cselect_b32 s3, s11, 0
	s_cselect_b32 s2, s10, 0x10000
	s_waitcnt lgkmcnt(0)
	s_and_b32 s18, s14, 0xffff
	v_mov_b32_e32 v6, v7
	v_mad_u64_u32 v[12:13], s[14:15], s18, 3, v[0:1]
	v_mov_b32_e32 v8, v7
	v_mov_b32_e32 v9, v7
	v_mov_b64_e32 v[2:3], v[6:7]
	s_mov_b32 s5, 0x10000
	s_lshl_b32 s17, s18, 2
	v_lshl_add_u32 v10, s18, 1, v0
	v_add_u32_e32 v14, s18, v0
	s_mov_b64 s[14:15], 0
	v_mov_b64_e32 v[16:17], s[2:3]
	v_mov_b64_e32 v[4:5], v[8:9]
	s_branch .LBB44_4
.LBB44_3:                               ;   in Loop: Header=BB44_4 Depth=1
	s_or_b64 exec, exec, s[2:3]
	s_add_u32 s14, s14, s17
	s_addc_u32 s15, s15, 0
	v_cmp_lt_i64_e32 vcc, s[14:15], v[16:17]
	s_cbranch_vccz .LBB44_14
.LBB44_4:                               ; =>This Inner Loop Header: Depth=1
	v_add_u32_e32 v6, s14, v0
	v_cmp_gt_i64_e32 vcc, s[10:11], v[6:7]
	v_cmp_gt_u32_e64 s[2:3], s5, v6
	s_and_b64 s[18:19], s[2:3], vcc
	s_and_saveexec_b64 s[2:3], s[18:19]
	s_cbranch_execz .LBB44_6
; %bb.5:                                ;   in Loop: Header=BB44_4 Depth=1
	v_lshl_add_u64 v[8:9], v[6:7], 3, s[12:13]
	global_load_dwordx2 v[8:9], v[8:9], off
	s_waitcnt vmcnt(0)
	v_cvt_f32_f64_e32 v1, v[8:9]
	v_cmp_neq_f32_e32 vcc, 0, v1
	s_nop 1
	v_cndmask_b32_e64 v1, 0, 1.0, vcc
	v_add_f32_e32 v2, v2, v1
.LBB44_6:                               ;   in Loop: Header=BB44_4 Depth=1
	s_or_b64 exec, exec, s[2:3]
	v_add_u32_e32 v6, s14, v14
	v_cmp_gt_i64_e32 vcc, s[10:11], v[6:7]
	v_cmp_gt_u32_e64 s[2:3], s5, v6
	s_and_b64 s[18:19], s[2:3], vcc
	s_and_saveexec_b64 s[2:3], s[18:19]
	s_cbranch_execz .LBB44_8
; %bb.7:                                ;   in Loop: Header=BB44_4 Depth=1
	v_lshl_add_u64 v[8:9], v[6:7], 3, s[12:13]
	global_load_dwordx2 v[8:9], v[8:9], off
	s_waitcnt vmcnt(0)
	v_cvt_f32_f64_e32 v1, v[8:9]
	v_cmp_neq_f32_e32 vcc, 0, v1
	s_nop 1
	v_cndmask_b32_e64 v1, 0, 1.0, vcc
	v_add_f32_e32 v3, v3, v1
.LBB44_8:                               ;   in Loop: Header=BB44_4 Depth=1
	s_or_b64 exec, exec, s[2:3]
	v_add_u32_e32 v6, s14, v10
	v_cmp_gt_i64_e32 vcc, s[10:11], v[6:7]
	v_cmp_gt_u32_e64 s[2:3], s5, v6
	s_and_b64 s[18:19], s[2:3], vcc
	s_and_saveexec_b64 s[2:3], s[18:19]
	s_cbranch_execz .LBB44_10
; %bb.9:                                ;   in Loop: Header=BB44_4 Depth=1
	v_lshl_add_u64 v[8:9], v[6:7], 3, s[12:13]
	global_load_dwordx2 v[8:9], v[8:9], off
	s_waitcnt vmcnt(0)
	v_cvt_f32_f64_e32 v1, v[8:9]
	v_cmp_neq_f32_e32 vcc, 0, v1
	s_nop 1
	v_cndmask_b32_e64 v1, 0, 1.0, vcc
	v_add_f32_e32 v4, v4, v1
.LBB44_10:                              ;   in Loop: Header=BB44_4 Depth=1
	s_or_b64 exec, exec, s[2:3]
	v_add_u32_e32 v6, s14, v12
	v_cmp_gt_i64_e32 vcc, s[10:11], v[6:7]
	v_cmp_gt_u32_e64 s[2:3], s5, v6
	s_and_b64 s[18:19], s[2:3], vcc
	s_and_saveexec_b64 s[2:3], s[18:19]
	s_cbranch_execz .LBB44_3
; %bb.11:                               ;   in Loop: Header=BB44_4 Depth=1
	v_lshl_add_u64 v[8:9], v[6:7], 3, s[12:13]
	global_load_dwordx2 v[8:9], v[8:9], off
	s_waitcnt vmcnt(0)
	v_cvt_f32_f64_e32 v1, v[8:9]
	v_cmp_neq_f32_e32 vcc, 0, v1
	s_nop 1
	v_cndmask_b32_e64 v1, 0, 1.0, vcc
	v_add_f32_e32 v5, v5, v1
	s_branch .LBB44_3
.LBB44_12:
                                        ; implicit-def: $vgpr2_vgpr3_vgpr4_vgpr5
	s_branch .LBB44_15
.LBB44_13:
	v_mov_b32_e32 v2, 0
	v_mov_b32_e32 v3, v2
	;; [unrolled: 1-line block ×4, first 2 shown]
.LBB44_14:
	s_cbranch_execnz .LBB44_20
.LBB44_15:
	v_mov_b64_e32 v[4:5], 0x10000
	v_cmp_lt_i64_e32 vcc, s[10:11], v[4:5]
	s_and_b64 s[2:3], vcc, exec
	v_mov_b32_e32 v3, 0
	s_cselect_b32 s3, s11, 0
	s_cselect_b32 s2, s10, 0x10000
	v_lshlrev_b32_e32 v2, 2, v0
	v_cmp_gt_i64_e32 vcc, s[2:3], v[2:3]
	s_mov_b32 s13, 0
	v_mov_b32_e32 v2, v3
	v_mov_b32_e32 v4, v3
	;; [unrolled: 1-line block ×3, first 2 shown]
	s_and_saveexec_b64 s[10:11], vcc
	s_cbranch_execz .LBB44_19
; %bb.16:
	s_load_dword s5, s[0:1], 0xd4c
	v_lshlrev_b32_e32 v2, 5, v0
	v_mov_b32_e32 v1, v3
	s_mov_b32 s15, s13
	v_mov_b64_e32 v[10:11], v[0:1]
	s_waitcnt lgkmcnt(0)
	s_and_b32 s12, s5, 0xffff
	s_add_u32 s6, s6, s8
	s_addc_u32 s7, s7, s9
	v_lshl_add_u64 v[4:5], s[6:7], 0, v[2:3]
	s_lshl_b32 s14, s12, 5
	v_lshl_add_u64 v[8:9], v[4:5], 0, 16
	s_mov_b64 s[6:7], 0
	v_mov_b32_e32 v5, 0
	v_mov_b32_e32 v6, 0
	;; [unrolled: 1-line block ×3, first 2 shown]
.LBB44_17:                              ; =>This Inner Loop Header: Depth=1
	global_load_dwordx4 v[12:15], v[8:9], off offset:-16
	global_load_dwordx4 v[16:19], v[8:9], off
	v_lshl_add_u64 v[10:11], v[10:11], 0, s[12:13]
	v_lshlrev_b64 v[20:21], 2, v[10:11]
	v_cmp_le_i64_e32 vcc, s[2:3], v[20:21]
	s_or_b64 s[6:7], vcc, s[6:7]
	v_lshl_add_u64 v[8:9], v[8:9], 0, s[14:15]
	s_waitcnt vmcnt(1)
	v_cvt_f32_f64_e32 v1, v[12:13]
	v_cvt_f32_f64_e32 v2, v[14:15]
	v_cmp_neq_f32_e32 vcc, 0, v1
	s_waitcnt vmcnt(0)
	v_cvt_f32_f64_e32 v4, v[16:17]
	v_cvt_f32_f64_e32 v12, v[18:19]
	v_cndmask_b32_e64 v1, 0, 1.0, vcc
	v_cmp_neq_f32_e32 vcc, 0, v2
	v_add_f32_e32 v3, v3, v1
	s_nop 0
	v_cndmask_b32_e64 v2, 0, 1.0, vcc
	v_cmp_neq_f32_e32 vcc, 0, v4
	v_add_f32_e32 v5, v5, v2
	s_nop 0
	;; [unrolled: 4-line block ×3, first 2 shown]
	v_cndmask_b32_e64 v12, 0, 1.0, vcc
	v_add_f32_e32 v7, v7, v12
	s_andn2_b64 exec, exec, s[6:7]
	s_cbranch_execnz .LBB44_17
; %bb.18:
	s_or_b64 exec, exec, s[6:7]
	v_mov_b32_e32 v4, v3
	v_mov_b64_e32 v[2:3], v[4:5]
	v_mov_b64_e32 v[4:5], v[6:7]
.LBB44_19:
	s_or_b64 exec, exec, s[10:11]
.LBB44_20:
	v_add_f32_e32 v1, 0, v2
	v_add_f32_e32 v1, v3, v1
	;; [unrolled: 1-line block ×4, first 2 shown]
	v_mbcnt_lo_u32_b32 v1, -1, 0
	v_mbcnt_hi_u32_b32 v6, -1, v1
	v_mov_b32_e32 v1, 0x80
	v_lshl_or_b32 v1, v6, 2, v1
	ds_bpermute_b32 v3, v1, v2
	v_and_b32_e32 v9, 63, v6
	v_cmp_gt_u32_e32 vcc, 48, v9
	s_waitcnt lgkmcnt(0)
	s_barrier
	v_add_f32_e32 v3, v2, v3
	v_cndmask_b32_e64 v2, 0, 16, vcc
	v_add_lshl_u32 v2, v2, v6, 2
	ds_bpermute_b32 v4, v2, v3
	v_cmp_gt_u32_e32 vcc, 56, v9
	s_waitcnt lgkmcnt(0)
	v_add_f32_e32 v4, v3, v4
	v_cndmask_b32_e64 v3, 0, 8, vcc
	v_add_lshl_u32 v3, v3, v6, 2
	ds_bpermute_b32 v5, v3, v4
	v_cmp_gt_u32_e32 vcc, 60, v9
	s_waitcnt lgkmcnt(0)
	;; [unrolled: 6-line block ×3, first 2 shown]
	v_add_f32_e32 v7, v5, v7
	v_cndmask_b32_e64 v8, 0, 2, vcc
	v_add_lshl_u32 v5, v8, v6, 2
	ds_bpermute_b32 v10, v5, v7
	v_cmp_ne_u32_e32 vcc, 63, v9
	v_and_b32_e32 v8, 63, v0
	s_waitcnt lgkmcnt(0)
	v_add_f32_e32 v7, v7, v10
	v_addc_co_u32_e32 v6, vcc, 0, v6, vcc
	v_lshlrev_b32_e32 v6, 2, v6
	ds_bpermute_b32 v9, v6, v7
	v_cmp_eq_u32_e32 vcc, 0, v8
	s_and_saveexec_b64 s[2:3], vcc
	s_cbranch_execz .LBB44_22
; %bb.21:
	v_lshrrev_b32_e32 v10, 4, v0
	s_waitcnt lgkmcnt(0)
	v_add_f32_e32 v7, v7, v9
	ds_write_b32 v10, v7
.LBB44_22:
	s_or_b64 exec, exec, s[2:3]
	s_waitcnt lgkmcnt(0)
	s_barrier
	s_load_dword s2, s[0:1], 0xd4c
	v_mov_b32_e32 v7, 0
	s_waitcnt lgkmcnt(0)
	s_bfe_u32 s2, s2, 0xa0006
	v_cmp_gt_u32_e32 vcc, s2, v0
	s_and_saveexec_b64 s[2:3], vcc
	s_cbranch_execnz .LBB44_26
; %bb.23:
	s_or_b64 exec, exec, s[2:3]
	v_cmp_gt_u32_e32 vcc, 64, v0
	s_and_saveexec_b64 s[2:3], vcc
	s_cbranch_execnz .LBB44_27
.LBB44_24:
	s_or_b64 exec, exec, s[2:3]
	v_cmp_eq_u32_e32 vcc, 0, v0
	s_and_saveexec_b64 s[2:3], vcc
	s_cbranch_execnz .LBB44_28
.LBB44_25:
	s_endpgm
.LBB44_26:
	v_lshlrev_b32_e32 v7, 2, v8
	ds_read_b32 v7, v7
	s_or_b64 exec, exec, s[2:3]
	v_cmp_gt_u32_e32 vcc, 64, v0
	s_and_saveexec_b64 s[2:3], vcc
	s_cbranch_execz .LBB44_24
.LBB44_27:
	s_waitcnt lgkmcnt(0)
	ds_bpermute_b32 v1, v1, v7
	s_waitcnt lgkmcnt(0)
	v_add_f32_e32 v1, v7, v1
	ds_bpermute_b32 v2, v2, v1
	s_waitcnt lgkmcnt(0)
	v_add_f32_e32 v1, v1, v2
	;; [unrolled: 3-line block ×6, first 2 shown]
	s_or_b64 exec, exec, s[2:3]
	v_cmp_eq_u32_e32 vcc, 0, v0
	s_and_saveexec_b64 s[2:3], vcc
	s_cbranch_execz .LBB44_25
.LBB44_28:
	s_load_dword s5, s[0:1], 0xd20
	s_load_dword s6, s[0:1], 0xd38
	s_load_dwordx2 s[2:3], s[0:1], 0xd30
	v_mov_b32_e32 v0, 0
	s_waitcnt lgkmcnt(0)
	s_add_i32 s0, s5, s16
	s_mul_i32 s0, s0, s6
	s_add_i32 s0, s0, s4
	s_ashr_i32 s1, s0, 31
	s_lshl_b64 s[0:1], s[0:1], 2
	s_add_u32 s0, s2, s0
	s_addc_u32 s1, s3, s1
	global_store_dword v0, v7, s[0:1]
	s_endpgm
	.section	.rodata,"a",@progbits
	.p2align	6, 0x0
	.amdhsa_kernel _ZN2at6native12_GLOBAL__N_125multi_tensor_apply_kernelINS1_18TensorListMetadataILi1EEENS0_13LpNormFunctorIdLNS0_8NormTypeE0EN3c108BFloat16ELi1ELi1ELi0EEEJPfiEEEvT_T0_DpT1_
		.amdhsa_group_segment_fixed_size 2048
		.amdhsa_private_segment_fixed_size 0
		.amdhsa_kernarg_size 3648
		.amdhsa_user_sgpr_count 2
		.amdhsa_user_sgpr_dispatch_ptr 0
		.amdhsa_user_sgpr_queue_ptr 0
		.amdhsa_user_sgpr_kernarg_segment_ptr 1
		.amdhsa_user_sgpr_dispatch_id 0
		.amdhsa_user_sgpr_kernarg_preload_length 0
		.amdhsa_user_sgpr_kernarg_preload_offset 0
		.amdhsa_user_sgpr_private_segment_size 0
		.amdhsa_uses_dynamic_stack 0
		.amdhsa_enable_private_segment 0
		.amdhsa_system_sgpr_workgroup_id_x 1
		.amdhsa_system_sgpr_workgroup_id_y 0
		.amdhsa_system_sgpr_workgroup_id_z 0
		.amdhsa_system_sgpr_workgroup_info 0
		.amdhsa_system_vgpr_workitem_id 0
		.amdhsa_next_free_vgpr 22
		.amdhsa_next_free_sgpr 20
		.amdhsa_accum_offset 24
		.amdhsa_reserve_vcc 1
		.amdhsa_float_round_mode_32 0
		.amdhsa_float_round_mode_16_64 0
		.amdhsa_float_denorm_mode_32 3
		.amdhsa_float_denorm_mode_16_64 3
		.amdhsa_dx10_clamp 1
		.amdhsa_ieee_mode 1
		.amdhsa_fp16_overflow 0
		.amdhsa_tg_split 0
		.amdhsa_exception_fp_ieee_invalid_op 0
		.amdhsa_exception_fp_denorm_src 0
		.amdhsa_exception_fp_ieee_div_zero 0
		.amdhsa_exception_fp_ieee_overflow 0
		.amdhsa_exception_fp_ieee_underflow 0
		.amdhsa_exception_fp_ieee_inexact 0
		.amdhsa_exception_int_div_zero 0
	.end_amdhsa_kernel
	.section	.text._ZN2at6native12_GLOBAL__N_125multi_tensor_apply_kernelINS1_18TensorListMetadataILi1EEENS0_13LpNormFunctorIdLNS0_8NormTypeE0EN3c108BFloat16ELi1ELi1ELi0EEEJPfiEEEvT_T0_DpT1_,"axG",@progbits,_ZN2at6native12_GLOBAL__N_125multi_tensor_apply_kernelINS1_18TensorListMetadataILi1EEENS0_13LpNormFunctorIdLNS0_8NormTypeE0EN3c108BFloat16ELi1ELi1ELi0EEEJPfiEEEvT_T0_DpT1_,comdat
.Lfunc_end44:
	.size	_ZN2at6native12_GLOBAL__N_125multi_tensor_apply_kernelINS1_18TensorListMetadataILi1EEENS0_13LpNormFunctorIdLNS0_8NormTypeE0EN3c108BFloat16ELi1ELi1ELi0EEEJPfiEEEvT_T0_DpT1_, .Lfunc_end44-_ZN2at6native12_GLOBAL__N_125multi_tensor_apply_kernelINS1_18TensorListMetadataILi1EEENS0_13LpNormFunctorIdLNS0_8NormTypeE0EN3c108BFloat16ELi1ELi1ELi0EEEJPfiEEEvT_T0_DpT1_
                                        ; -- End function
	.set _ZN2at6native12_GLOBAL__N_125multi_tensor_apply_kernelINS1_18TensorListMetadataILi1EEENS0_13LpNormFunctorIdLNS0_8NormTypeE0EN3c108BFloat16ELi1ELi1ELi0EEEJPfiEEEvT_T0_DpT1_.num_vgpr, 22
	.set _ZN2at6native12_GLOBAL__N_125multi_tensor_apply_kernelINS1_18TensorListMetadataILi1EEENS0_13LpNormFunctorIdLNS0_8NormTypeE0EN3c108BFloat16ELi1ELi1ELi0EEEJPfiEEEvT_T0_DpT1_.num_agpr, 0
	.set _ZN2at6native12_GLOBAL__N_125multi_tensor_apply_kernelINS1_18TensorListMetadataILi1EEENS0_13LpNormFunctorIdLNS0_8NormTypeE0EN3c108BFloat16ELi1ELi1ELi0EEEJPfiEEEvT_T0_DpT1_.numbered_sgpr, 20
	.set _ZN2at6native12_GLOBAL__N_125multi_tensor_apply_kernelINS1_18TensorListMetadataILi1EEENS0_13LpNormFunctorIdLNS0_8NormTypeE0EN3c108BFloat16ELi1ELi1ELi0EEEJPfiEEEvT_T0_DpT1_.num_named_barrier, 0
	.set _ZN2at6native12_GLOBAL__N_125multi_tensor_apply_kernelINS1_18TensorListMetadataILi1EEENS0_13LpNormFunctorIdLNS0_8NormTypeE0EN3c108BFloat16ELi1ELi1ELi0EEEJPfiEEEvT_T0_DpT1_.private_seg_size, 0
	.set _ZN2at6native12_GLOBAL__N_125multi_tensor_apply_kernelINS1_18TensorListMetadataILi1EEENS0_13LpNormFunctorIdLNS0_8NormTypeE0EN3c108BFloat16ELi1ELi1ELi0EEEJPfiEEEvT_T0_DpT1_.uses_vcc, 1
	.set _ZN2at6native12_GLOBAL__N_125multi_tensor_apply_kernelINS1_18TensorListMetadataILi1EEENS0_13LpNormFunctorIdLNS0_8NormTypeE0EN3c108BFloat16ELi1ELi1ELi0EEEJPfiEEEvT_T0_DpT1_.uses_flat_scratch, 0
	.set _ZN2at6native12_GLOBAL__N_125multi_tensor_apply_kernelINS1_18TensorListMetadataILi1EEENS0_13LpNormFunctorIdLNS0_8NormTypeE0EN3c108BFloat16ELi1ELi1ELi0EEEJPfiEEEvT_T0_DpT1_.has_dyn_sized_stack, 0
	.set _ZN2at6native12_GLOBAL__N_125multi_tensor_apply_kernelINS1_18TensorListMetadataILi1EEENS0_13LpNormFunctorIdLNS0_8NormTypeE0EN3c108BFloat16ELi1ELi1ELi0EEEJPfiEEEvT_T0_DpT1_.has_recursion, 0
	.set _ZN2at6native12_GLOBAL__N_125multi_tensor_apply_kernelINS1_18TensorListMetadataILi1EEENS0_13LpNormFunctorIdLNS0_8NormTypeE0EN3c108BFloat16ELi1ELi1ELi0EEEJPfiEEEvT_T0_DpT1_.has_indirect_call, 0
	.section	.AMDGPU.csdata,"",@progbits
; Kernel info:
; codeLenInByte = 1512
; TotalNumSgprs: 26
; NumVgprs: 22
; NumAgprs: 0
; TotalNumVgprs: 22
; ScratchSize: 0
; MemoryBound: 0
; FloatMode: 240
; IeeeMode: 1
; LDSByteSize: 2048 bytes/workgroup (compile time only)
; SGPRBlocks: 3
; VGPRBlocks: 2
; NumSGPRsForWavesPerEU: 26
; NumVGPRsForWavesPerEU: 22
; AccumOffset: 24
; Occupancy: 8
; WaveLimiterHint : 0
; COMPUTE_PGM_RSRC2:SCRATCH_EN: 0
; COMPUTE_PGM_RSRC2:USER_SGPR: 2
; COMPUTE_PGM_RSRC2:TRAP_HANDLER: 0
; COMPUTE_PGM_RSRC2:TGID_X_EN: 1
; COMPUTE_PGM_RSRC2:TGID_Y_EN: 0
; COMPUTE_PGM_RSRC2:TGID_Z_EN: 0
; COMPUTE_PGM_RSRC2:TIDIG_COMP_CNT: 0
; COMPUTE_PGM_RSRC3_GFX90A:ACCUM_OFFSET: 5
; COMPUTE_PGM_RSRC3_GFX90A:TG_SPLIT: 0
	.section	.text._ZN2at6native12_GLOBAL__N_125multi_tensor_apply_kernelINS1_18TensorListMetadataILi1EEENS0_13LpNormFunctorIdLNS0_8NormTypeE1EN3c108BFloat16ELi1ELi1ELi0EEEJPfiEEEvT_T0_DpT1_,"axG",@progbits,_ZN2at6native12_GLOBAL__N_125multi_tensor_apply_kernelINS1_18TensorListMetadataILi1EEENS0_13LpNormFunctorIdLNS0_8NormTypeE1EN3c108BFloat16ELi1ELi1ELi0EEEJPfiEEEvT_T0_DpT1_,comdat
	.globl	_ZN2at6native12_GLOBAL__N_125multi_tensor_apply_kernelINS1_18TensorListMetadataILi1EEENS0_13LpNormFunctorIdLNS0_8NormTypeE1EN3c108BFloat16ELi1ELi1ELi0EEEJPfiEEEvT_T0_DpT1_ ; -- Begin function _ZN2at6native12_GLOBAL__N_125multi_tensor_apply_kernelINS1_18TensorListMetadataILi1EEENS0_13LpNormFunctorIdLNS0_8NormTypeE1EN3c108BFloat16ELi1ELi1ELi0EEEJPfiEEEvT_T0_DpT1_
	.p2align	8
	.type	_ZN2at6native12_GLOBAL__N_125multi_tensor_apply_kernelINS1_18TensorListMetadataILi1EEENS0_13LpNormFunctorIdLNS0_8NormTypeE1EN3c108BFloat16ELi1ELi1ELi0EEEJPfiEEEvT_T0_DpT1_,@function
_ZN2at6native12_GLOBAL__N_125multi_tensor_apply_kernelINS1_18TensorListMetadataILi1EEENS0_13LpNormFunctorIdLNS0_8NormTypeE1EN3c108BFloat16ELi1ELi1ELi0EEEJPfiEEEvT_T0_DpT1_: ; @_ZN2at6native12_GLOBAL__N_125multi_tensor_apply_kernelINS1_18TensorListMetadataILi1EEENS0_13LpNormFunctorIdLNS0_8NormTypeE1EN3c108BFloat16ELi1ELi1ELi0EEEJPfiEEEvT_T0_DpT1_
; %bb.0:
	v_mov_b32_e32 v1, s2
	global_load_ubyte v1, v1, s[0:1] offset:1760
	s_add_u32 s3, s0, s2
	s_mul_hi_u32 s4, s2, 3
	s_mul_i32 s2, s2, 3
	s_addc_u32 s5, s1, 0
	s_add_u32 s2, s3, s2
	s_addc_u32 s3, s5, s4
	s_load_dword s4, s[2:3], 0x820
	s_mov_b32 s15, 0
	s_waitcnt vmcnt(0)
	v_readfirstlane_b32 s2, v1
	s_and_b32 s16, s2, 0xff
	s_lshl_b32 s5, s16, 3
	s_load_dwordx2 s[2:3], s[0:1], s5 offset:0x370
	s_load_dwordx2 s[6:7], s[0:1], s5 offset:0x0
	s_waitcnt lgkmcnt(0)
	s_ashr_i32 s5, s4, 31
	s_lshl_b64 s[10:11], s[4:5], 16
	s_lshl_b64 s[8:9], s[4:5], 19
	s_add_u32 s12, s6, s8
	s_addc_u32 s13, s7, s9
	s_sub_u32 s10, s2, s10
	s_subb_u32 s11, s3, s11
	s_and_b32 s14, s2, 3
	s_and_b32 s2, s12, 31
	s_mov_b32 s3, s15
	s_or_b64 s[2:3], s[14:15], s[2:3]
	s_cmp_eq_u64 s[2:3], 0
	s_cbranch_scc1 .LBB45_12
; %bb.1:
	v_cmp_lt_i64_e64 s[2:3], s[10:11], 1
	s_and_b64 vcc, exec, s[2:3]
	s_cbranch_vccnz .LBB45_13
; %bb.2:
	s_load_dword s14, s[0:1], 0xd4c
	v_mov_b64_e32 v[2:3], 0x10000
	v_cmp_lt_i64_e32 vcc, s[10:11], v[2:3]
	s_and_b64 s[2:3], vcc, exec
	v_mov_b32_e32 v7, 0
	s_cselect_b32 s3, s11, 0
	s_cselect_b32 s2, s10, 0x10000
	s_waitcnt lgkmcnt(0)
	s_and_b32 s18, s14, 0xffff
	v_mov_b32_e32 v6, v7
	v_mad_u64_u32 v[12:13], s[14:15], s18, 3, v[0:1]
	v_mov_b32_e32 v8, v7
	v_mov_b32_e32 v9, v7
	v_mov_b64_e32 v[2:3], v[6:7]
	s_mov_b32 s5, 0x10000
	s_lshl_b32 s17, s18, 2
	v_lshl_add_u32 v10, s18, 1, v0
	v_add_u32_e32 v14, s18, v0
	s_mov_b64 s[14:15], 0
	v_mov_b64_e32 v[16:17], s[2:3]
	v_mov_b64_e32 v[4:5], v[8:9]
	s_branch .LBB45_4
.LBB45_3:                               ;   in Loop: Header=BB45_4 Depth=1
	s_or_b64 exec, exec, s[2:3]
	s_add_u32 s14, s14, s17
	s_addc_u32 s15, s15, 0
	v_cmp_lt_i64_e32 vcc, s[14:15], v[16:17]
	s_cbranch_vccz .LBB45_14
.LBB45_4:                               ; =>This Inner Loop Header: Depth=1
	v_add_u32_e32 v6, s14, v0
	v_cmp_gt_i64_e32 vcc, s[10:11], v[6:7]
	v_cmp_gt_u32_e64 s[2:3], s5, v6
	s_and_b64 s[18:19], s[2:3], vcc
	s_and_saveexec_b64 s[2:3], s[18:19]
	s_cbranch_execz .LBB45_6
; %bb.5:                                ;   in Loop: Header=BB45_4 Depth=1
	v_lshl_add_u64 v[8:9], v[6:7], 3, s[12:13]
	global_load_dwordx2 v[8:9], v[8:9], off
	s_waitcnt vmcnt(0)
	v_cvt_f32_f64_e32 v1, v[8:9]
	v_add_f32_e64 v2, v2, |v1|
.LBB45_6:                               ;   in Loop: Header=BB45_4 Depth=1
	s_or_b64 exec, exec, s[2:3]
	v_add_u32_e32 v6, s14, v14
	v_cmp_gt_i64_e32 vcc, s[10:11], v[6:7]
	v_cmp_gt_u32_e64 s[2:3], s5, v6
	s_and_b64 s[18:19], s[2:3], vcc
	s_and_saveexec_b64 s[2:3], s[18:19]
	s_cbranch_execz .LBB45_8
; %bb.7:                                ;   in Loop: Header=BB45_4 Depth=1
	v_lshl_add_u64 v[8:9], v[6:7], 3, s[12:13]
	global_load_dwordx2 v[8:9], v[8:9], off
	s_waitcnt vmcnt(0)
	v_cvt_f32_f64_e32 v1, v[8:9]
	v_add_f32_e64 v3, v3, |v1|
.LBB45_8:                               ;   in Loop: Header=BB45_4 Depth=1
	s_or_b64 exec, exec, s[2:3]
	v_add_u32_e32 v6, s14, v10
	v_cmp_gt_i64_e32 vcc, s[10:11], v[6:7]
	v_cmp_gt_u32_e64 s[2:3], s5, v6
	s_and_b64 s[18:19], s[2:3], vcc
	s_and_saveexec_b64 s[2:3], s[18:19]
	s_cbranch_execz .LBB45_10
; %bb.9:                                ;   in Loop: Header=BB45_4 Depth=1
	v_lshl_add_u64 v[8:9], v[6:7], 3, s[12:13]
	global_load_dwordx2 v[8:9], v[8:9], off
	s_waitcnt vmcnt(0)
	v_cvt_f32_f64_e32 v1, v[8:9]
	v_add_f32_e64 v4, v4, |v1|
.LBB45_10:                              ;   in Loop: Header=BB45_4 Depth=1
	s_or_b64 exec, exec, s[2:3]
	v_add_u32_e32 v6, s14, v12
	v_cmp_gt_i64_e32 vcc, s[10:11], v[6:7]
	v_cmp_gt_u32_e64 s[2:3], s5, v6
	s_and_b64 s[18:19], s[2:3], vcc
	s_and_saveexec_b64 s[2:3], s[18:19]
	s_cbranch_execz .LBB45_3
; %bb.11:                               ;   in Loop: Header=BB45_4 Depth=1
	v_lshl_add_u64 v[8:9], v[6:7], 3, s[12:13]
	global_load_dwordx2 v[8:9], v[8:9], off
	s_waitcnt vmcnt(0)
	v_cvt_f32_f64_e32 v1, v[8:9]
	v_add_f32_e64 v5, v5, |v1|
	s_branch .LBB45_3
.LBB45_12:
                                        ; implicit-def: $vgpr2_vgpr3_vgpr4_vgpr5
	s_branch .LBB45_15
.LBB45_13:
	v_mov_b32_e32 v2, 0
	v_mov_b32_e32 v3, v2
	v_mov_b32_e32 v4, v2
	v_mov_b32_e32 v5, v2
.LBB45_14:
	s_cbranch_execnz .LBB45_20
.LBB45_15:
	v_mov_b64_e32 v[4:5], 0x10000
	v_cmp_lt_i64_e32 vcc, s[10:11], v[4:5]
	v_mov_b32_e32 v2, 0
	s_and_b64 s[2:3], vcc, exec
	s_cselect_b32 s3, s11, 0
	s_cselect_b32 s2, s10, 0x10000
	v_lshlrev_b32_e32 v4, 2, v0
	v_mov_b32_e32 v5, v2
	v_cmp_gt_i64_e32 vcc, s[2:3], v[4:5]
	s_mov_b32 s13, 0
	v_mov_b32_e32 v3, v2
	v_mov_b32_e32 v4, v2
	s_and_saveexec_b64 s[10:11], vcc
	s_cbranch_execz .LBB45_19
; %bb.16:
	s_load_dword s5, s[0:1], 0xd4c
	v_lshlrev_b32_e32 v4, 5, v0
	v_mov_b32_e32 v5, v2
	v_mov_b32_e32 v1, v2
	v_mov_b64_e32 v[8:9], v[0:1]
	s_waitcnt lgkmcnt(0)
	s_and_b32 s12, s5, 0xffff
	s_add_u32 s8, s6, s8
	s_addc_u32 s9, s7, s9
	v_lshl_add_u64 v[4:5], s[8:9], 0, v[4:5]
	s_lshl_b32 s6, s12, 5
	v_lshl_add_u64 v[6:7], v[4:5], 0, 16
	s_mov_b32 s7, s13
	s_mov_b64 s[8:9], 0
	v_mov_b32_e32 v3, v2
	v_mov_b32_e32 v4, v2
	;; [unrolled: 1-line block ×3, first 2 shown]
.LBB45_17:                              ; =>This Inner Loop Header: Depth=1
	global_load_dwordx4 v[10:13], v[6:7], off offset:-16
	global_load_dwordx4 v[14:17], v[6:7], off
	v_lshl_add_u64 v[8:9], v[8:9], 0, s[12:13]
	v_lshlrev_b64 v[18:19], 2, v[8:9]
	v_cmp_le_i64_e32 vcc, s[2:3], v[18:19]
	v_lshl_add_u64 v[6:7], v[6:7], 0, s[6:7]
	s_or_b64 s[8:9], vcc, s[8:9]
	s_waitcnt vmcnt(1)
	v_cvt_f32_f64_e32 v1, v[10:11]
	v_cvt_f32_f64_e32 v10, v[12:13]
	s_waitcnt vmcnt(0)
	v_cvt_f32_f64_e32 v12, v[14:15]
	v_cvt_f32_f64_e32 v13, v[16:17]
	v_and_b32_e32 v11, 0x7fffffff, v10
	v_and_b32_e32 v10, 0x7fffffff, v1
	;; [unrolled: 1-line block ×4, first 2 shown]
	v_pk_add_f32 v[4:5], v[4:5], v[12:13]
	v_pk_add_f32 v[2:3], v[2:3], v[10:11]
	s_andn2_b64 exec, exec, s[8:9]
	s_cbranch_execnz .LBB45_17
; %bb.18:
	s_or_b64 exec, exec, s[8:9]
.LBB45_19:
	s_or_b64 exec, exec, s[10:11]
.LBB45_20:
	v_add_f32_e32 v1, 0, v2
	v_add_f32_e32 v1, v3, v1
	;; [unrolled: 1-line block ×4, first 2 shown]
	v_mbcnt_lo_u32_b32 v1, -1, 0
	v_mbcnt_hi_u32_b32 v6, -1, v1
	v_mov_b32_e32 v1, 0x80
	v_lshl_or_b32 v1, v6, 2, v1
	ds_bpermute_b32 v3, v1, v2
	v_and_b32_e32 v9, 63, v6
	v_cmp_gt_u32_e32 vcc, 48, v9
	s_waitcnt lgkmcnt(0)
	s_barrier
	v_add_f32_e32 v3, v2, v3
	v_cndmask_b32_e64 v2, 0, 16, vcc
	v_add_lshl_u32 v2, v2, v6, 2
	ds_bpermute_b32 v4, v2, v3
	v_cmp_gt_u32_e32 vcc, 56, v9
	s_waitcnt lgkmcnt(0)
	v_add_f32_e32 v4, v3, v4
	v_cndmask_b32_e64 v3, 0, 8, vcc
	v_add_lshl_u32 v3, v3, v6, 2
	ds_bpermute_b32 v5, v3, v4
	v_cmp_gt_u32_e32 vcc, 60, v9
	s_waitcnt lgkmcnt(0)
	;; [unrolled: 6-line block ×3, first 2 shown]
	v_add_f32_e32 v7, v5, v7
	v_cndmask_b32_e64 v8, 0, 2, vcc
	v_add_lshl_u32 v5, v8, v6, 2
	ds_bpermute_b32 v10, v5, v7
	v_cmp_ne_u32_e32 vcc, 63, v9
	v_and_b32_e32 v8, 63, v0
	s_waitcnt lgkmcnt(0)
	v_add_f32_e32 v7, v7, v10
	v_addc_co_u32_e32 v6, vcc, 0, v6, vcc
	v_lshlrev_b32_e32 v6, 2, v6
	ds_bpermute_b32 v9, v6, v7
	v_cmp_eq_u32_e32 vcc, 0, v8
	s_and_saveexec_b64 s[2:3], vcc
	s_cbranch_execz .LBB45_22
; %bb.21:
	v_lshrrev_b32_e32 v10, 4, v0
	s_waitcnt lgkmcnt(0)
	v_add_f32_e32 v7, v7, v9
	ds_write_b32 v10, v7
.LBB45_22:
	s_or_b64 exec, exec, s[2:3]
	s_waitcnt lgkmcnt(0)
	s_barrier
	s_load_dword s2, s[0:1], 0xd4c
	v_mov_b32_e32 v7, 0
	s_waitcnt lgkmcnt(0)
	s_bfe_u32 s2, s2, 0xa0006
	v_cmp_gt_u32_e32 vcc, s2, v0
	s_and_saveexec_b64 s[2:3], vcc
	s_cbranch_execnz .LBB45_26
; %bb.23:
	s_or_b64 exec, exec, s[2:3]
	v_cmp_gt_u32_e32 vcc, 64, v0
	s_and_saveexec_b64 s[2:3], vcc
	s_cbranch_execnz .LBB45_27
.LBB45_24:
	s_or_b64 exec, exec, s[2:3]
	v_cmp_eq_u32_e32 vcc, 0, v0
	s_and_saveexec_b64 s[2:3], vcc
	s_cbranch_execnz .LBB45_28
.LBB45_25:
	s_endpgm
.LBB45_26:
	v_lshlrev_b32_e32 v7, 2, v8
	ds_read_b32 v7, v7
	s_or_b64 exec, exec, s[2:3]
	v_cmp_gt_u32_e32 vcc, 64, v0
	s_and_saveexec_b64 s[2:3], vcc
	s_cbranch_execz .LBB45_24
.LBB45_27:
	s_waitcnt lgkmcnt(0)
	ds_bpermute_b32 v1, v1, v7
	s_waitcnt lgkmcnt(0)
	v_add_f32_e32 v1, v7, v1
	ds_bpermute_b32 v2, v2, v1
	s_waitcnt lgkmcnt(0)
	v_add_f32_e32 v1, v1, v2
	;; [unrolled: 3-line block ×6, first 2 shown]
	s_or_b64 exec, exec, s[2:3]
	v_cmp_eq_u32_e32 vcc, 0, v0
	s_and_saveexec_b64 s[2:3], vcc
	s_cbranch_execz .LBB45_25
.LBB45_28:
	s_load_dword s5, s[0:1], 0xd20
	s_load_dword s6, s[0:1], 0xd38
	s_load_dwordx2 s[2:3], s[0:1], 0xd30
	v_mov_b32_e32 v0, 0
	s_waitcnt lgkmcnt(0)
	s_add_i32 s0, s5, s16
	s_mul_i32 s0, s0, s6
	s_add_i32 s0, s0, s4
	s_ashr_i32 s1, s0, 31
	s_lshl_b64 s[0:1], s[0:1], 2
	s_add_u32 s0, s2, s0
	s_addc_u32 s1, s3, s1
	global_store_dword v0, v7, s[0:1]
	s_endpgm
	.section	.rodata,"a",@progbits
	.p2align	6, 0x0
	.amdhsa_kernel _ZN2at6native12_GLOBAL__N_125multi_tensor_apply_kernelINS1_18TensorListMetadataILi1EEENS0_13LpNormFunctorIdLNS0_8NormTypeE1EN3c108BFloat16ELi1ELi1ELi0EEEJPfiEEEvT_T0_DpT1_
		.amdhsa_group_segment_fixed_size 2048
		.amdhsa_private_segment_fixed_size 0
		.amdhsa_kernarg_size 3648
		.amdhsa_user_sgpr_count 2
		.amdhsa_user_sgpr_dispatch_ptr 0
		.amdhsa_user_sgpr_queue_ptr 0
		.amdhsa_user_sgpr_kernarg_segment_ptr 1
		.amdhsa_user_sgpr_dispatch_id 0
		.amdhsa_user_sgpr_kernarg_preload_length 0
		.amdhsa_user_sgpr_kernarg_preload_offset 0
		.amdhsa_user_sgpr_private_segment_size 0
		.amdhsa_uses_dynamic_stack 0
		.amdhsa_enable_private_segment 0
		.amdhsa_system_sgpr_workgroup_id_x 1
		.amdhsa_system_sgpr_workgroup_id_y 0
		.amdhsa_system_sgpr_workgroup_id_z 0
		.amdhsa_system_sgpr_workgroup_info 0
		.amdhsa_system_vgpr_workitem_id 0
		.amdhsa_next_free_vgpr 20
		.amdhsa_next_free_sgpr 20
		.amdhsa_accum_offset 20
		.amdhsa_reserve_vcc 1
		.amdhsa_float_round_mode_32 0
		.amdhsa_float_round_mode_16_64 0
		.amdhsa_float_denorm_mode_32 3
		.amdhsa_float_denorm_mode_16_64 3
		.amdhsa_dx10_clamp 1
		.amdhsa_ieee_mode 1
		.amdhsa_fp16_overflow 0
		.amdhsa_tg_split 0
		.amdhsa_exception_fp_ieee_invalid_op 0
		.amdhsa_exception_fp_denorm_src 0
		.amdhsa_exception_fp_ieee_div_zero 0
		.amdhsa_exception_fp_ieee_overflow 0
		.amdhsa_exception_fp_ieee_underflow 0
		.amdhsa_exception_fp_ieee_inexact 0
		.amdhsa_exception_int_div_zero 0
	.end_amdhsa_kernel
	.section	.text._ZN2at6native12_GLOBAL__N_125multi_tensor_apply_kernelINS1_18TensorListMetadataILi1EEENS0_13LpNormFunctorIdLNS0_8NormTypeE1EN3c108BFloat16ELi1ELi1ELi0EEEJPfiEEEvT_T0_DpT1_,"axG",@progbits,_ZN2at6native12_GLOBAL__N_125multi_tensor_apply_kernelINS1_18TensorListMetadataILi1EEENS0_13LpNormFunctorIdLNS0_8NormTypeE1EN3c108BFloat16ELi1ELi1ELi0EEEJPfiEEEvT_T0_DpT1_,comdat
.Lfunc_end45:
	.size	_ZN2at6native12_GLOBAL__N_125multi_tensor_apply_kernelINS1_18TensorListMetadataILi1EEENS0_13LpNormFunctorIdLNS0_8NormTypeE1EN3c108BFloat16ELi1ELi1ELi0EEEJPfiEEEvT_T0_DpT1_, .Lfunc_end45-_ZN2at6native12_GLOBAL__N_125multi_tensor_apply_kernelINS1_18TensorListMetadataILi1EEENS0_13LpNormFunctorIdLNS0_8NormTypeE1EN3c108BFloat16ELi1ELi1ELi0EEEJPfiEEEvT_T0_DpT1_
                                        ; -- End function
	.set _ZN2at6native12_GLOBAL__N_125multi_tensor_apply_kernelINS1_18TensorListMetadataILi1EEENS0_13LpNormFunctorIdLNS0_8NormTypeE1EN3c108BFloat16ELi1ELi1ELi0EEEJPfiEEEvT_T0_DpT1_.num_vgpr, 20
	.set _ZN2at6native12_GLOBAL__N_125multi_tensor_apply_kernelINS1_18TensorListMetadataILi1EEENS0_13LpNormFunctorIdLNS0_8NormTypeE1EN3c108BFloat16ELi1ELi1ELi0EEEJPfiEEEvT_T0_DpT1_.num_agpr, 0
	.set _ZN2at6native12_GLOBAL__N_125multi_tensor_apply_kernelINS1_18TensorListMetadataILi1EEENS0_13LpNormFunctorIdLNS0_8NormTypeE1EN3c108BFloat16ELi1ELi1ELi0EEEJPfiEEEvT_T0_DpT1_.numbered_sgpr, 20
	.set _ZN2at6native12_GLOBAL__N_125multi_tensor_apply_kernelINS1_18TensorListMetadataILi1EEENS0_13LpNormFunctorIdLNS0_8NormTypeE1EN3c108BFloat16ELi1ELi1ELi0EEEJPfiEEEvT_T0_DpT1_.num_named_barrier, 0
	.set _ZN2at6native12_GLOBAL__N_125multi_tensor_apply_kernelINS1_18TensorListMetadataILi1EEENS0_13LpNormFunctorIdLNS0_8NormTypeE1EN3c108BFloat16ELi1ELi1ELi0EEEJPfiEEEvT_T0_DpT1_.private_seg_size, 0
	.set _ZN2at6native12_GLOBAL__N_125multi_tensor_apply_kernelINS1_18TensorListMetadataILi1EEENS0_13LpNormFunctorIdLNS0_8NormTypeE1EN3c108BFloat16ELi1ELi1ELi0EEEJPfiEEEvT_T0_DpT1_.uses_vcc, 1
	.set _ZN2at6native12_GLOBAL__N_125multi_tensor_apply_kernelINS1_18TensorListMetadataILi1EEENS0_13LpNormFunctorIdLNS0_8NormTypeE1EN3c108BFloat16ELi1ELi1ELi0EEEJPfiEEEvT_T0_DpT1_.uses_flat_scratch, 0
	.set _ZN2at6native12_GLOBAL__N_125multi_tensor_apply_kernelINS1_18TensorListMetadataILi1EEENS0_13LpNormFunctorIdLNS0_8NormTypeE1EN3c108BFloat16ELi1ELi1ELi0EEEJPfiEEEvT_T0_DpT1_.has_dyn_sized_stack, 0
	.set _ZN2at6native12_GLOBAL__N_125multi_tensor_apply_kernelINS1_18TensorListMetadataILi1EEENS0_13LpNormFunctorIdLNS0_8NormTypeE1EN3c108BFloat16ELi1ELi1ELi0EEEJPfiEEEvT_T0_DpT1_.has_recursion, 0
	.set _ZN2at6native12_GLOBAL__N_125multi_tensor_apply_kernelINS1_18TensorListMetadataILi1EEENS0_13LpNormFunctorIdLNS0_8NormTypeE1EN3c108BFloat16ELi1ELi1ELi0EEEJPfiEEEvT_T0_DpT1_.has_indirect_call, 0
	.section	.AMDGPU.csdata,"",@progbits
; Kernel info:
; codeLenInByte = 1428
; TotalNumSgprs: 26
; NumVgprs: 20
; NumAgprs: 0
; TotalNumVgprs: 20
; ScratchSize: 0
; MemoryBound: 0
; FloatMode: 240
; IeeeMode: 1
; LDSByteSize: 2048 bytes/workgroup (compile time only)
; SGPRBlocks: 3
; VGPRBlocks: 2
; NumSGPRsForWavesPerEU: 26
; NumVGPRsForWavesPerEU: 20
; AccumOffset: 20
; Occupancy: 8
; WaveLimiterHint : 0
; COMPUTE_PGM_RSRC2:SCRATCH_EN: 0
; COMPUTE_PGM_RSRC2:USER_SGPR: 2
; COMPUTE_PGM_RSRC2:TRAP_HANDLER: 0
; COMPUTE_PGM_RSRC2:TGID_X_EN: 1
; COMPUTE_PGM_RSRC2:TGID_Y_EN: 0
; COMPUTE_PGM_RSRC2:TGID_Z_EN: 0
; COMPUTE_PGM_RSRC2:TIDIG_COMP_CNT: 0
; COMPUTE_PGM_RSRC3_GFX90A:ACCUM_OFFSET: 4
; COMPUTE_PGM_RSRC3_GFX90A:TG_SPLIT: 0
	.section	.text._ZN2at6native12_GLOBAL__N_125multi_tensor_apply_kernelINS1_18TensorListMetadataILi1EEENS0_13LpNormFunctorIdLNS0_8NormTypeE2EN3c108BFloat16ELi1ELi1ELi0EEEJPfiEEEvT_T0_DpT1_,"axG",@progbits,_ZN2at6native12_GLOBAL__N_125multi_tensor_apply_kernelINS1_18TensorListMetadataILi1EEENS0_13LpNormFunctorIdLNS0_8NormTypeE2EN3c108BFloat16ELi1ELi1ELi0EEEJPfiEEEvT_T0_DpT1_,comdat
	.globl	_ZN2at6native12_GLOBAL__N_125multi_tensor_apply_kernelINS1_18TensorListMetadataILi1EEENS0_13LpNormFunctorIdLNS0_8NormTypeE2EN3c108BFloat16ELi1ELi1ELi0EEEJPfiEEEvT_T0_DpT1_ ; -- Begin function _ZN2at6native12_GLOBAL__N_125multi_tensor_apply_kernelINS1_18TensorListMetadataILi1EEENS0_13LpNormFunctorIdLNS0_8NormTypeE2EN3c108BFloat16ELi1ELi1ELi0EEEJPfiEEEvT_T0_DpT1_
	.p2align	8
	.type	_ZN2at6native12_GLOBAL__N_125multi_tensor_apply_kernelINS1_18TensorListMetadataILi1EEENS0_13LpNormFunctorIdLNS0_8NormTypeE2EN3c108BFloat16ELi1ELi1ELi0EEEJPfiEEEvT_T0_DpT1_,@function
_ZN2at6native12_GLOBAL__N_125multi_tensor_apply_kernelINS1_18TensorListMetadataILi1EEENS0_13LpNormFunctorIdLNS0_8NormTypeE2EN3c108BFloat16ELi1ELi1ELi0EEEJPfiEEEvT_T0_DpT1_: ; @_ZN2at6native12_GLOBAL__N_125multi_tensor_apply_kernelINS1_18TensorListMetadataILi1EEENS0_13LpNormFunctorIdLNS0_8NormTypeE2EN3c108BFloat16ELi1ELi1ELi0EEEJPfiEEEvT_T0_DpT1_
; %bb.0:
	v_mov_b32_e32 v1, s2
	global_load_ubyte v1, v1, s[0:1] offset:1760
	s_add_u32 s3, s0, s2
	s_mul_hi_u32 s4, s2, 3
	s_mul_i32 s2, s2, 3
	s_addc_u32 s5, s1, 0
	s_add_u32 s2, s3, s2
	s_addc_u32 s3, s5, s4
	s_load_dword s4, s[2:3], 0x820
	s_mov_b32 s15, 0
	s_waitcnt vmcnt(0)
	v_readfirstlane_b32 s2, v1
	s_and_b32 s16, s2, 0xff
	s_lshl_b32 s5, s16, 3
	s_load_dwordx2 s[2:3], s[0:1], s5 offset:0x370
	s_load_dwordx2 s[6:7], s[0:1], s5 offset:0x0
	s_waitcnt lgkmcnt(0)
	s_ashr_i32 s5, s4, 31
	s_lshl_b64 s[10:11], s[4:5], 16
	s_lshl_b64 s[8:9], s[4:5], 19
	s_add_u32 s12, s6, s8
	s_addc_u32 s13, s7, s9
	s_sub_u32 s10, s2, s10
	s_subb_u32 s11, s3, s11
	s_and_b32 s14, s2, 3
	s_and_b32 s2, s12, 31
	s_mov_b32 s3, s15
	s_or_b64 s[2:3], s[14:15], s[2:3]
	s_cmp_eq_u64 s[2:3], 0
	s_cbranch_scc1 .LBB46_12
; %bb.1:
	v_cmp_lt_i64_e64 s[2:3], s[10:11], 1
	s_and_b64 vcc, exec, s[2:3]
	s_cbranch_vccnz .LBB46_13
; %bb.2:
	s_load_dword s14, s[0:1], 0xd4c
	v_mov_b64_e32 v[2:3], 0x10000
	v_cmp_lt_i64_e32 vcc, s[10:11], v[2:3]
	s_and_b64 s[2:3], vcc, exec
	v_mov_b32_e32 v7, 0
	s_cselect_b32 s3, s11, 0
	s_cselect_b32 s2, s10, 0x10000
	s_waitcnt lgkmcnt(0)
	s_and_b32 s18, s14, 0xffff
	v_mov_b32_e32 v6, v7
	v_mad_u64_u32 v[12:13], s[14:15], s18, 3, v[0:1]
	v_mov_b32_e32 v8, v7
	v_mov_b32_e32 v9, v7
	v_mov_b64_e32 v[2:3], v[6:7]
	s_mov_b32 s5, 0x10000
	s_lshl_b32 s17, s18, 2
	v_lshl_add_u32 v10, s18, 1, v0
	v_add_u32_e32 v14, s18, v0
	s_mov_b64 s[14:15], 0
	v_mov_b64_e32 v[16:17], s[2:3]
	v_mov_b64_e32 v[4:5], v[8:9]
	s_branch .LBB46_4
.LBB46_3:                               ;   in Loop: Header=BB46_4 Depth=1
	s_or_b64 exec, exec, s[2:3]
	s_add_u32 s14, s14, s17
	s_addc_u32 s15, s15, 0
	v_cmp_lt_i64_e32 vcc, s[14:15], v[16:17]
	s_cbranch_vccz .LBB46_14
.LBB46_4:                               ; =>This Inner Loop Header: Depth=1
	v_add_u32_e32 v6, s14, v0
	v_cmp_gt_i64_e32 vcc, s[10:11], v[6:7]
	v_cmp_gt_u32_e64 s[2:3], s5, v6
	s_and_b64 s[18:19], s[2:3], vcc
	s_and_saveexec_b64 s[2:3], s[18:19]
	s_cbranch_execz .LBB46_6
; %bb.5:                                ;   in Loop: Header=BB46_4 Depth=1
	v_lshl_add_u64 v[8:9], v[6:7], 3, s[12:13]
	global_load_dwordx2 v[8:9], v[8:9], off
	s_waitcnt vmcnt(0)
	v_cvt_f32_f64_e32 v1, v[8:9]
	v_fma_f32 v2, v1, v1, v2
.LBB46_6:                               ;   in Loop: Header=BB46_4 Depth=1
	s_or_b64 exec, exec, s[2:3]
	v_add_u32_e32 v6, s14, v14
	v_cmp_gt_i64_e32 vcc, s[10:11], v[6:7]
	v_cmp_gt_u32_e64 s[2:3], s5, v6
	s_and_b64 s[18:19], s[2:3], vcc
	s_and_saveexec_b64 s[2:3], s[18:19]
	s_cbranch_execz .LBB46_8
; %bb.7:                                ;   in Loop: Header=BB46_4 Depth=1
	v_lshl_add_u64 v[8:9], v[6:7], 3, s[12:13]
	global_load_dwordx2 v[8:9], v[8:9], off
	s_waitcnt vmcnt(0)
	v_cvt_f32_f64_e32 v1, v[8:9]
	v_fma_f32 v3, v1, v1, v3
.LBB46_8:                               ;   in Loop: Header=BB46_4 Depth=1
	s_or_b64 exec, exec, s[2:3]
	v_add_u32_e32 v6, s14, v10
	v_cmp_gt_i64_e32 vcc, s[10:11], v[6:7]
	v_cmp_gt_u32_e64 s[2:3], s5, v6
	s_and_b64 s[18:19], s[2:3], vcc
	s_and_saveexec_b64 s[2:3], s[18:19]
	s_cbranch_execz .LBB46_10
; %bb.9:                                ;   in Loop: Header=BB46_4 Depth=1
	v_lshl_add_u64 v[8:9], v[6:7], 3, s[12:13]
	global_load_dwordx2 v[8:9], v[8:9], off
	s_waitcnt vmcnt(0)
	v_cvt_f32_f64_e32 v1, v[8:9]
	v_fma_f32 v4, v1, v1, v4
.LBB46_10:                              ;   in Loop: Header=BB46_4 Depth=1
	s_or_b64 exec, exec, s[2:3]
	v_add_u32_e32 v6, s14, v12
	v_cmp_gt_i64_e32 vcc, s[10:11], v[6:7]
	v_cmp_gt_u32_e64 s[2:3], s5, v6
	s_and_b64 s[18:19], s[2:3], vcc
	s_and_saveexec_b64 s[2:3], s[18:19]
	s_cbranch_execz .LBB46_3
; %bb.11:                               ;   in Loop: Header=BB46_4 Depth=1
	v_lshl_add_u64 v[8:9], v[6:7], 3, s[12:13]
	global_load_dwordx2 v[8:9], v[8:9], off
	s_waitcnt vmcnt(0)
	v_cvt_f32_f64_e32 v1, v[8:9]
	v_fma_f32 v5, v1, v1, v5
	s_branch .LBB46_3
.LBB46_12:
                                        ; implicit-def: $vgpr2_vgpr3_vgpr4_vgpr5
	s_branch .LBB46_15
.LBB46_13:
	v_mov_b32_e32 v2, 0
	v_mov_b32_e32 v3, v2
	;; [unrolled: 1-line block ×4, first 2 shown]
.LBB46_14:
	s_cbranch_execnz .LBB46_20
.LBB46_15:
	v_mov_b64_e32 v[4:5], 0x10000
	v_cmp_lt_i64_e32 vcc, s[10:11], v[4:5]
	s_and_b64 s[2:3], vcc, exec
	v_mov_b32_e32 v3, 0
	s_cselect_b32 s3, s11, 0
	s_cselect_b32 s2, s10, 0x10000
	v_lshlrev_b32_e32 v2, 2, v0
	v_cmp_gt_i64_e32 vcc, s[2:3], v[2:3]
	s_mov_b32 s13, 0
	v_mov_b32_e32 v2, v3
	v_mov_b32_e32 v4, v3
	v_mov_b32_e32 v5, v3
	s_and_saveexec_b64 s[10:11], vcc
	s_cbranch_execz .LBB46_19
; %bb.16:
	s_load_dword s5, s[0:1], 0xd4c
	v_lshlrev_b32_e32 v2, 5, v0
	v_mov_b32_e32 v1, v3
	s_mov_b32 s15, s13
	v_mov_b64_e32 v[10:11], v[0:1]
	s_waitcnt lgkmcnt(0)
	s_and_b32 s12, s5, 0xffff
	s_add_u32 s6, s6, s8
	s_addc_u32 s7, s7, s9
	v_lshl_add_u64 v[4:5], s[6:7], 0, v[2:3]
	s_lshl_b32 s14, s12, 5
	v_lshl_add_u64 v[8:9], v[4:5], 0, 16
	s_mov_b64 s[6:7], 0
	v_mov_b32_e32 v5, 0
	v_mov_b32_e32 v6, 0
	;; [unrolled: 1-line block ×3, first 2 shown]
.LBB46_17:                              ; =>This Inner Loop Header: Depth=1
	global_load_dwordx4 v[12:15], v[8:9], off offset:-16
	global_load_dwordx4 v[16:19], v[8:9], off
	v_lshl_add_u64 v[10:11], v[10:11], 0, s[12:13]
	v_lshlrev_b64 v[20:21], 2, v[10:11]
	v_cmp_le_i64_e32 vcc, s[2:3], v[20:21]
	v_lshl_add_u64 v[8:9], v[8:9], 0, s[14:15]
	s_or_b64 s[6:7], vcc, s[6:7]
	s_waitcnt vmcnt(1)
	v_cvt_f32_f64_e32 v1, v[12:13]
	v_cvt_f32_f64_e32 v2, v[14:15]
	s_waitcnt vmcnt(0)
	v_cvt_f32_f64_e32 v4, v[16:17]
	v_cvt_f32_f64_e32 v12, v[18:19]
	v_fmac_f32_e32 v3, v1, v1
	v_fmac_f32_e32 v5, v2, v2
	;; [unrolled: 1-line block ×4, first 2 shown]
	s_andn2_b64 exec, exec, s[6:7]
	s_cbranch_execnz .LBB46_17
; %bb.18:
	s_or_b64 exec, exec, s[6:7]
	v_mov_b32_e32 v4, v3
	v_mov_b64_e32 v[2:3], v[4:5]
	v_mov_b64_e32 v[4:5], v[6:7]
.LBB46_19:
	s_or_b64 exec, exec, s[10:11]
.LBB46_20:
	v_add_f32_e32 v1, 0, v2
	v_add_f32_e32 v1, v3, v1
	;; [unrolled: 1-line block ×4, first 2 shown]
	v_mbcnt_lo_u32_b32 v1, -1, 0
	v_mbcnt_hi_u32_b32 v6, -1, v1
	v_mov_b32_e32 v1, 0x80
	v_lshl_or_b32 v1, v6, 2, v1
	ds_bpermute_b32 v3, v1, v2
	v_and_b32_e32 v9, 63, v6
	v_cmp_gt_u32_e32 vcc, 48, v9
	s_waitcnt lgkmcnt(0)
	s_barrier
	v_add_f32_e32 v3, v2, v3
	v_cndmask_b32_e64 v2, 0, 16, vcc
	v_add_lshl_u32 v2, v2, v6, 2
	ds_bpermute_b32 v4, v2, v3
	v_cmp_gt_u32_e32 vcc, 56, v9
	s_waitcnt lgkmcnt(0)
	v_add_f32_e32 v4, v3, v4
	v_cndmask_b32_e64 v3, 0, 8, vcc
	v_add_lshl_u32 v3, v3, v6, 2
	ds_bpermute_b32 v5, v3, v4
	v_cmp_gt_u32_e32 vcc, 60, v9
	s_waitcnt lgkmcnt(0)
	;; [unrolled: 6-line block ×3, first 2 shown]
	v_add_f32_e32 v7, v5, v7
	v_cndmask_b32_e64 v8, 0, 2, vcc
	v_add_lshl_u32 v5, v8, v6, 2
	ds_bpermute_b32 v10, v5, v7
	v_cmp_ne_u32_e32 vcc, 63, v9
	v_and_b32_e32 v8, 63, v0
	s_waitcnt lgkmcnt(0)
	v_add_f32_e32 v7, v7, v10
	v_addc_co_u32_e32 v6, vcc, 0, v6, vcc
	v_lshlrev_b32_e32 v6, 2, v6
	ds_bpermute_b32 v9, v6, v7
	v_cmp_eq_u32_e32 vcc, 0, v8
	s_and_saveexec_b64 s[2:3], vcc
	s_cbranch_execz .LBB46_22
; %bb.21:
	v_lshrrev_b32_e32 v10, 4, v0
	s_waitcnt lgkmcnt(0)
	v_add_f32_e32 v7, v7, v9
	ds_write_b32 v10, v7
.LBB46_22:
	s_or_b64 exec, exec, s[2:3]
	s_waitcnt lgkmcnt(0)
	s_barrier
	s_load_dword s2, s[0:1], 0xd4c
	v_mov_b32_e32 v7, 0
	s_waitcnt lgkmcnt(0)
	s_bfe_u32 s2, s2, 0xa0006
	v_cmp_gt_u32_e32 vcc, s2, v0
	s_and_saveexec_b64 s[2:3], vcc
	s_cbranch_execnz .LBB46_26
; %bb.23:
	s_or_b64 exec, exec, s[2:3]
	v_cmp_gt_u32_e32 vcc, 64, v0
	s_and_saveexec_b64 s[2:3], vcc
	s_cbranch_execnz .LBB46_27
.LBB46_24:
	s_or_b64 exec, exec, s[2:3]
	v_cmp_eq_u32_e32 vcc, 0, v0
	s_and_saveexec_b64 s[2:3], vcc
	s_cbranch_execnz .LBB46_28
.LBB46_25:
	s_endpgm
.LBB46_26:
	v_lshlrev_b32_e32 v7, 2, v8
	ds_read_b32 v7, v7
	s_or_b64 exec, exec, s[2:3]
	v_cmp_gt_u32_e32 vcc, 64, v0
	s_and_saveexec_b64 s[2:3], vcc
	s_cbranch_execz .LBB46_24
.LBB46_27:
	s_waitcnt lgkmcnt(0)
	ds_bpermute_b32 v1, v1, v7
	s_waitcnt lgkmcnt(0)
	v_add_f32_e32 v1, v7, v1
	ds_bpermute_b32 v2, v2, v1
	s_waitcnt lgkmcnt(0)
	v_add_f32_e32 v1, v1, v2
	ds_bpermute_b32 v2, v3, v1
	s_waitcnt lgkmcnt(0)
	v_add_f32_e32 v1, v1, v2
	ds_bpermute_b32 v2, v4, v1
	s_waitcnt lgkmcnt(0)
	v_add_f32_e32 v1, v1, v2
	ds_bpermute_b32 v2, v5, v1
	s_waitcnt lgkmcnt(0)
	v_add_f32_e32 v1, v1, v2
	ds_bpermute_b32 v2, v6, v1
	s_waitcnt lgkmcnt(0)
	v_add_f32_e32 v7, v1, v2
	s_or_b64 exec, exec, s[2:3]
	v_cmp_eq_u32_e32 vcc, 0, v0
	s_and_saveexec_b64 s[2:3], vcc
	s_cbranch_execz .LBB46_25
.LBB46_28:
	s_load_dword s5, s[0:1], 0xd20
	s_load_dword s6, s[0:1], 0xd38
	s_load_dwordx2 s[2:3], s[0:1], 0xd30
	v_mov_b32_e32 v0, 0
	s_waitcnt lgkmcnt(0)
	s_add_i32 s0, s5, s16
	s_mul_i32 s0, s0, s6
	s_add_i32 s0, s0, s4
	s_ashr_i32 s1, s0, 31
	s_lshl_b64 s[0:1], s[0:1], 2
	s_add_u32 s0, s2, s0
	s_addc_u32 s1, s3, s1
	global_store_dword v0, v7, s[0:1]
	s_endpgm
	.section	.rodata,"a",@progbits
	.p2align	6, 0x0
	.amdhsa_kernel _ZN2at6native12_GLOBAL__N_125multi_tensor_apply_kernelINS1_18TensorListMetadataILi1EEENS0_13LpNormFunctorIdLNS0_8NormTypeE2EN3c108BFloat16ELi1ELi1ELi0EEEJPfiEEEvT_T0_DpT1_
		.amdhsa_group_segment_fixed_size 2048
		.amdhsa_private_segment_fixed_size 0
		.amdhsa_kernarg_size 3648
		.amdhsa_user_sgpr_count 2
		.amdhsa_user_sgpr_dispatch_ptr 0
		.amdhsa_user_sgpr_queue_ptr 0
		.amdhsa_user_sgpr_kernarg_segment_ptr 1
		.amdhsa_user_sgpr_dispatch_id 0
		.amdhsa_user_sgpr_kernarg_preload_length 0
		.amdhsa_user_sgpr_kernarg_preload_offset 0
		.amdhsa_user_sgpr_private_segment_size 0
		.amdhsa_uses_dynamic_stack 0
		.amdhsa_enable_private_segment 0
		.amdhsa_system_sgpr_workgroup_id_x 1
		.amdhsa_system_sgpr_workgroup_id_y 0
		.amdhsa_system_sgpr_workgroup_id_z 0
		.amdhsa_system_sgpr_workgroup_info 0
		.amdhsa_system_vgpr_workitem_id 0
		.amdhsa_next_free_vgpr 22
		.amdhsa_next_free_sgpr 20
		.amdhsa_accum_offset 24
		.amdhsa_reserve_vcc 1
		.amdhsa_float_round_mode_32 0
		.amdhsa_float_round_mode_16_64 0
		.amdhsa_float_denorm_mode_32 3
		.amdhsa_float_denorm_mode_16_64 3
		.amdhsa_dx10_clamp 1
		.amdhsa_ieee_mode 1
		.amdhsa_fp16_overflow 0
		.amdhsa_tg_split 0
		.amdhsa_exception_fp_ieee_invalid_op 0
		.amdhsa_exception_fp_denorm_src 0
		.amdhsa_exception_fp_ieee_div_zero 0
		.amdhsa_exception_fp_ieee_overflow 0
		.amdhsa_exception_fp_ieee_underflow 0
		.amdhsa_exception_fp_ieee_inexact 0
		.amdhsa_exception_int_div_zero 0
	.end_amdhsa_kernel
	.section	.text._ZN2at6native12_GLOBAL__N_125multi_tensor_apply_kernelINS1_18TensorListMetadataILi1EEENS0_13LpNormFunctorIdLNS0_8NormTypeE2EN3c108BFloat16ELi1ELi1ELi0EEEJPfiEEEvT_T0_DpT1_,"axG",@progbits,_ZN2at6native12_GLOBAL__N_125multi_tensor_apply_kernelINS1_18TensorListMetadataILi1EEENS0_13LpNormFunctorIdLNS0_8NormTypeE2EN3c108BFloat16ELi1ELi1ELi0EEEJPfiEEEvT_T0_DpT1_,comdat
.Lfunc_end46:
	.size	_ZN2at6native12_GLOBAL__N_125multi_tensor_apply_kernelINS1_18TensorListMetadataILi1EEENS0_13LpNormFunctorIdLNS0_8NormTypeE2EN3c108BFloat16ELi1ELi1ELi0EEEJPfiEEEvT_T0_DpT1_, .Lfunc_end46-_ZN2at6native12_GLOBAL__N_125multi_tensor_apply_kernelINS1_18TensorListMetadataILi1EEENS0_13LpNormFunctorIdLNS0_8NormTypeE2EN3c108BFloat16ELi1ELi1ELi0EEEJPfiEEEvT_T0_DpT1_
                                        ; -- End function
	.set _ZN2at6native12_GLOBAL__N_125multi_tensor_apply_kernelINS1_18TensorListMetadataILi1EEENS0_13LpNormFunctorIdLNS0_8NormTypeE2EN3c108BFloat16ELi1ELi1ELi0EEEJPfiEEEvT_T0_DpT1_.num_vgpr, 22
	.set _ZN2at6native12_GLOBAL__N_125multi_tensor_apply_kernelINS1_18TensorListMetadataILi1EEENS0_13LpNormFunctorIdLNS0_8NormTypeE2EN3c108BFloat16ELi1ELi1ELi0EEEJPfiEEEvT_T0_DpT1_.num_agpr, 0
	.set _ZN2at6native12_GLOBAL__N_125multi_tensor_apply_kernelINS1_18TensorListMetadataILi1EEENS0_13LpNormFunctorIdLNS0_8NormTypeE2EN3c108BFloat16ELi1ELi1ELi0EEEJPfiEEEvT_T0_DpT1_.numbered_sgpr, 20
	.set _ZN2at6native12_GLOBAL__N_125multi_tensor_apply_kernelINS1_18TensorListMetadataILi1EEENS0_13LpNormFunctorIdLNS0_8NormTypeE2EN3c108BFloat16ELi1ELi1ELi0EEEJPfiEEEvT_T0_DpT1_.num_named_barrier, 0
	.set _ZN2at6native12_GLOBAL__N_125multi_tensor_apply_kernelINS1_18TensorListMetadataILi1EEENS0_13LpNormFunctorIdLNS0_8NormTypeE2EN3c108BFloat16ELi1ELi1ELi0EEEJPfiEEEvT_T0_DpT1_.private_seg_size, 0
	.set _ZN2at6native12_GLOBAL__N_125multi_tensor_apply_kernelINS1_18TensorListMetadataILi1EEENS0_13LpNormFunctorIdLNS0_8NormTypeE2EN3c108BFloat16ELi1ELi1ELi0EEEJPfiEEEvT_T0_DpT1_.uses_vcc, 1
	.set _ZN2at6native12_GLOBAL__N_125multi_tensor_apply_kernelINS1_18TensorListMetadataILi1EEENS0_13LpNormFunctorIdLNS0_8NormTypeE2EN3c108BFloat16ELi1ELi1ELi0EEEJPfiEEEvT_T0_DpT1_.uses_flat_scratch, 0
	.set _ZN2at6native12_GLOBAL__N_125multi_tensor_apply_kernelINS1_18TensorListMetadataILi1EEENS0_13LpNormFunctorIdLNS0_8NormTypeE2EN3c108BFloat16ELi1ELi1ELi0EEEJPfiEEEvT_T0_DpT1_.has_dyn_sized_stack, 0
	.set _ZN2at6native12_GLOBAL__N_125multi_tensor_apply_kernelINS1_18TensorListMetadataILi1EEENS0_13LpNormFunctorIdLNS0_8NormTypeE2EN3c108BFloat16ELi1ELi1ELi0EEEJPfiEEEvT_T0_DpT1_.has_recursion, 0
	.set _ZN2at6native12_GLOBAL__N_125multi_tensor_apply_kernelINS1_18TensorListMetadataILi1EEENS0_13LpNormFunctorIdLNS0_8NormTypeE2EN3c108BFloat16ELi1ELi1ELi0EEEJPfiEEEvT_T0_DpT1_.has_indirect_call, 0
	.section	.AMDGPU.csdata,"",@progbits
; Kernel info:
; codeLenInByte = 1404
; TotalNumSgprs: 26
; NumVgprs: 22
; NumAgprs: 0
; TotalNumVgprs: 22
; ScratchSize: 0
; MemoryBound: 0
; FloatMode: 240
; IeeeMode: 1
; LDSByteSize: 2048 bytes/workgroup (compile time only)
; SGPRBlocks: 3
; VGPRBlocks: 2
; NumSGPRsForWavesPerEU: 26
; NumVGPRsForWavesPerEU: 22
; AccumOffset: 24
; Occupancy: 8
; WaveLimiterHint : 0
; COMPUTE_PGM_RSRC2:SCRATCH_EN: 0
; COMPUTE_PGM_RSRC2:USER_SGPR: 2
; COMPUTE_PGM_RSRC2:TRAP_HANDLER: 0
; COMPUTE_PGM_RSRC2:TGID_X_EN: 1
; COMPUTE_PGM_RSRC2:TGID_Y_EN: 0
; COMPUTE_PGM_RSRC2:TGID_Z_EN: 0
; COMPUTE_PGM_RSRC2:TIDIG_COMP_CNT: 0
; COMPUTE_PGM_RSRC3_GFX90A:ACCUM_OFFSET: 5
; COMPUTE_PGM_RSRC3_GFX90A:TG_SPLIT: 0
	.section	.text._ZN2at6native12_GLOBAL__N_125multi_tensor_apply_kernelINS1_18TensorListMetadataILi1EEENS0_13LpNormFunctorIdLNS0_8NormTypeE3EN3c108BFloat16ELi1ELi1ELi0EEEJPfiEEEvT_T0_DpT1_,"axG",@progbits,_ZN2at6native12_GLOBAL__N_125multi_tensor_apply_kernelINS1_18TensorListMetadataILi1EEENS0_13LpNormFunctorIdLNS0_8NormTypeE3EN3c108BFloat16ELi1ELi1ELi0EEEJPfiEEEvT_T0_DpT1_,comdat
	.globl	_ZN2at6native12_GLOBAL__N_125multi_tensor_apply_kernelINS1_18TensorListMetadataILi1EEENS0_13LpNormFunctorIdLNS0_8NormTypeE3EN3c108BFloat16ELi1ELi1ELi0EEEJPfiEEEvT_T0_DpT1_ ; -- Begin function _ZN2at6native12_GLOBAL__N_125multi_tensor_apply_kernelINS1_18TensorListMetadataILi1EEENS0_13LpNormFunctorIdLNS0_8NormTypeE3EN3c108BFloat16ELi1ELi1ELi0EEEJPfiEEEvT_T0_DpT1_
	.p2align	8
	.type	_ZN2at6native12_GLOBAL__N_125multi_tensor_apply_kernelINS1_18TensorListMetadataILi1EEENS0_13LpNormFunctorIdLNS0_8NormTypeE3EN3c108BFloat16ELi1ELi1ELi0EEEJPfiEEEvT_T0_DpT1_,@function
_ZN2at6native12_GLOBAL__N_125multi_tensor_apply_kernelINS1_18TensorListMetadataILi1EEENS0_13LpNormFunctorIdLNS0_8NormTypeE3EN3c108BFloat16ELi1ELi1ELi0EEEJPfiEEEvT_T0_DpT1_: ; @_ZN2at6native12_GLOBAL__N_125multi_tensor_apply_kernelINS1_18TensorListMetadataILi1EEENS0_13LpNormFunctorIdLNS0_8NormTypeE3EN3c108BFloat16ELi1ELi1ELi0EEEJPfiEEEvT_T0_DpT1_
; %bb.0:
	v_mov_b32_e32 v1, s2
	global_load_ubyte v1, v1, s[0:1] offset:1760
	s_add_u32 s3, s0, s2
	s_mul_hi_u32 s4, s2, 3
	s_mul_i32 s2, s2, 3
	s_addc_u32 s5, s1, 0
	s_add_u32 s2, s3, s2
	s_addc_u32 s3, s5, s4
	s_load_dword s10, s[2:3], 0x820
	s_mov_b32 s15, 0
	s_waitcnt lgkmcnt(0)
	s_ashr_i32 s11, s10, 31
	s_lshl_b64 s[8:9], s[10:11], 16
	s_waitcnt vmcnt(0)
	v_readfirstlane_b32 s2, v1
	s_and_b32 s22, s2, 0xff
	s_lshl_b32 s6, s22, 3
	s_load_dwordx2 s[2:3], s[0:1], s6 offset:0x370
	s_load_dwordx2 s[4:5], s[0:1], s6 offset:0x0
	s_lshl_b64 s[6:7], s[10:11], 19
	s_waitcnt lgkmcnt(0)
	s_add_u32 s12, s4, s6
	s_addc_u32 s13, s5, s7
	s_sub_u32 s8, s2, s8
	s_subb_u32 s9, s3, s9
	s_and_b32 s14, s2, 3
	s_and_b32 s2, s12, 31
	s_mov_b32 s3, s15
	s_or_b64 s[2:3], s[14:15], s[2:3]
	s_cmp_eq_u64 s[2:3], 0
	s_cbranch_scc1 .LBB47_12
; %bb.1:
	v_cmp_lt_i64_e64 s[2:3], s[8:9], 1
	s_and_b64 vcc, exec, s[2:3]
	s_cbranch_vccnz .LBB47_13
; %bb.2:
	s_load_dword s14, s[0:1], 0xd4c
	v_mov_b64_e32 v[2:3], 0x10000
	v_cmp_lt_i64_e32 vcc, s[8:9], v[2:3]
	s_and_b64 s[2:3], vcc, exec
	v_mov_b32_e32 v7, 0
	s_cselect_b32 s3, s9, 0
	s_cselect_b32 s2, s8, 0x10000
	s_waitcnt lgkmcnt(0)
	s_and_b32 s17, s14, 0xffff
	v_mov_b32_e32 v6, v7
	v_mad_u64_u32 v[12:13], s[14:15], s17, 3, v[0:1]
	v_mov_b32_e32 v8, v7
	v_mov_b32_e32 v9, v7
	v_mov_b64_e32 v[2:3], v[6:7]
	s_mov_b32 s11, 0x10000
	s_lshl_b32 s16, s17, 2
	v_lshl_add_u32 v10, s17, 1, v0
	v_add_u32_e32 v14, s17, v0
	s_mov_b64 s[14:15], 0
	v_mov_b64_e32 v[16:17], s[2:3]
	v_mov_b64_e32 v[4:5], v[8:9]
	s_branch .LBB47_4
.LBB47_3:                               ;   in Loop: Header=BB47_4 Depth=1
	s_or_b64 exec, exec, s[2:3]
	s_add_u32 s14, s14, s16
	s_addc_u32 s15, s15, 0
	v_cmp_lt_i64_e32 vcc, s[14:15], v[16:17]
	s_cbranch_vccz .LBB47_14
.LBB47_4:                               ; =>This Inner Loop Header: Depth=1
	v_add_u32_e32 v6, s14, v0
	v_cmp_gt_i64_e32 vcc, s[8:9], v[6:7]
	v_cmp_gt_u32_e64 s[2:3], s11, v6
	s_and_b64 s[18:19], s[2:3], vcc
	s_and_saveexec_b64 s[2:3], s[18:19]
	s_cbranch_execz .LBB47_6
; %bb.5:                                ;   in Loop: Header=BB47_4 Depth=1
	v_lshl_add_u64 v[8:9], v[6:7], 3, s[12:13]
	global_load_dwordx2 v[8:9], v[8:9], off
	s_waitcnt vmcnt(0)
	v_cvt_f32_f64_e32 v1, v[8:9]
	v_cmp_u_f32_e32 vcc, v1, v1
	v_cmp_lt_f32_e64 s[18:19], v2, |v1|
	s_or_b64 s[18:19], vcc, s[18:19]
	s_nop 0
	v_cndmask_b32_e64 v2, v2, |v1|, s[18:19]
.LBB47_6:                               ;   in Loop: Header=BB47_4 Depth=1
	s_or_b64 exec, exec, s[2:3]
	v_add_u32_e32 v6, s14, v14
	v_cmp_gt_i64_e32 vcc, s[8:9], v[6:7]
	v_cmp_gt_u32_e64 s[2:3], s11, v6
	s_and_b64 s[18:19], s[2:3], vcc
	s_and_saveexec_b64 s[2:3], s[18:19]
	s_cbranch_execz .LBB47_8
; %bb.7:                                ;   in Loop: Header=BB47_4 Depth=1
	v_lshl_add_u64 v[8:9], v[6:7], 3, s[12:13]
	global_load_dwordx2 v[8:9], v[8:9], off
	s_waitcnt vmcnt(0)
	v_cvt_f32_f64_e32 v1, v[8:9]
	v_cmp_u_f32_e32 vcc, v1, v1
	v_cmp_lt_f32_e64 s[18:19], v3, |v1|
	s_or_b64 s[18:19], vcc, s[18:19]
	s_nop 0
	v_cndmask_b32_e64 v3, v3, |v1|, s[18:19]
.LBB47_8:                               ;   in Loop: Header=BB47_4 Depth=1
	s_or_b64 exec, exec, s[2:3]
	v_add_u32_e32 v6, s14, v10
	v_cmp_gt_i64_e32 vcc, s[8:9], v[6:7]
	v_cmp_gt_u32_e64 s[2:3], s11, v6
	s_and_b64 s[18:19], s[2:3], vcc
	s_and_saveexec_b64 s[2:3], s[18:19]
	s_cbranch_execz .LBB47_10
; %bb.9:                                ;   in Loop: Header=BB47_4 Depth=1
	v_lshl_add_u64 v[8:9], v[6:7], 3, s[12:13]
	global_load_dwordx2 v[8:9], v[8:9], off
	s_waitcnt vmcnt(0)
	v_cvt_f32_f64_e32 v1, v[8:9]
	v_cmp_u_f32_e32 vcc, v1, v1
	v_cmp_lt_f32_e64 s[18:19], v4, |v1|
	s_or_b64 s[18:19], vcc, s[18:19]
	s_nop 0
	v_cndmask_b32_e64 v4, v4, |v1|, s[18:19]
.LBB47_10:                              ;   in Loop: Header=BB47_4 Depth=1
	s_or_b64 exec, exec, s[2:3]
	v_add_u32_e32 v6, s14, v12
	v_cmp_gt_i64_e32 vcc, s[8:9], v[6:7]
	v_cmp_gt_u32_e64 s[2:3], s11, v6
	s_and_b64 s[18:19], s[2:3], vcc
	s_and_saveexec_b64 s[2:3], s[18:19]
	s_cbranch_execz .LBB47_3
; %bb.11:                               ;   in Loop: Header=BB47_4 Depth=1
	v_lshl_add_u64 v[8:9], v[6:7], 3, s[12:13]
	global_load_dwordx2 v[8:9], v[8:9], off
	s_waitcnt vmcnt(0)
	v_cvt_f32_f64_e32 v1, v[8:9]
	v_cmp_u_f32_e32 vcc, v1, v1
	v_cmp_lt_f32_e64 s[18:19], v5, |v1|
	s_or_b64 s[18:19], vcc, s[18:19]
	s_nop 0
	v_cndmask_b32_e64 v5, v5, |v1|, s[18:19]
	s_branch .LBB47_3
.LBB47_12:
                                        ; implicit-def: $vgpr2_vgpr3_vgpr4_vgpr5
	s_branch .LBB47_15
.LBB47_13:
	v_mov_b32_e32 v2, 0
	v_mov_b32_e32 v3, v2
	;; [unrolled: 1-line block ×4, first 2 shown]
.LBB47_14:
	s_cbranch_execnz .LBB47_20
.LBB47_15:
	v_mov_b64_e32 v[4:5], 0x10000
	v_cmp_lt_i64_e32 vcc, s[8:9], v[4:5]
	s_and_b64 s[2:3], vcc, exec
	v_mov_b32_e32 v3, 0
	s_cselect_b32 s13, s9, 0
	s_cselect_b32 s12, s8, 0x10000
	v_lshlrev_b32_e32 v2, 2, v0
	v_cmp_gt_i64_e32 vcc, s[12:13], v[2:3]
	s_mov_b32 s17, 0
	v_mov_b32_e32 v2, v3
	v_mov_b32_e32 v4, v3
	;; [unrolled: 1-line block ×3, first 2 shown]
	s_and_saveexec_b64 s[14:15], vcc
	s_cbranch_execz .LBB47_19
; %bb.16:
	s_load_dword s2, s[0:1], 0xd4c
	v_lshlrev_b32_e32 v2, 5, v0
	v_mov_b32_e32 v1, v3
	s_mov_b32 s19, s17
	s_mov_b64 s[20:21], 0
	s_waitcnt lgkmcnt(0)
	s_and_b32 s16, s2, 0xffff
	s_add_u32 s2, s4, s6
	s_addc_u32 s3, s5, s7
	v_lshl_add_u64 v[4:5], s[2:3], 0, v[2:3]
	s_lshl_b32 s18, s16, 5
	v_lshl_add_u64 v[8:9], v[4:5], 0, 16
	v_mov_b64_e32 v[10:11], v[0:1]
	v_mov_b32_e32 v5, 0
	v_mov_b32_e32 v6, 0
	;; [unrolled: 1-line block ×3, first 2 shown]
.LBB47_17:                              ; =>This Inner Loop Header: Depth=1
	global_load_dwordx4 v[12:15], v[8:9], off offset:-16
	global_load_dwordx4 v[16:19], v[8:9], off
	v_lshl_add_u64 v[10:11], v[10:11], 0, s[16:17]
	v_lshlrev_b64 v[20:21], 2, v[10:11]
	v_cmp_le_i64_e32 vcc, s[12:13], v[20:21]
	v_lshl_add_u64 v[8:9], v[8:9], 0, s[18:19]
	s_waitcnt vmcnt(1)
	v_cvt_f32_f64_e32 v1, v[12:13]
	s_waitcnt vmcnt(0)
	v_cvt_f32_f64_e32 v12, v[18:19]
	v_cvt_f32_f64_e32 v4, v[16:17]
	v_cmp_u_f32_e64 s[2:3], v12, v12
	v_cmp_lt_f32_e64 s[24:25], v7, |v12|
	v_cvt_f32_f64_e32 v2, v[14:15]
	v_cmp_u_f32_e64 s[4:5], v4, v4
	v_cmp_lt_f32_e64 s[26:27], v6, |v4|
	s_or_b64 s[2:3], s[2:3], s[24:25]
	v_cmp_u_f32_e64 s[6:7], v2, v2
	v_cmp_u_f32_e64 s[8:9], v1, v1
	v_cmp_lt_f32_e64 s[28:29], v5, |v2|
	v_cmp_lt_f32_e64 s[30:31], v3, |v1|
	v_cndmask_b32_e64 v7, v7, |v12|, s[2:3]
	s_or_b64 s[2:3], s[4:5], s[26:27]
	s_or_b64 s[8:9], s[8:9], s[30:31]
	v_cndmask_b32_e64 v6, v6, |v4|, s[2:3]
	s_or_b64 s[2:3], s[6:7], s[28:29]
	v_cndmask_b32_e64 v5, v5, |v2|, s[2:3]
	s_or_b64 s[20:21], vcc, s[20:21]
	v_cndmask_b32_e64 v3, v3, |v1|, s[8:9]
	s_andn2_b64 exec, exec, s[20:21]
	s_cbranch_execnz .LBB47_17
; %bb.18:
	s_or_b64 exec, exec, s[20:21]
	v_mov_b32_e32 v4, v3
	v_mov_b64_e32 v[2:3], v[4:5]
	v_mov_b64_e32 v[4:5], v[6:7]
.LBB47_19:
	s_or_b64 exec, exec, s[14:15]
.LBB47_20:
	v_cmp_nge_f32_e32 vcc, 0, v2
	v_and_b32_e32 v8, 63, v0
	s_nop 0
	v_cndmask_b32_e32 v1, 0, v2, vcc
	v_cmp_u_f32_e32 vcc, v3, v3
	v_cmp_lt_f32_e64 s[2:3], v1, v3
	s_or_b64 vcc, vcc, s[2:3]
	v_cndmask_b32_e32 v1, v1, v3, vcc
	v_cmp_u_f32_e32 vcc, v4, v4
	v_cmp_lt_f32_e64 s[2:3], v1, v4
	s_or_b64 vcc, vcc, s[2:3]
	;; [unrolled: 4-line block ×3, first 2 shown]
	v_cndmask_b32_e32 v2, v1, v5, vcc
	v_mbcnt_lo_u32_b32 v1, -1, 0
	v_mbcnt_hi_u32_b32 v6, -1, v1
	v_mov_b32_e32 v1, 0x80
	v_lshl_or_b32 v1, v6, 2, v1
	ds_bpermute_b32 v3, v1, v2
	v_and_b32_e32 v9, 63, v6
	s_barrier
	s_waitcnt lgkmcnt(0)
	v_cmp_u_f32_e32 vcc, v3, v3
	v_cmp_lt_f32_e64 s[2:3], v2, v3
	s_or_b64 vcc, vcc, s[2:3]
	v_cndmask_b32_e32 v3, v2, v3, vcc
	v_cmp_gt_u32_e32 vcc, 48, v9
	s_nop 1
	v_cndmask_b32_e64 v2, 0, 16, vcc
	v_add_lshl_u32 v2, v2, v6, 2
	ds_bpermute_b32 v4, v2, v3
	s_waitcnt lgkmcnt(0)
	v_cmp_u_f32_e32 vcc, v4, v4
	v_cmp_lt_f32_e64 s[2:3], v3, v4
	s_or_b64 vcc, vcc, s[2:3]
	v_cndmask_b32_e32 v4, v3, v4, vcc
	v_cmp_gt_u32_e32 vcc, 56, v9
	s_nop 1
	v_cndmask_b32_e64 v3, 0, 8, vcc
	v_add_lshl_u32 v3, v3, v6, 2
	ds_bpermute_b32 v5, v3, v4
	;; [unrolled: 10-line block ×4, first 2 shown]
	s_waitcnt lgkmcnt(0)
	v_cmp_u_f32_e32 vcc, v10, v10
	v_cmp_lt_f32_e64 s[2:3], v7, v10
	s_or_b64 vcc, vcc, s[2:3]
	v_cndmask_b32_e32 v7, v7, v10, vcc
	v_cmp_ne_u32_e32 vcc, 63, v9
	s_nop 1
	v_addc_co_u32_e32 v6, vcc, 0, v6, vcc
	v_lshlrev_b32_e32 v6, 2, v6
	ds_bpermute_b32 v9, v6, v7
	v_cmp_eq_u32_e32 vcc, 0, v8
	s_and_saveexec_b64 s[4:5], vcc
	s_cbranch_execz .LBB47_22
; %bb.21:
	s_waitcnt lgkmcnt(0)
	v_cmp_u_f32_e32 vcc, v9, v9
	v_cmp_lt_f32_e64 s[2:3], v7, v9
	s_or_b64 vcc, vcc, s[2:3]
	v_lshrrev_b32_e32 v10, 4, v0
	v_cndmask_b32_e32 v7, v7, v9, vcc
	ds_write_b32 v10, v7
.LBB47_22:
	s_or_b64 exec, exec, s[4:5]
	s_waitcnt lgkmcnt(0)
	s_barrier
	s_load_dword s2, s[0:1], 0xd4c
	v_mov_b32_e32 v7, 0xff7fffff
	s_waitcnt lgkmcnt(0)
	s_bfe_u32 s2, s2, 0xa0006
	v_cmp_gt_u32_e32 vcc, s2, v0
	s_and_saveexec_b64 s[2:3], vcc
	s_cbranch_execnz .LBB47_26
; %bb.23:
	s_or_b64 exec, exec, s[2:3]
	v_cmp_gt_u32_e32 vcc, 64, v0
	s_and_saveexec_b64 s[4:5], vcc
	s_cbranch_execnz .LBB47_27
.LBB47_24:
	s_or_b64 exec, exec, s[4:5]
	v_cmp_eq_u32_e32 vcc, 0, v0
	s_and_saveexec_b64 s[2:3], vcc
	s_cbranch_execnz .LBB47_28
.LBB47_25:
	s_endpgm
.LBB47_26:
	v_lshlrev_b32_e32 v7, 2, v8
	ds_read_b32 v7, v7
	s_or_b64 exec, exec, s[2:3]
	v_cmp_gt_u32_e32 vcc, 64, v0
	s_and_saveexec_b64 s[4:5], vcc
	s_cbranch_execz .LBB47_24
.LBB47_27:
	s_waitcnt lgkmcnt(0)
	ds_bpermute_b32 v1, v1, v7
	s_waitcnt lgkmcnt(0)
	v_cmp_u_f32_e32 vcc, v1, v1
	v_cmp_lt_f32_e64 s[2:3], v7, v1
	s_or_b64 vcc, vcc, s[2:3]
	v_cndmask_b32_e32 v1, v7, v1, vcc
	ds_bpermute_b32 v2, v2, v1
	s_waitcnt lgkmcnt(0)
	v_cmp_u_f32_e32 vcc, v2, v2
	v_cmp_lt_f32_e64 s[2:3], v1, v2
	s_or_b64 vcc, vcc, s[2:3]
	v_cndmask_b32_e32 v1, v1, v2, vcc
	;; [unrolled: 6-line block ×6, first 2 shown]
	s_or_b64 exec, exec, s[4:5]
	v_cmp_eq_u32_e32 vcc, 0, v0
	s_and_saveexec_b64 s[2:3], vcc
	s_cbranch_execz .LBB47_25
.LBB47_28:
	s_load_dword s4, s[0:1], 0xd20
	s_load_dword s5, s[0:1], 0xd38
	s_load_dwordx2 s[2:3], s[0:1], 0xd30
	v_mov_b32_e32 v0, 0
	s_waitcnt lgkmcnt(0)
	s_add_i32 s0, s4, s22
	s_mul_i32 s0, s0, s5
	s_add_i32 s0, s0, s10
	s_ashr_i32 s1, s0, 31
	s_lshl_b64 s[0:1], s[0:1], 2
	s_add_u32 s0, s2, s0
	s_addc_u32 s1, s3, s1
	global_store_dword v0, v7, s[0:1]
	s_endpgm
	.section	.rodata,"a",@progbits
	.p2align	6, 0x0
	.amdhsa_kernel _ZN2at6native12_GLOBAL__N_125multi_tensor_apply_kernelINS1_18TensorListMetadataILi1EEENS0_13LpNormFunctorIdLNS0_8NormTypeE3EN3c108BFloat16ELi1ELi1ELi0EEEJPfiEEEvT_T0_DpT1_
		.amdhsa_group_segment_fixed_size 2048
		.amdhsa_private_segment_fixed_size 0
		.amdhsa_kernarg_size 3648
		.amdhsa_user_sgpr_count 2
		.amdhsa_user_sgpr_dispatch_ptr 0
		.amdhsa_user_sgpr_queue_ptr 0
		.amdhsa_user_sgpr_kernarg_segment_ptr 1
		.amdhsa_user_sgpr_dispatch_id 0
		.amdhsa_user_sgpr_kernarg_preload_length 0
		.amdhsa_user_sgpr_kernarg_preload_offset 0
		.amdhsa_user_sgpr_private_segment_size 0
		.amdhsa_uses_dynamic_stack 0
		.amdhsa_enable_private_segment 0
		.amdhsa_system_sgpr_workgroup_id_x 1
		.amdhsa_system_sgpr_workgroup_id_y 0
		.amdhsa_system_sgpr_workgroup_id_z 0
		.amdhsa_system_sgpr_workgroup_info 0
		.amdhsa_system_vgpr_workitem_id 0
		.amdhsa_next_free_vgpr 22
		.amdhsa_next_free_sgpr 32
		.amdhsa_accum_offset 24
		.amdhsa_reserve_vcc 1
		.amdhsa_float_round_mode_32 0
		.amdhsa_float_round_mode_16_64 0
		.amdhsa_float_denorm_mode_32 3
		.amdhsa_float_denorm_mode_16_64 3
		.amdhsa_dx10_clamp 1
		.amdhsa_ieee_mode 1
		.amdhsa_fp16_overflow 0
		.amdhsa_tg_split 0
		.amdhsa_exception_fp_ieee_invalid_op 0
		.amdhsa_exception_fp_denorm_src 0
		.amdhsa_exception_fp_ieee_div_zero 0
		.amdhsa_exception_fp_ieee_overflow 0
		.amdhsa_exception_fp_ieee_underflow 0
		.amdhsa_exception_fp_ieee_inexact 0
		.amdhsa_exception_int_div_zero 0
	.end_amdhsa_kernel
	.section	.text._ZN2at6native12_GLOBAL__N_125multi_tensor_apply_kernelINS1_18TensorListMetadataILi1EEENS0_13LpNormFunctorIdLNS0_8NormTypeE3EN3c108BFloat16ELi1ELi1ELi0EEEJPfiEEEvT_T0_DpT1_,"axG",@progbits,_ZN2at6native12_GLOBAL__N_125multi_tensor_apply_kernelINS1_18TensorListMetadataILi1EEENS0_13LpNormFunctorIdLNS0_8NormTypeE3EN3c108BFloat16ELi1ELi1ELi0EEEJPfiEEEvT_T0_DpT1_,comdat
.Lfunc_end47:
	.size	_ZN2at6native12_GLOBAL__N_125multi_tensor_apply_kernelINS1_18TensorListMetadataILi1EEENS0_13LpNormFunctorIdLNS0_8NormTypeE3EN3c108BFloat16ELi1ELi1ELi0EEEJPfiEEEvT_T0_DpT1_, .Lfunc_end47-_ZN2at6native12_GLOBAL__N_125multi_tensor_apply_kernelINS1_18TensorListMetadataILi1EEENS0_13LpNormFunctorIdLNS0_8NormTypeE3EN3c108BFloat16ELi1ELi1ELi0EEEJPfiEEEvT_T0_DpT1_
                                        ; -- End function
	.set _ZN2at6native12_GLOBAL__N_125multi_tensor_apply_kernelINS1_18TensorListMetadataILi1EEENS0_13LpNormFunctorIdLNS0_8NormTypeE3EN3c108BFloat16ELi1ELi1ELi0EEEJPfiEEEvT_T0_DpT1_.num_vgpr, 22
	.set _ZN2at6native12_GLOBAL__N_125multi_tensor_apply_kernelINS1_18TensorListMetadataILi1EEENS0_13LpNormFunctorIdLNS0_8NormTypeE3EN3c108BFloat16ELi1ELi1ELi0EEEJPfiEEEvT_T0_DpT1_.num_agpr, 0
	.set _ZN2at6native12_GLOBAL__N_125multi_tensor_apply_kernelINS1_18TensorListMetadataILi1EEENS0_13LpNormFunctorIdLNS0_8NormTypeE3EN3c108BFloat16ELi1ELi1ELi0EEEJPfiEEEvT_T0_DpT1_.numbered_sgpr, 32
	.set _ZN2at6native12_GLOBAL__N_125multi_tensor_apply_kernelINS1_18TensorListMetadataILi1EEENS0_13LpNormFunctorIdLNS0_8NormTypeE3EN3c108BFloat16ELi1ELi1ELi0EEEJPfiEEEvT_T0_DpT1_.num_named_barrier, 0
	.set _ZN2at6native12_GLOBAL__N_125multi_tensor_apply_kernelINS1_18TensorListMetadataILi1EEENS0_13LpNormFunctorIdLNS0_8NormTypeE3EN3c108BFloat16ELi1ELi1ELi0EEEJPfiEEEvT_T0_DpT1_.private_seg_size, 0
	.set _ZN2at6native12_GLOBAL__N_125multi_tensor_apply_kernelINS1_18TensorListMetadataILi1EEENS0_13LpNormFunctorIdLNS0_8NormTypeE3EN3c108BFloat16ELi1ELi1ELi0EEEJPfiEEEvT_T0_DpT1_.uses_vcc, 1
	.set _ZN2at6native12_GLOBAL__N_125multi_tensor_apply_kernelINS1_18TensorListMetadataILi1EEENS0_13LpNormFunctorIdLNS0_8NormTypeE3EN3c108BFloat16ELi1ELi1ELi0EEEJPfiEEEvT_T0_DpT1_.uses_flat_scratch, 0
	.set _ZN2at6native12_GLOBAL__N_125multi_tensor_apply_kernelINS1_18TensorListMetadataILi1EEENS0_13LpNormFunctorIdLNS0_8NormTypeE3EN3c108BFloat16ELi1ELi1ELi0EEEJPfiEEEvT_T0_DpT1_.has_dyn_sized_stack, 0
	.set _ZN2at6native12_GLOBAL__N_125multi_tensor_apply_kernelINS1_18TensorListMetadataILi1EEENS0_13LpNormFunctorIdLNS0_8NormTypeE3EN3c108BFloat16ELi1ELi1ELi0EEEJPfiEEEvT_T0_DpT1_.has_recursion, 0
	.set _ZN2at6native12_GLOBAL__N_125multi_tensor_apply_kernelINS1_18TensorListMetadataILi1EEENS0_13LpNormFunctorIdLNS0_8NormTypeE3EN3c108BFloat16ELi1ELi1ELi0EEEJPfiEEEvT_T0_DpT1_.has_indirect_call, 0
	.section	.AMDGPU.csdata,"",@progbits
; Kernel info:
; codeLenInByte = 1856
; TotalNumSgprs: 38
; NumVgprs: 22
; NumAgprs: 0
; TotalNumVgprs: 22
; ScratchSize: 0
; MemoryBound: 0
; FloatMode: 240
; IeeeMode: 1
; LDSByteSize: 2048 bytes/workgroup (compile time only)
; SGPRBlocks: 4
; VGPRBlocks: 2
; NumSGPRsForWavesPerEU: 38
; NumVGPRsForWavesPerEU: 22
; AccumOffset: 24
; Occupancy: 8
; WaveLimiterHint : 0
; COMPUTE_PGM_RSRC2:SCRATCH_EN: 0
; COMPUTE_PGM_RSRC2:USER_SGPR: 2
; COMPUTE_PGM_RSRC2:TRAP_HANDLER: 0
; COMPUTE_PGM_RSRC2:TGID_X_EN: 1
; COMPUTE_PGM_RSRC2:TGID_Y_EN: 0
; COMPUTE_PGM_RSRC2:TGID_Z_EN: 0
; COMPUTE_PGM_RSRC2:TIDIG_COMP_CNT: 0
; COMPUTE_PGM_RSRC3_GFX90A:ACCUM_OFFSET: 5
; COMPUTE_PGM_RSRC3_GFX90A:TG_SPLIT: 0
	.section	.text._ZN2at6native14lpnorm_cleanupIdLNS0_8NormTypeE0EN3c108BFloat16ELb1EfEEvPKT3_NS0_19TensorListAddressesEi,"axG",@progbits,_ZN2at6native14lpnorm_cleanupIdLNS0_8NormTypeE0EN3c108BFloat16ELb1EfEEvPKT3_NS0_19TensorListAddressesEi,comdat
	.protected	_ZN2at6native14lpnorm_cleanupIdLNS0_8NormTypeE0EN3c108BFloat16ELb1EfEEvPKT3_NS0_19TensorListAddressesEi ; -- Begin function _ZN2at6native14lpnorm_cleanupIdLNS0_8NormTypeE0EN3c108BFloat16ELb1EfEEvPKT3_NS0_19TensorListAddressesEi
	.globl	_ZN2at6native14lpnorm_cleanupIdLNS0_8NormTypeE0EN3c108BFloat16ELb1EfEEvPKT3_NS0_19TensorListAddressesEi
	.p2align	8
	.type	_ZN2at6native14lpnorm_cleanupIdLNS0_8NormTypeE0EN3c108BFloat16ELb1EfEEvPKT3_NS0_19TensorListAddressesEi,@function
_ZN2at6native14lpnorm_cleanupIdLNS0_8NormTypeE0EN3c108BFloat16ELb1EfEEvPKT3_NS0_19TensorListAddressesEi: ; @_ZN2at6native14lpnorm_cleanupIdLNS0_8NormTypeE0EN3c108BFloat16ELb1EfEEvPKT3_NS0_19TensorListAddressesEi
; %bb.0:
	s_load_dword s6, s[0:1], 0xc88
	v_mov_b32_e32 v1, 0
	s_waitcnt lgkmcnt(0)
	v_cmp_gt_u32_e32 vcc, s6, v0
	s_and_saveexec_b64 s[4:5], vcc
	s_cbranch_execz .LBB48_4
; %bb.1:
	s_load_dwordx2 s[12:13], s[0:1], 0x0
	s_load_dword s3, s[0:1], 0xc9c
	s_mul_i32 s8, s6, s2
	s_mov_b32 s9, 0
	s_ashr_i32 s7, s6, 31
	s_lshl_b64 s[14:15], s[8:9], 2
	s_waitcnt lgkmcnt(0)
	s_and_b32 s10, s3, 0xffff
	v_mov_b32_e32 v1, 0
	s_add_u32 s12, s12, s14
	v_lshlrev_b32_e32 v2, 2, v0
	v_mov_b32_e32 v3, v1
	s_addc_u32 s13, s13, s15
	s_mov_b32 s11, s9
	v_lshl_add_u64 v[2:3], s[12:13], 0, v[2:3]
	s_lshl_b32 s8, s10, 2
	s_mov_b64 s[12:13], 0
	v_mov_b64_e32 v[4:5], v[0:1]
.LBB48_2:                               ; =>This Inner Loop Header: Depth=1
	global_load_dword v6, v[2:3], off
	v_lshl_add_u64 v[4:5], v[4:5], 0, s[10:11]
	v_cmp_le_u64_e32 vcc, s[6:7], v[4:5]
	v_lshl_add_u64 v[2:3], v[2:3], 0, s[8:9]
	s_or_b64 s[12:13], vcc, s[12:13]
	s_waitcnt vmcnt(0)
	v_add_f32_e32 v1, v1, v6
	s_andn2_b64 exec, exec, s[12:13]
	s_cbranch_execnz .LBB48_2
; %bb.3:
	s_or_b64 exec, exec, s[12:13]
.LBB48_4:
	s_or_b64 exec, exec, s[4:5]
	v_mbcnt_lo_u32_b32 v2, -1, 0
	v_mbcnt_hi_u32_b32 v6, -1, v2
	v_mov_b32_e32 v2, 0x80
	v_lshl_or_b32 v2, v6, 2, v2
	ds_bpermute_b32 v3, v2, v1
	v_and_b32_e32 v7, 63, v6
	v_cmp_gt_u32_e32 vcc, 48, v7
	s_waitcnt lgkmcnt(0)
	s_barrier
	v_cndmask_b32_e64 v4, 0, 16, vcc
	v_add_f32_e32 v5, v1, v3
	v_add_lshl_u32 v1, v4, v6, 2
	ds_bpermute_b32 v4, v1, v5
	v_cmp_gt_u32_e32 vcc, 56, v7
	s_waitcnt lgkmcnt(0)
	v_add_f32_e32 v5, v5, v4
	v_cndmask_b32_e64 v3, 0, 8, vcc
	v_add_lshl_u32 v3, v3, v6, 2
	ds_bpermute_b32 v8, v3, v5
	v_cmp_gt_u32_e32 vcc, 60, v7
	s_waitcnt lgkmcnt(0)
	v_add_f32_e32 v8, v5, v8
	v_cndmask_b32_e64 v4, 0, 4, vcc
	;; [unrolled: 6-line block ×3, first 2 shown]
	v_add_lshl_u32 v5, v5, v6, 2
	ds_bpermute_b32 v10, v5, v9
	v_cmp_ne_u32_e32 vcc, 63, v7
	v_and_b32_e32 v8, 63, v0
	s_waitcnt lgkmcnt(0)
	v_add_f32_e32 v7, v9, v10
	v_addc_co_u32_e32 v6, vcc, 0, v6, vcc
	v_lshlrev_b32_e32 v6, 2, v6
	ds_bpermute_b32 v9, v6, v7
	v_cmp_eq_u32_e32 vcc, 0, v8
	s_and_saveexec_b64 s[4:5], vcc
	s_cbranch_execz .LBB48_6
; %bb.5:
	s_waitcnt lgkmcnt(0)
	v_add_f32_e32 v7, v7, v9
	v_lshrrev_b32_e32 v9, 4, v0
	ds_write_b32 v9, v7
.LBB48_6:
	s_or_b64 exec, exec, s[4:5]
	s_waitcnt lgkmcnt(0)
	s_barrier
	s_load_dword s3, s[0:1], 0xc9c
	v_mov_b32_e32 v7, 0
	s_waitcnt lgkmcnt(0)
	s_bfe_u32 s3, s3, 0xa0006
	v_cmp_gt_u32_e32 vcc, s3, v0
	s_and_saveexec_b64 s[4:5], vcc
; %bb.7:
	v_lshlrev_b32_e32 v7, 2, v8
	ds_read_b32 v7, v7
; %bb.8:
	s_or_b64 exec, exec, s[4:5]
	v_cmp_gt_u32_e32 vcc, 64, v0
	s_and_saveexec_b64 s[4:5], vcc
	s_cbranch_execz .LBB48_10
; %bb.9:
	s_waitcnt lgkmcnt(0)
	ds_bpermute_b32 v2, v2, v7
	s_waitcnt lgkmcnt(0)
	v_add_f32_e32 v2, v7, v2
	ds_bpermute_b32 v1, v1, v2
	s_waitcnt lgkmcnt(0)
	v_add_f32_e32 v1, v2, v1
	;; [unrolled: 3-line block ×6, first 2 shown]
.LBB48_10:
	s_or_b64 exec, exec, s[4:5]
	s_mov_b32 s3, 0
	v_cmp_eq_u32_e32 vcc, 0, v0
	s_and_saveexec_b64 s[4:5], vcc
	s_cbranch_execz .LBB48_12
; %bb.11:
	s_lshl_b64 s[2:3], s[2:3], 3
	s_add_u32 s0, s0, s2
	s_addc_u32 s1, s1, s3
	s_load_dwordx2 s[0:1], s[0:1], 0x8
	s_waitcnt lgkmcnt(0)
	v_bfe_u32 v0, v7, 16, 1
	s_movk_i32 s4, 0x7fff
	v_add3_u32 v0, v7, v0, s4
	v_cmp_o_f32_e32 vcc, v7, v7
	v_mov_b32_e32 v1, 0x7fc0
	s_nop 0
	v_cndmask_b32_sdwa v0, v1, v0, vcc dst_sel:DWORD dst_unused:UNUSED_PAD src0_sel:DWORD src1_sel:WORD_1
	v_mov_b32_e32 v1, 0
	global_store_short v1, v0, s[0:1]
.LBB48_12:
	s_endpgm
	.section	.rodata,"a",@progbits
	.p2align	6, 0x0
	.amdhsa_kernel _ZN2at6native14lpnorm_cleanupIdLNS0_8NormTypeE0EN3c108BFloat16ELb1EfEEvPKT3_NS0_19TensorListAddressesEi
		.amdhsa_group_segment_fixed_size 2048
		.amdhsa_private_segment_fixed_size 0
		.amdhsa_kernarg_size 3472
		.amdhsa_user_sgpr_count 2
		.amdhsa_user_sgpr_dispatch_ptr 0
		.amdhsa_user_sgpr_queue_ptr 0
		.amdhsa_user_sgpr_kernarg_segment_ptr 1
		.amdhsa_user_sgpr_dispatch_id 0
		.amdhsa_user_sgpr_kernarg_preload_length 0
		.amdhsa_user_sgpr_kernarg_preload_offset 0
		.amdhsa_user_sgpr_private_segment_size 0
		.amdhsa_uses_dynamic_stack 0
		.amdhsa_enable_private_segment 0
		.amdhsa_system_sgpr_workgroup_id_x 1
		.amdhsa_system_sgpr_workgroup_id_y 0
		.amdhsa_system_sgpr_workgroup_id_z 0
		.amdhsa_system_sgpr_workgroup_info 0
		.amdhsa_system_vgpr_workitem_id 0
		.amdhsa_next_free_vgpr 11
		.amdhsa_next_free_sgpr 16
		.amdhsa_accum_offset 12
		.amdhsa_reserve_vcc 1
		.amdhsa_float_round_mode_32 0
		.amdhsa_float_round_mode_16_64 0
		.amdhsa_float_denorm_mode_32 3
		.amdhsa_float_denorm_mode_16_64 3
		.amdhsa_dx10_clamp 1
		.amdhsa_ieee_mode 1
		.amdhsa_fp16_overflow 0
		.amdhsa_tg_split 0
		.amdhsa_exception_fp_ieee_invalid_op 0
		.amdhsa_exception_fp_denorm_src 0
		.amdhsa_exception_fp_ieee_div_zero 0
		.amdhsa_exception_fp_ieee_overflow 0
		.amdhsa_exception_fp_ieee_underflow 0
		.amdhsa_exception_fp_ieee_inexact 0
		.amdhsa_exception_int_div_zero 0
	.end_amdhsa_kernel
	.section	.text._ZN2at6native14lpnorm_cleanupIdLNS0_8NormTypeE0EN3c108BFloat16ELb1EfEEvPKT3_NS0_19TensorListAddressesEi,"axG",@progbits,_ZN2at6native14lpnorm_cleanupIdLNS0_8NormTypeE0EN3c108BFloat16ELb1EfEEvPKT3_NS0_19TensorListAddressesEi,comdat
.Lfunc_end48:
	.size	_ZN2at6native14lpnorm_cleanupIdLNS0_8NormTypeE0EN3c108BFloat16ELb1EfEEvPKT3_NS0_19TensorListAddressesEi, .Lfunc_end48-_ZN2at6native14lpnorm_cleanupIdLNS0_8NormTypeE0EN3c108BFloat16ELb1EfEEvPKT3_NS0_19TensorListAddressesEi
                                        ; -- End function
	.set _ZN2at6native14lpnorm_cleanupIdLNS0_8NormTypeE0EN3c108BFloat16ELb1EfEEvPKT3_NS0_19TensorListAddressesEi.num_vgpr, 11
	.set _ZN2at6native14lpnorm_cleanupIdLNS0_8NormTypeE0EN3c108BFloat16ELb1EfEEvPKT3_NS0_19TensorListAddressesEi.num_agpr, 0
	.set _ZN2at6native14lpnorm_cleanupIdLNS0_8NormTypeE0EN3c108BFloat16ELb1EfEEvPKT3_NS0_19TensorListAddressesEi.numbered_sgpr, 16
	.set _ZN2at6native14lpnorm_cleanupIdLNS0_8NormTypeE0EN3c108BFloat16ELb1EfEEvPKT3_NS0_19TensorListAddressesEi.num_named_barrier, 0
	.set _ZN2at6native14lpnorm_cleanupIdLNS0_8NormTypeE0EN3c108BFloat16ELb1EfEEvPKT3_NS0_19TensorListAddressesEi.private_seg_size, 0
	.set _ZN2at6native14lpnorm_cleanupIdLNS0_8NormTypeE0EN3c108BFloat16ELb1EfEEvPKT3_NS0_19TensorListAddressesEi.uses_vcc, 1
	.set _ZN2at6native14lpnorm_cleanupIdLNS0_8NormTypeE0EN3c108BFloat16ELb1EfEEvPKT3_NS0_19TensorListAddressesEi.uses_flat_scratch, 0
	.set _ZN2at6native14lpnorm_cleanupIdLNS0_8NormTypeE0EN3c108BFloat16ELb1EfEEvPKT3_NS0_19TensorListAddressesEi.has_dyn_sized_stack, 0
	.set _ZN2at6native14lpnorm_cleanupIdLNS0_8NormTypeE0EN3c108BFloat16ELb1EfEEvPKT3_NS0_19TensorListAddressesEi.has_recursion, 0
	.set _ZN2at6native14lpnorm_cleanupIdLNS0_8NormTypeE0EN3c108BFloat16ELb1EfEEvPKT3_NS0_19TensorListAddressesEi.has_indirect_call, 0
	.section	.AMDGPU.csdata,"",@progbits
; Kernel info:
; codeLenInByte = 704
; TotalNumSgprs: 22
; NumVgprs: 11
; NumAgprs: 0
; TotalNumVgprs: 11
; ScratchSize: 0
; MemoryBound: 0
; FloatMode: 240
; IeeeMode: 1
; LDSByteSize: 2048 bytes/workgroup (compile time only)
; SGPRBlocks: 2
; VGPRBlocks: 1
; NumSGPRsForWavesPerEU: 22
; NumVGPRsForWavesPerEU: 11
; AccumOffset: 12
; Occupancy: 8
; WaveLimiterHint : 0
; COMPUTE_PGM_RSRC2:SCRATCH_EN: 0
; COMPUTE_PGM_RSRC2:USER_SGPR: 2
; COMPUTE_PGM_RSRC2:TRAP_HANDLER: 0
; COMPUTE_PGM_RSRC2:TGID_X_EN: 1
; COMPUTE_PGM_RSRC2:TGID_Y_EN: 0
; COMPUTE_PGM_RSRC2:TGID_Z_EN: 0
; COMPUTE_PGM_RSRC2:TIDIG_COMP_CNT: 0
; COMPUTE_PGM_RSRC3_GFX90A:ACCUM_OFFSET: 2
; COMPUTE_PGM_RSRC3_GFX90A:TG_SPLIT: 0
	.section	.text._ZN2at6native14lpnorm_cleanupIdLNS0_8NormTypeE1EN3c108BFloat16ELb1EfEEvPKT3_NS0_19TensorListAddressesEi,"axG",@progbits,_ZN2at6native14lpnorm_cleanupIdLNS0_8NormTypeE1EN3c108BFloat16ELb1EfEEvPKT3_NS0_19TensorListAddressesEi,comdat
	.protected	_ZN2at6native14lpnorm_cleanupIdLNS0_8NormTypeE1EN3c108BFloat16ELb1EfEEvPKT3_NS0_19TensorListAddressesEi ; -- Begin function _ZN2at6native14lpnorm_cleanupIdLNS0_8NormTypeE1EN3c108BFloat16ELb1EfEEvPKT3_NS0_19TensorListAddressesEi
	.globl	_ZN2at6native14lpnorm_cleanupIdLNS0_8NormTypeE1EN3c108BFloat16ELb1EfEEvPKT3_NS0_19TensorListAddressesEi
	.p2align	8
	.type	_ZN2at6native14lpnorm_cleanupIdLNS0_8NormTypeE1EN3c108BFloat16ELb1EfEEvPKT3_NS0_19TensorListAddressesEi,@function
_ZN2at6native14lpnorm_cleanupIdLNS0_8NormTypeE1EN3c108BFloat16ELb1EfEEvPKT3_NS0_19TensorListAddressesEi: ; @_ZN2at6native14lpnorm_cleanupIdLNS0_8NormTypeE1EN3c108BFloat16ELb1EfEEvPKT3_NS0_19TensorListAddressesEi
; %bb.0:
	s_load_dword s6, s[0:1], 0xc88
	v_mov_b32_e32 v1, 0
	s_waitcnt lgkmcnt(0)
	v_cmp_gt_u32_e32 vcc, s6, v0
	s_and_saveexec_b64 s[4:5], vcc
	s_cbranch_execz .LBB49_4
; %bb.1:
	s_load_dwordx2 s[12:13], s[0:1], 0x0
	s_load_dword s3, s[0:1], 0xc9c
	s_mul_i32 s8, s6, s2
	s_mov_b32 s9, 0
	s_ashr_i32 s7, s6, 31
	s_lshl_b64 s[14:15], s[8:9], 2
	s_waitcnt lgkmcnt(0)
	s_and_b32 s10, s3, 0xffff
	v_mov_b32_e32 v1, 0
	s_add_u32 s12, s12, s14
	v_lshlrev_b32_e32 v2, 2, v0
	v_mov_b32_e32 v3, v1
	s_addc_u32 s13, s13, s15
	s_mov_b32 s11, s9
	v_lshl_add_u64 v[2:3], s[12:13], 0, v[2:3]
	s_lshl_b32 s8, s10, 2
	s_mov_b64 s[12:13], 0
	v_mov_b64_e32 v[4:5], v[0:1]
.LBB49_2:                               ; =>This Inner Loop Header: Depth=1
	global_load_dword v6, v[2:3], off
	v_lshl_add_u64 v[4:5], v[4:5], 0, s[10:11]
	v_cmp_le_u64_e32 vcc, s[6:7], v[4:5]
	v_lshl_add_u64 v[2:3], v[2:3], 0, s[8:9]
	s_or_b64 s[12:13], vcc, s[12:13]
	s_waitcnt vmcnt(0)
	v_add_f32_e32 v1, v1, v6
	s_andn2_b64 exec, exec, s[12:13]
	s_cbranch_execnz .LBB49_2
; %bb.3:
	s_or_b64 exec, exec, s[12:13]
.LBB49_4:
	s_or_b64 exec, exec, s[4:5]
	v_mbcnt_lo_u32_b32 v2, -1, 0
	v_mbcnt_hi_u32_b32 v6, -1, v2
	v_mov_b32_e32 v2, 0x80
	v_lshl_or_b32 v2, v6, 2, v2
	ds_bpermute_b32 v3, v2, v1
	v_and_b32_e32 v7, 63, v6
	v_cmp_gt_u32_e32 vcc, 48, v7
	s_waitcnt lgkmcnt(0)
	s_barrier
	v_cndmask_b32_e64 v4, 0, 16, vcc
	v_add_f32_e32 v5, v1, v3
	v_add_lshl_u32 v1, v4, v6, 2
	ds_bpermute_b32 v4, v1, v5
	v_cmp_gt_u32_e32 vcc, 56, v7
	s_waitcnt lgkmcnt(0)
	v_add_f32_e32 v5, v5, v4
	v_cndmask_b32_e64 v3, 0, 8, vcc
	v_add_lshl_u32 v3, v3, v6, 2
	ds_bpermute_b32 v8, v3, v5
	v_cmp_gt_u32_e32 vcc, 60, v7
	s_waitcnt lgkmcnt(0)
	v_add_f32_e32 v8, v5, v8
	v_cndmask_b32_e64 v4, 0, 4, vcc
	;; [unrolled: 6-line block ×3, first 2 shown]
	v_add_lshl_u32 v5, v5, v6, 2
	ds_bpermute_b32 v10, v5, v9
	v_cmp_ne_u32_e32 vcc, 63, v7
	v_and_b32_e32 v8, 63, v0
	s_waitcnt lgkmcnt(0)
	v_add_f32_e32 v7, v9, v10
	v_addc_co_u32_e32 v6, vcc, 0, v6, vcc
	v_lshlrev_b32_e32 v6, 2, v6
	ds_bpermute_b32 v9, v6, v7
	v_cmp_eq_u32_e32 vcc, 0, v8
	s_and_saveexec_b64 s[4:5], vcc
	s_cbranch_execz .LBB49_6
; %bb.5:
	s_waitcnt lgkmcnt(0)
	v_add_f32_e32 v7, v7, v9
	v_lshrrev_b32_e32 v9, 4, v0
	ds_write_b32 v9, v7
.LBB49_6:
	s_or_b64 exec, exec, s[4:5]
	s_waitcnt lgkmcnt(0)
	s_barrier
	s_load_dword s3, s[0:1], 0xc9c
	v_mov_b32_e32 v7, 0
	s_waitcnt lgkmcnt(0)
	s_bfe_u32 s3, s3, 0xa0006
	v_cmp_gt_u32_e32 vcc, s3, v0
	s_and_saveexec_b64 s[4:5], vcc
; %bb.7:
	v_lshlrev_b32_e32 v7, 2, v8
	ds_read_b32 v7, v7
; %bb.8:
	s_or_b64 exec, exec, s[4:5]
	v_cmp_gt_u32_e32 vcc, 64, v0
	s_and_saveexec_b64 s[4:5], vcc
	s_cbranch_execz .LBB49_10
; %bb.9:
	s_waitcnt lgkmcnt(0)
	ds_bpermute_b32 v2, v2, v7
	s_waitcnt lgkmcnt(0)
	v_add_f32_e32 v2, v7, v2
	ds_bpermute_b32 v1, v1, v2
	s_waitcnt lgkmcnt(0)
	v_add_f32_e32 v1, v2, v1
	;; [unrolled: 3-line block ×6, first 2 shown]
.LBB49_10:
	s_or_b64 exec, exec, s[4:5]
	s_mov_b32 s3, 0
	v_cmp_eq_u32_e32 vcc, 0, v0
	s_and_saveexec_b64 s[4:5], vcc
	s_cbranch_execz .LBB49_12
; %bb.11:
	s_lshl_b64 s[2:3], s[2:3], 3
	s_add_u32 s0, s0, s2
	s_addc_u32 s1, s1, s3
	s_load_dwordx2 s[0:1], s[0:1], 0x8
	s_waitcnt lgkmcnt(0)
	v_bfe_u32 v0, v7, 16, 1
	s_movk_i32 s4, 0x7fff
	v_add3_u32 v0, v7, v0, s4
	v_cmp_o_f32_e32 vcc, v7, v7
	v_mov_b32_e32 v1, 0x7fc0
	s_nop 0
	v_cndmask_b32_sdwa v0, v1, v0, vcc dst_sel:DWORD dst_unused:UNUSED_PAD src0_sel:DWORD src1_sel:WORD_1
	v_mov_b32_e32 v1, 0
	global_store_short v1, v0, s[0:1]
.LBB49_12:
	s_endpgm
	.section	.rodata,"a",@progbits
	.p2align	6, 0x0
	.amdhsa_kernel _ZN2at6native14lpnorm_cleanupIdLNS0_8NormTypeE1EN3c108BFloat16ELb1EfEEvPKT3_NS0_19TensorListAddressesEi
		.amdhsa_group_segment_fixed_size 2048
		.amdhsa_private_segment_fixed_size 0
		.amdhsa_kernarg_size 3472
		.amdhsa_user_sgpr_count 2
		.amdhsa_user_sgpr_dispatch_ptr 0
		.amdhsa_user_sgpr_queue_ptr 0
		.amdhsa_user_sgpr_kernarg_segment_ptr 1
		.amdhsa_user_sgpr_dispatch_id 0
		.amdhsa_user_sgpr_kernarg_preload_length 0
		.amdhsa_user_sgpr_kernarg_preload_offset 0
		.amdhsa_user_sgpr_private_segment_size 0
		.amdhsa_uses_dynamic_stack 0
		.amdhsa_enable_private_segment 0
		.amdhsa_system_sgpr_workgroup_id_x 1
		.amdhsa_system_sgpr_workgroup_id_y 0
		.amdhsa_system_sgpr_workgroup_id_z 0
		.amdhsa_system_sgpr_workgroup_info 0
		.amdhsa_system_vgpr_workitem_id 0
		.amdhsa_next_free_vgpr 11
		.amdhsa_next_free_sgpr 16
		.amdhsa_accum_offset 12
		.amdhsa_reserve_vcc 1
		.amdhsa_float_round_mode_32 0
		.amdhsa_float_round_mode_16_64 0
		.amdhsa_float_denorm_mode_32 3
		.amdhsa_float_denorm_mode_16_64 3
		.amdhsa_dx10_clamp 1
		.amdhsa_ieee_mode 1
		.amdhsa_fp16_overflow 0
		.amdhsa_tg_split 0
		.amdhsa_exception_fp_ieee_invalid_op 0
		.amdhsa_exception_fp_denorm_src 0
		.amdhsa_exception_fp_ieee_div_zero 0
		.amdhsa_exception_fp_ieee_overflow 0
		.amdhsa_exception_fp_ieee_underflow 0
		.amdhsa_exception_fp_ieee_inexact 0
		.amdhsa_exception_int_div_zero 0
	.end_amdhsa_kernel
	.section	.text._ZN2at6native14lpnorm_cleanupIdLNS0_8NormTypeE1EN3c108BFloat16ELb1EfEEvPKT3_NS0_19TensorListAddressesEi,"axG",@progbits,_ZN2at6native14lpnorm_cleanupIdLNS0_8NormTypeE1EN3c108BFloat16ELb1EfEEvPKT3_NS0_19TensorListAddressesEi,comdat
.Lfunc_end49:
	.size	_ZN2at6native14lpnorm_cleanupIdLNS0_8NormTypeE1EN3c108BFloat16ELb1EfEEvPKT3_NS0_19TensorListAddressesEi, .Lfunc_end49-_ZN2at6native14lpnorm_cleanupIdLNS0_8NormTypeE1EN3c108BFloat16ELb1EfEEvPKT3_NS0_19TensorListAddressesEi
                                        ; -- End function
	.set _ZN2at6native14lpnorm_cleanupIdLNS0_8NormTypeE1EN3c108BFloat16ELb1EfEEvPKT3_NS0_19TensorListAddressesEi.num_vgpr, 11
	.set _ZN2at6native14lpnorm_cleanupIdLNS0_8NormTypeE1EN3c108BFloat16ELb1EfEEvPKT3_NS0_19TensorListAddressesEi.num_agpr, 0
	.set _ZN2at6native14lpnorm_cleanupIdLNS0_8NormTypeE1EN3c108BFloat16ELb1EfEEvPKT3_NS0_19TensorListAddressesEi.numbered_sgpr, 16
	.set _ZN2at6native14lpnorm_cleanupIdLNS0_8NormTypeE1EN3c108BFloat16ELb1EfEEvPKT3_NS0_19TensorListAddressesEi.num_named_barrier, 0
	.set _ZN2at6native14lpnorm_cleanupIdLNS0_8NormTypeE1EN3c108BFloat16ELb1EfEEvPKT3_NS0_19TensorListAddressesEi.private_seg_size, 0
	.set _ZN2at6native14lpnorm_cleanupIdLNS0_8NormTypeE1EN3c108BFloat16ELb1EfEEvPKT3_NS0_19TensorListAddressesEi.uses_vcc, 1
	.set _ZN2at6native14lpnorm_cleanupIdLNS0_8NormTypeE1EN3c108BFloat16ELb1EfEEvPKT3_NS0_19TensorListAddressesEi.uses_flat_scratch, 0
	.set _ZN2at6native14lpnorm_cleanupIdLNS0_8NormTypeE1EN3c108BFloat16ELb1EfEEvPKT3_NS0_19TensorListAddressesEi.has_dyn_sized_stack, 0
	.set _ZN2at6native14lpnorm_cleanupIdLNS0_8NormTypeE1EN3c108BFloat16ELb1EfEEvPKT3_NS0_19TensorListAddressesEi.has_recursion, 0
	.set _ZN2at6native14lpnorm_cleanupIdLNS0_8NormTypeE1EN3c108BFloat16ELb1EfEEvPKT3_NS0_19TensorListAddressesEi.has_indirect_call, 0
	.section	.AMDGPU.csdata,"",@progbits
; Kernel info:
; codeLenInByte = 704
; TotalNumSgprs: 22
; NumVgprs: 11
; NumAgprs: 0
; TotalNumVgprs: 11
; ScratchSize: 0
; MemoryBound: 0
; FloatMode: 240
; IeeeMode: 1
; LDSByteSize: 2048 bytes/workgroup (compile time only)
; SGPRBlocks: 2
; VGPRBlocks: 1
; NumSGPRsForWavesPerEU: 22
; NumVGPRsForWavesPerEU: 11
; AccumOffset: 12
; Occupancy: 8
; WaveLimiterHint : 0
; COMPUTE_PGM_RSRC2:SCRATCH_EN: 0
; COMPUTE_PGM_RSRC2:USER_SGPR: 2
; COMPUTE_PGM_RSRC2:TRAP_HANDLER: 0
; COMPUTE_PGM_RSRC2:TGID_X_EN: 1
; COMPUTE_PGM_RSRC2:TGID_Y_EN: 0
; COMPUTE_PGM_RSRC2:TGID_Z_EN: 0
; COMPUTE_PGM_RSRC2:TIDIG_COMP_CNT: 0
; COMPUTE_PGM_RSRC3_GFX90A:ACCUM_OFFSET: 2
; COMPUTE_PGM_RSRC3_GFX90A:TG_SPLIT: 0
	.section	.text._ZN2at6native14lpnorm_cleanupIdLNS0_8NormTypeE2EN3c108BFloat16ELb1EfEEvPKT3_NS0_19TensorListAddressesEi,"axG",@progbits,_ZN2at6native14lpnorm_cleanupIdLNS0_8NormTypeE2EN3c108BFloat16ELb1EfEEvPKT3_NS0_19TensorListAddressesEi,comdat
	.protected	_ZN2at6native14lpnorm_cleanupIdLNS0_8NormTypeE2EN3c108BFloat16ELb1EfEEvPKT3_NS0_19TensorListAddressesEi ; -- Begin function _ZN2at6native14lpnorm_cleanupIdLNS0_8NormTypeE2EN3c108BFloat16ELb1EfEEvPKT3_NS0_19TensorListAddressesEi
	.globl	_ZN2at6native14lpnorm_cleanupIdLNS0_8NormTypeE2EN3c108BFloat16ELb1EfEEvPKT3_NS0_19TensorListAddressesEi
	.p2align	8
	.type	_ZN2at6native14lpnorm_cleanupIdLNS0_8NormTypeE2EN3c108BFloat16ELb1EfEEvPKT3_NS0_19TensorListAddressesEi,@function
_ZN2at6native14lpnorm_cleanupIdLNS0_8NormTypeE2EN3c108BFloat16ELb1EfEEvPKT3_NS0_19TensorListAddressesEi: ; @_ZN2at6native14lpnorm_cleanupIdLNS0_8NormTypeE2EN3c108BFloat16ELb1EfEEvPKT3_NS0_19TensorListAddressesEi
; %bb.0:
	s_load_dword s6, s[0:1], 0xc88
	v_mov_b32_e32 v1, 0
	s_waitcnt lgkmcnt(0)
	v_cmp_gt_u32_e32 vcc, s6, v0
	s_and_saveexec_b64 s[4:5], vcc
	s_cbranch_execz .LBB50_4
; %bb.1:
	s_load_dwordx2 s[12:13], s[0:1], 0x0
	s_load_dword s3, s[0:1], 0xc9c
	s_mul_i32 s8, s6, s2
	s_mov_b32 s9, 0
	s_ashr_i32 s7, s6, 31
	s_lshl_b64 s[14:15], s[8:9], 2
	s_waitcnt lgkmcnt(0)
	s_and_b32 s10, s3, 0xffff
	v_mov_b32_e32 v1, 0
	s_add_u32 s12, s12, s14
	v_lshlrev_b32_e32 v2, 2, v0
	v_mov_b32_e32 v3, v1
	s_addc_u32 s13, s13, s15
	s_mov_b32 s11, s9
	v_lshl_add_u64 v[2:3], s[12:13], 0, v[2:3]
	s_lshl_b32 s8, s10, 2
	s_mov_b64 s[12:13], 0
	v_mov_b64_e32 v[4:5], v[0:1]
.LBB50_2:                               ; =>This Inner Loop Header: Depth=1
	global_load_dword v6, v[2:3], off
	v_lshl_add_u64 v[4:5], v[4:5], 0, s[10:11]
	v_cmp_le_u64_e32 vcc, s[6:7], v[4:5]
	v_lshl_add_u64 v[2:3], v[2:3], 0, s[8:9]
	s_or_b64 s[12:13], vcc, s[12:13]
	s_waitcnt vmcnt(0)
	v_add_f32_e32 v1, v1, v6
	s_andn2_b64 exec, exec, s[12:13]
	s_cbranch_execnz .LBB50_2
; %bb.3:
	s_or_b64 exec, exec, s[12:13]
.LBB50_4:
	s_or_b64 exec, exec, s[4:5]
	v_mbcnt_lo_u32_b32 v2, -1, 0
	v_mbcnt_hi_u32_b32 v6, -1, v2
	v_mov_b32_e32 v2, 0x80
	v_lshl_or_b32 v2, v6, 2, v2
	ds_bpermute_b32 v3, v2, v1
	v_and_b32_e32 v7, 63, v6
	v_cmp_gt_u32_e32 vcc, 48, v7
	s_waitcnt lgkmcnt(0)
	s_barrier
	v_cndmask_b32_e64 v4, 0, 16, vcc
	v_add_f32_e32 v5, v1, v3
	v_add_lshl_u32 v1, v4, v6, 2
	ds_bpermute_b32 v4, v1, v5
	v_cmp_gt_u32_e32 vcc, 56, v7
	s_waitcnt lgkmcnt(0)
	v_add_f32_e32 v5, v5, v4
	v_cndmask_b32_e64 v3, 0, 8, vcc
	v_add_lshl_u32 v3, v3, v6, 2
	ds_bpermute_b32 v8, v3, v5
	v_cmp_gt_u32_e32 vcc, 60, v7
	s_waitcnt lgkmcnt(0)
	v_add_f32_e32 v8, v5, v8
	v_cndmask_b32_e64 v4, 0, 4, vcc
	;; [unrolled: 6-line block ×3, first 2 shown]
	v_add_lshl_u32 v5, v5, v6, 2
	ds_bpermute_b32 v10, v5, v9
	v_cmp_ne_u32_e32 vcc, 63, v7
	v_and_b32_e32 v8, 63, v0
	s_nop 0
	v_addc_co_u32_e32 v7, vcc, 0, v6, vcc
	s_waitcnt lgkmcnt(0)
	v_add_f32_e32 v6, v9, v10
	v_lshlrev_b32_e32 v7, 2, v7
	ds_bpermute_b32 v9, v7, v6
	v_cmp_eq_u32_e32 vcc, 0, v8
	s_and_saveexec_b64 s[4:5], vcc
	s_cbranch_execz .LBB50_6
; %bb.5:
	s_waitcnt lgkmcnt(0)
	v_add_f32_e32 v6, v6, v9
	v_lshrrev_b32_e32 v9, 4, v0
	ds_write_b32 v9, v6
.LBB50_6:
	s_or_b64 exec, exec, s[4:5]
	s_waitcnt lgkmcnt(0)
	s_barrier
	s_load_dword s3, s[0:1], 0xc9c
	v_mov_b32_e32 v6, 0
	s_waitcnt lgkmcnt(0)
	s_bfe_u32 s3, s3, 0xa0006
	v_cmp_gt_u32_e32 vcc, s3, v0
	s_and_saveexec_b64 s[4:5], vcc
; %bb.7:
	v_lshlrev_b32_e32 v6, 2, v8
	ds_read_b32 v6, v6
; %bb.8:
	s_or_b64 exec, exec, s[4:5]
	v_cmp_gt_u32_e32 vcc, 64, v0
	s_and_saveexec_b64 s[4:5], vcc
	s_cbranch_execz .LBB50_10
; %bb.9:
	s_waitcnt lgkmcnt(0)
	ds_bpermute_b32 v2, v2, v6
	s_waitcnt lgkmcnt(0)
	v_add_f32_e32 v2, v6, v2
	ds_bpermute_b32 v1, v1, v2
	s_waitcnt lgkmcnt(0)
	v_add_f32_e32 v1, v2, v1
	;; [unrolled: 3-line block ×6, first 2 shown]
.LBB50_10:
	s_or_b64 exec, exec, s[4:5]
	s_mov_b32 s3, 0
	v_cmp_eq_u32_e32 vcc, 0, v0
	s_and_saveexec_b64 s[4:5], vcc
	s_cbranch_execz .LBB50_12
; %bb.11:
	s_mov_b32 s4, 0xf800000
	s_waitcnt lgkmcnt(0)
	v_mul_f32_e32 v0, 0x4f800000, v6
	v_cmp_gt_f32_e32 vcc, s4, v6
	s_lshl_b64 s[2:3], s[2:3], 3
	s_add_u32 s0, s0, s2
	v_cndmask_b32_e32 v0, v6, v0, vcc
	v_sqrt_f32_e32 v1, v0
	s_addc_u32 s1, s1, s3
	s_load_dwordx2 s[0:1], s[0:1], 0x8
	v_add_u32_e32 v2, -1, v1
	v_fma_f32 v3, -v2, v1, v0
	v_cmp_ge_f32_e64 s[4:5], 0, v3
	v_add_u32_e32 v3, 1, v1
	s_nop 0
	v_cndmask_b32_e64 v2, v1, v2, s[4:5]
	v_fma_f32 v1, -v3, v1, v0
	v_cmp_lt_f32_e64 s[4:5], 0, v1
	s_nop 1
	v_cndmask_b32_e64 v1, v2, v3, s[4:5]
	v_mul_f32_e32 v2, 0x37800000, v1
	v_cndmask_b32_e32 v1, v1, v2, vcc
	v_mov_b32_e32 v2, 0x260
	v_cmp_class_f32_e32 vcc, v0, v2
	s_movk_i32 s4, 0x7fff
	s_nop 0
	v_cndmask_b32_e32 v0, v1, v0, vcc
	v_bfe_u32 v1, v0, 16, 1
	v_add3_u32 v0, v0, v1, s4
	v_cmp_le_f32_e32 vcc, 0, v6
	v_mov_b32_e32 v1, 0x7fc0
	s_nop 0
	v_cndmask_b32_sdwa v0, v1, v0, vcc dst_sel:DWORD dst_unused:UNUSED_PAD src0_sel:DWORD src1_sel:WORD_1
	v_mov_b32_e32 v1, 0
	s_waitcnt lgkmcnt(0)
	global_store_short v1, v0, s[0:1]
.LBB50_12:
	s_endpgm
	.section	.rodata,"a",@progbits
	.p2align	6, 0x0
	.amdhsa_kernel _ZN2at6native14lpnorm_cleanupIdLNS0_8NormTypeE2EN3c108BFloat16ELb1EfEEvPKT3_NS0_19TensorListAddressesEi
		.amdhsa_group_segment_fixed_size 2048
		.amdhsa_private_segment_fixed_size 0
		.amdhsa_kernarg_size 3472
		.amdhsa_user_sgpr_count 2
		.amdhsa_user_sgpr_dispatch_ptr 0
		.amdhsa_user_sgpr_queue_ptr 0
		.amdhsa_user_sgpr_kernarg_segment_ptr 1
		.amdhsa_user_sgpr_dispatch_id 0
		.amdhsa_user_sgpr_kernarg_preload_length 0
		.amdhsa_user_sgpr_kernarg_preload_offset 0
		.amdhsa_user_sgpr_private_segment_size 0
		.amdhsa_uses_dynamic_stack 0
		.amdhsa_enable_private_segment 0
		.amdhsa_system_sgpr_workgroup_id_x 1
		.amdhsa_system_sgpr_workgroup_id_y 0
		.amdhsa_system_sgpr_workgroup_id_z 0
		.amdhsa_system_sgpr_workgroup_info 0
		.amdhsa_system_vgpr_workitem_id 0
		.amdhsa_next_free_vgpr 11
		.amdhsa_next_free_sgpr 16
		.amdhsa_accum_offset 12
		.amdhsa_reserve_vcc 1
		.amdhsa_float_round_mode_32 0
		.amdhsa_float_round_mode_16_64 0
		.amdhsa_float_denorm_mode_32 3
		.amdhsa_float_denorm_mode_16_64 3
		.amdhsa_dx10_clamp 1
		.amdhsa_ieee_mode 1
		.amdhsa_fp16_overflow 0
		.amdhsa_tg_split 0
		.amdhsa_exception_fp_ieee_invalid_op 0
		.amdhsa_exception_fp_denorm_src 0
		.amdhsa_exception_fp_ieee_div_zero 0
		.amdhsa_exception_fp_ieee_overflow 0
		.amdhsa_exception_fp_ieee_underflow 0
		.amdhsa_exception_fp_ieee_inexact 0
		.amdhsa_exception_int_div_zero 0
	.end_amdhsa_kernel
	.section	.text._ZN2at6native14lpnorm_cleanupIdLNS0_8NormTypeE2EN3c108BFloat16ELb1EfEEvPKT3_NS0_19TensorListAddressesEi,"axG",@progbits,_ZN2at6native14lpnorm_cleanupIdLNS0_8NormTypeE2EN3c108BFloat16ELb1EfEEvPKT3_NS0_19TensorListAddressesEi,comdat
.Lfunc_end50:
	.size	_ZN2at6native14lpnorm_cleanupIdLNS0_8NormTypeE2EN3c108BFloat16ELb1EfEEvPKT3_NS0_19TensorListAddressesEi, .Lfunc_end50-_ZN2at6native14lpnorm_cleanupIdLNS0_8NormTypeE2EN3c108BFloat16ELb1EfEEvPKT3_NS0_19TensorListAddressesEi
                                        ; -- End function
	.set _ZN2at6native14lpnorm_cleanupIdLNS0_8NormTypeE2EN3c108BFloat16ELb1EfEEvPKT3_NS0_19TensorListAddressesEi.num_vgpr, 11
	.set _ZN2at6native14lpnorm_cleanupIdLNS0_8NormTypeE2EN3c108BFloat16ELb1EfEEvPKT3_NS0_19TensorListAddressesEi.num_agpr, 0
	.set _ZN2at6native14lpnorm_cleanupIdLNS0_8NormTypeE2EN3c108BFloat16ELb1EfEEvPKT3_NS0_19TensorListAddressesEi.numbered_sgpr, 16
	.set _ZN2at6native14lpnorm_cleanupIdLNS0_8NormTypeE2EN3c108BFloat16ELb1EfEEvPKT3_NS0_19TensorListAddressesEi.num_named_barrier, 0
	.set _ZN2at6native14lpnorm_cleanupIdLNS0_8NormTypeE2EN3c108BFloat16ELb1EfEEvPKT3_NS0_19TensorListAddressesEi.private_seg_size, 0
	.set _ZN2at6native14lpnorm_cleanupIdLNS0_8NormTypeE2EN3c108BFloat16ELb1EfEEvPKT3_NS0_19TensorListAddressesEi.uses_vcc, 1
	.set _ZN2at6native14lpnorm_cleanupIdLNS0_8NormTypeE2EN3c108BFloat16ELb1EfEEvPKT3_NS0_19TensorListAddressesEi.uses_flat_scratch, 0
	.set _ZN2at6native14lpnorm_cleanupIdLNS0_8NormTypeE2EN3c108BFloat16ELb1EfEEvPKT3_NS0_19TensorListAddressesEi.has_dyn_sized_stack, 0
	.set _ZN2at6native14lpnorm_cleanupIdLNS0_8NormTypeE2EN3c108BFloat16ELb1EfEEvPKT3_NS0_19TensorListAddressesEi.has_recursion, 0
	.set _ZN2at6native14lpnorm_cleanupIdLNS0_8NormTypeE2EN3c108BFloat16ELb1EfEEvPKT3_NS0_19TensorListAddressesEi.has_indirect_call, 0
	.section	.AMDGPU.csdata,"",@progbits
; Kernel info:
; codeLenInByte = 836
; TotalNumSgprs: 22
; NumVgprs: 11
; NumAgprs: 0
; TotalNumVgprs: 11
; ScratchSize: 0
; MemoryBound: 0
; FloatMode: 240
; IeeeMode: 1
; LDSByteSize: 2048 bytes/workgroup (compile time only)
; SGPRBlocks: 2
; VGPRBlocks: 1
; NumSGPRsForWavesPerEU: 22
; NumVGPRsForWavesPerEU: 11
; AccumOffset: 12
; Occupancy: 8
; WaveLimiterHint : 0
; COMPUTE_PGM_RSRC2:SCRATCH_EN: 0
; COMPUTE_PGM_RSRC2:USER_SGPR: 2
; COMPUTE_PGM_RSRC2:TRAP_HANDLER: 0
; COMPUTE_PGM_RSRC2:TGID_X_EN: 1
; COMPUTE_PGM_RSRC2:TGID_Y_EN: 0
; COMPUTE_PGM_RSRC2:TGID_Z_EN: 0
; COMPUTE_PGM_RSRC2:TIDIG_COMP_CNT: 0
; COMPUTE_PGM_RSRC3_GFX90A:ACCUM_OFFSET: 2
; COMPUTE_PGM_RSRC3_GFX90A:TG_SPLIT: 0
	.section	.text._ZN2at6native14lpnorm_cleanupIdLNS0_8NormTypeE3EN3c108BFloat16ELb1EfEEvPKT3_NS0_19TensorListAddressesEi,"axG",@progbits,_ZN2at6native14lpnorm_cleanupIdLNS0_8NormTypeE3EN3c108BFloat16ELb1EfEEvPKT3_NS0_19TensorListAddressesEi,comdat
	.protected	_ZN2at6native14lpnorm_cleanupIdLNS0_8NormTypeE3EN3c108BFloat16ELb1EfEEvPKT3_NS0_19TensorListAddressesEi ; -- Begin function _ZN2at6native14lpnorm_cleanupIdLNS0_8NormTypeE3EN3c108BFloat16ELb1EfEEvPKT3_NS0_19TensorListAddressesEi
	.globl	_ZN2at6native14lpnorm_cleanupIdLNS0_8NormTypeE3EN3c108BFloat16ELb1EfEEvPKT3_NS0_19TensorListAddressesEi
	.p2align	8
	.type	_ZN2at6native14lpnorm_cleanupIdLNS0_8NormTypeE3EN3c108BFloat16ELb1EfEEvPKT3_NS0_19TensorListAddressesEi,@function
_ZN2at6native14lpnorm_cleanupIdLNS0_8NormTypeE3EN3c108BFloat16ELb1EfEEvPKT3_NS0_19TensorListAddressesEi: ; @_ZN2at6native14lpnorm_cleanupIdLNS0_8NormTypeE3EN3c108BFloat16ELb1EfEEvPKT3_NS0_19TensorListAddressesEi
; %bb.0:
	s_load_dword s10, s[0:1], 0xc88
	v_mov_b32_e32 v1, 0
	s_waitcnt lgkmcnt(0)
	v_cmp_gt_u32_e32 vcc, s10, v0
	s_and_saveexec_b64 s[8:9], vcc
	s_cbranch_execz .LBB51_4
; %bb.1:
	s_load_dwordx2 s[4:5], s[0:1], 0x0
	s_load_dword s3, s[0:1], 0xc9c
	s_mul_i32 s12, s10, s2
	s_mov_b32 s13, 0
	s_ashr_i32 s11, s10, 31
	s_lshl_b64 s[6:7], s[12:13], 2
	s_waitcnt lgkmcnt(0)
	s_and_b32 s14, s3, 0xffff
	v_mov_b32_e32 v1, 0
	s_add_u32 s4, s4, s6
	v_lshlrev_b32_e32 v2, 2, v0
	v_mov_b32_e32 v3, v1
	s_addc_u32 s5, s5, s7
	s_mov_b32 s15, s13
	v_lshl_add_u64 v[2:3], s[4:5], 0, v[2:3]
	s_lshl_b32 s12, s14, 2
	s_mov_b64 s[16:17], 0
	v_mov_b64_e32 v[4:5], v[0:1]
.LBB51_2:                               ; =>This Inner Loop Header: Depth=1
	global_load_dword v6, v[2:3], off
	v_lshl_add_u64 v[4:5], v[4:5], 0, s[14:15]
	v_cmp_le_u64_e32 vcc, s[10:11], v[4:5]
	v_lshl_add_u64 v[2:3], v[2:3], 0, s[12:13]
	s_waitcnt vmcnt(0)
	v_cmp_u_f32_e64 s[4:5], v6, v6
	v_cmp_lt_f32_e64 s[6:7], v1, v6
	s_or_b64 s[4:5], s[4:5], s[6:7]
	s_or_b64 s[16:17], vcc, s[16:17]
	v_cndmask_b32_e64 v1, v1, v6, s[4:5]
	s_andn2_b64 exec, exec, s[16:17]
	s_cbranch_execnz .LBB51_2
; %bb.3:
	s_or_b64 exec, exec, s[16:17]
.LBB51_4:
	s_or_b64 exec, exec, s[8:9]
	v_mbcnt_lo_u32_b32 v2, -1, 0
	v_mbcnt_hi_u32_b32 v6, -1, v2
	v_mov_b32_e32 v2, 0x80
	v_lshl_or_b32 v2, v6, 2, v2
	ds_bpermute_b32 v3, v2, v1
	v_and_b32_e32 v9, 63, v6
	s_waitcnt lgkmcnt(0)
	s_barrier
	v_cmp_u_f32_e32 vcc, v3, v3
	v_cmp_lt_f32_e64 s[4:5], v1, v3
	s_or_b64 vcc, vcc, s[4:5]
	v_cndmask_b32_e32 v3, v1, v3, vcc
	v_cmp_gt_u32_e32 vcc, 48, v9
	s_nop 1
	v_cndmask_b32_e64 v1, 0, 16, vcc
	v_add_lshl_u32 v1, v1, v6, 2
	ds_bpermute_b32 v4, v1, v3
	s_waitcnt lgkmcnt(0)
	v_cmp_u_f32_e32 vcc, v4, v4
	v_cmp_lt_f32_e64 s[4:5], v3, v4
	s_or_b64 vcc, vcc, s[4:5]
	v_cndmask_b32_e32 v4, v3, v4, vcc
	v_cmp_gt_u32_e32 vcc, 56, v9
	s_nop 1
	v_cndmask_b32_e64 v3, 0, 8, vcc
	v_add_lshl_u32 v3, v3, v6, 2
	ds_bpermute_b32 v5, v3, v4
	s_waitcnt lgkmcnt(0)
	;; [unrolled: 10-line block ×3, first 2 shown]
	v_cmp_u_f32_e32 vcc, v7, v7
	v_cmp_lt_f32_e64 s[4:5], v5, v7
	s_or_b64 vcc, vcc, s[4:5]
	v_cndmask_b32_e32 v8, v5, v7, vcc
	v_cmp_gt_u32_e32 vcc, 62, v9
	v_and_b32_e32 v7, 63, v0
	s_nop 0
	v_cndmask_b32_e64 v5, 0, 2, vcc
	v_add_lshl_u32 v5, v5, v6, 2
	ds_bpermute_b32 v10, v5, v8
	s_waitcnt lgkmcnt(0)
	v_cmp_u_f32_e32 vcc, v10, v10
	v_cmp_lt_f32_e64 s[4:5], v8, v10
	s_or_b64 vcc, vcc, s[4:5]
	v_cndmask_b32_e32 v8, v8, v10, vcc
	v_cmp_ne_u32_e32 vcc, 63, v9
	s_nop 1
	v_addc_co_u32_e32 v6, vcc, 0, v6, vcc
	v_lshlrev_b32_e32 v6, 2, v6
	ds_bpermute_b32 v9, v6, v8
	v_cmp_eq_u32_e32 vcc, 0, v7
	s_and_saveexec_b64 s[6:7], vcc
	s_cbranch_execz .LBB51_6
; %bb.5:
	s_waitcnt lgkmcnt(0)
	v_cmp_u_f32_e32 vcc, v9, v9
	v_cmp_lt_f32_e64 s[4:5], v8, v9
	s_or_b64 vcc, vcc, s[4:5]
	v_cndmask_b32_e32 v8, v8, v9, vcc
	v_lshrrev_b32_e32 v9, 4, v0
	ds_write_b32 v9, v8
.LBB51_6:
	s_or_b64 exec, exec, s[6:7]
	s_waitcnt lgkmcnt(0)
	s_barrier
	s_load_dword s3, s[0:1], 0xc9c
	v_mov_b32_e32 v8, 0xff7fffff
	s_waitcnt lgkmcnt(0)
	s_bfe_u32 s3, s3, 0xa0006
	v_cmp_gt_u32_e32 vcc, s3, v0
	s_and_saveexec_b64 s[4:5], vcc
; %bb.7:
	v_lshlrev_b32_e32 v7, 2, v7
	ds_read_b32 v8, v7
; %bb.8:
	s_or_b64 exec, exec, s[4:5]
	v_cmp_gt_u32_e32 vcc, 64, v0
	s_and_saveexec_b64 s[6:7], vcc
	s_cbranch_execz .LBB51_10
; %bb.9:
	s_waitcnt lgkmcnt(0)
	ds_bpermute_b32 v2, v2, v8
	s_waitcnt lgkmcnt(0)
	v_cmp_u_f32_e32 vcc, v2, v2
	v_cmp_lt_f32_e64 s[4:5], v8, v2
	s_or_b64 vcc, vcc, s[4:5]
	v_cndmask_b32_e32 v2, v8, v2, vcc
	ds_bpermute_b32 v1, v1, v2
	s_waitcnt lgkmcnt(0)
	v_cmp_u_f32_e32 vcc, v1, v1
	v_cmp_lt_f32_e64 s[4:5], v2, v1
	s_or_b64 vcc, vcc, s[4:5]
	v_cndmask_b32_e32 v1, v2, v1, vcc
	;; [unrolled: 6-line block ×6, first 2 shown]
.LBB51_10:
	s_or_b64 exec, exec, s[6:7]
	s_mov_b32 s3, 0
	v_cmp_eq_u32_e32 vcc, 0, v0
	s_and_saveexec_b64 s[4:5], vcc
	s_cbranch_execz .LBB51_12
; %bb.11:
	s_lshl_b64 s[2:3], s[2:3], 3
	s_add_u32 s0, s0, s2
	s_addc_u32 s1, s1, s3
	s_load_dwordx2 s[0:1], s[0:1], 0x8
	s_waitcnt lgkmcnt(0)
	v_bfe_u32 v0, v8, 16, 1
	s_movk_i32 s4, 0x7fff
	v_add3_u32 v0, v8, v0, s4
	v_cmp_o_f32_e32 vcc, v8, v8
	v_mov_b32_e32 v1, 0x7fc0
	s_nop 0
	v_cndmask_b32_sdwa v0, v1, v0, vcc dst_sel:DWORD dst_unused:UNUSED_PAD src0_sel:DWORD src1_sel:WORD_1
	v_mov_b32_e32 v1, 0
	global_store_short v1, v0, s[0:1]
.LBB51_12:
	s_endpgm
	.section	.rodata,"a",@progbits
	.p2align	6, 0x0
	.amdhsa_kernel _ZN2at6native14lpnorm_cleanupIdLNS0_8NormTypeE3EN3c108BFloat16ELb1EfEEvPKT3_NS0_19TensorListAddressesEi
		.amdhsa_group_segment_fixed_size 2048
		.amdhsa_private_segment_fixed_size 0
		.amdhsa_kernarg_size 3472
		.amdhsa_user_sgpr_count 2
		.amdhsa_user_sgpr_dispatch_ptr 0
		.amdhsa_user_sgpr_queue_ptr 0
		.amdhsa_user_sgpr_kernarg_segment_ptr 1
		.amdhsa_user_sgpr_dispatch_id 0
		.amdhsa_user_sgpr_kernarg_preload_length 0
		.amdhsa_user_sgpr_kernarg_preload_offset 0
		.amdhsa_user_sgpr_private_segment_size 0
		.amdhsa_uses_dynamic_stack 0
		.amdhsa_enable_private_segment 0
		.amdhsa_system_sgpr_workgroup_id_x 1
		.amdhsa_system_sgpr_workgroup_id_y 0
		.amdhsa_system_sgpr_workgroup_id_z 0
		.amdhsa_system_sgpr_workgroup_info 0
		.amdhsa_system_vgpr_workitem_id 0
		.amdhsa_next_free_vgpr 11
		.amdhsa_next_free_sgpr 18
		.amdhsa_accum_offset 12
		.amdhsa_reserve_vcc 1
		.amdhsa_float_round_mode_32 0
		.amdhsa_float_round_mode_16_64 0
		.amdhsa_float_denorm_mode_32 3
		.amdhsa_float_denorm_mode_16_64 3
		.amdhsa_dx10_clamp 1
		.amdhsa_ieee_mode 1
		.amdhsa_fp16_overflow 0
		.amdhsa_tg_split 0
		.amdhsa_exception_fp_ieee_invalid_op 0
		.amdhsa_exception_fp_denorm_src 0
		.amdhsa_exception_fp_ieee_div_zero 0
		.amdhsa_exception_fp_ieee_overflow 0
		.amdhsa_exception_fp_ieee_underflow 0
		.amdhsa_exception_fp_ieee_inexact 0
		.amdhsa_exception_int_div_zero 0
	.end_amdhsa_kernel
	.section	.text._ZN2at6native14lpnorm_cleanupIdLNS0_8NormTypeE3EN3c108BFloat16ELb1EfEEvPKT3_NS0_19TensorListAddressesEi,"axG",@progbits,_ZN2at6native14lpnorm_cleanupIdLNS0_8NormTypeE3EN3c108BFloat16ELb1EfEEvPKT3_NS0_19TensorListAddressesEi,comdat
.Lfunc_end51:
	.size	_ZN2at6native14lpnorm_cleanupIdLNS0_8NormTypeE3EN3c108BFloat16ELb1EfEEvPKT3_NS0_19TensorListAddressesEi, .Lfunc_end51-_ZN2at6native14lpnorm_cleanupIdLNS0_8NormTypeE3EN3c108BFloat16ELb1EfEEvPKT3_NS0_19TensorListAddressesEi
                                        ; -- End function
	.set _ZN2at6native14lpnorm_cleanupIdLNS0_8NormTypeE3EN3c108BFloat16ELb1EfEEvPKT3_NS0_19TensorListAddressesEi.num_vgpr, 11
	.set _ZN2at6native14lpnorm_cleanupIdLNS0_8NormTypeE3EN3c108BFloat16ELb1EfEEvPKT3_NS0_19TensorListAddressesEi.num_agpr, 0
	.set _ZN2at6native14lpnorm_cleanupIdLNS0_8NormTypeE3EN3c108BFloat16ELb1EfEEvPKT3_NS0_19TensorListAddressesEi.numbered_sgpr, 18
	.set _ZN2at6native14lpnorm_cleanupIdLNS0_8NormTypeE3EN3c108BFloat16ELb1EfEEvPKT3_NS0_19TensorListAddressesEi.num_named_barrier, 0
	.set _ZN2at6native14lpnorm_cleanupIdLNS0_8NormTypeE3EN3c108BFloat16ELb1EfEEvPKT3_NS0_19TensorListAddressesEi.private_seg_size, 0
	.set _ZN2at6native14lpnorm_cleanupIdLNS0_8NormTypeE3EN3c108BFloat16ELb1EfEEvPKT3_NS0_19TensorListAddressesEi.uses_vcc, 1
	.set _ZN2at6native14lpnorm_cleanupIdLNS0_8NormTypeE3EN3c108BFloat16ELb1EfEEvPKT3_NS0_19TensorListAddressesEi.uses_flat_scratch, 0
	.set _ZN2at6native14lpnorm_cleanupIdLNS0_8NormTypeE3EN3c108BFloat16ELb1EfEEvPKT3_NS0_19TensorListAddressesEi.has_dyn_sized_stack, 0
	.set _ZN2at6native14lpnorm_cleanupIdLNS0_8NormTypeE3EN3c108BFloat16ELb1EfEEvPKT3_NS0_19TensorListAddressesEi.has_recursion, 0
	.set _ZN2at6native14lpnorm_cleanupIdLNS0_8NormTypeE3EN3c108BFloat16ELb1EfEEvPKT3_NS0_19TensorListAddressesEi.has_indirect_call, 0
	.section	.AMDGPU.csdata,"",@progbits
; Kernel info:
; codeLenInByte = 944
; TotalNumSgprs: 24
; NumVgprs: 11
; NumAgprs: 0
; TotalNumVgprs: 11
; ScratchSize: 0
; MemoryBound: 0
; FloatMode: 240
; IeeeMode: 1
; LDSByteSize: 2048 bytes/workgroup (compile time only)
; SGPRBlocks: 2
; VGPRBlocks: 1
; NumSGPRsForWavesPerEU: 24
; NumVGPRsForWavesPerEU: 11
; AccumOffset: 12
; Occupancy: 8
; WaveLimiterHint : 0
; COMPUTE_PGM_RSRC2:SCRATCH_EN: 0
; COMPUTE_PGM_RSRC2:USER_SGPR: 2
; COMPUTE_PGM_RSRC2:TRAP_HANDLER: 0
; COMPUTE_PGM_RSRC2:TGID_X_EN: 1
; COMPUTE_PGM_RSRC2:TGID_Y_EN: 0
; COMPUTE_PGM_RSRC2:TGID_Z_EN: 0
; COMPUTE_PGM_RSRC2:TIDIG_COMP_CNT: 0
; COMPUTE_PGM_RSRC3_GFX90A:ACCUM_OFFSET: 2
; COMPUTE_PGM_RSRC3_GFX90A:TG_SPLIT: 0
	.section	.text._ZN2at6native12_GLOBAL__N_125multi_tensor_apply_kernelINS1_18TensorListMetadataILi1EEENS0_13LpNormFunctorIfLNS0_8NormTypeE0EdLi1ELi1ELi0EEEJPdiEEEvT_T0_DpT1_,"axG",@progbits,_ZN2at6native12_GLOBAL__N_125multi_tensor_apply_kernelINS1_18TensorListMetadataILi1EEENS0_13LpNormFunctorIfLNS0_8NormTypeE0EdLi1ELi1ELi0EEEJPdiEEEvT_T0_DpT1_,comdat
	.globl	_ZN2at6native12_GLOBAL__N_125multi_tensor_apply_kernelINS1_18TensorListMetadataILi1EEENS0_13LpNormFunctorIfLNS0_8NormTypeE0EdLi1ELi1ELi0EEEJPdiEEEvT_T0_DpT1_ ; -- Begin function _ZN2at6native12_GLOBAL__N_125multi_tensor_apply_kernelINS1_18TensorListMetadataILi1EEENS0_13LpNormFunctorIfLNS0_8NormTypeE0EdLi1ELi1ELi0EEEJPdiEEEvT_T0_DpT1_
	.p2align	8
	.type	_ZN2at6native12_GLOBAL__N_125multi_tensor_apply_kernelINS1_18TensorListMetadataILi1EEENS0_13LpNormFunctorIfLNS0_8NormTypeE0EdLi1ELi1ELi0EEEJPdiEEEvT_T0_DpT1_,@function
_ZN2at6native12_GLOBAL__N_125multi_tensor_apply_kernelINS1_18TensorListMetadataILi1EEENS0_13LpNormFunctorIfLNS0_8NormTypeE0EdLi1ELi1ELi0EEEJPdiEEEvT_T0_DpT1_: ; @_ZN2at6native12_GLOBAL__N_125multi_tensor_apply_kernelINS1_18TensorListMetadataILi1EEENS0_13LpNormFunctorIfLNS0_8NormTypeE0EdLi1ELi1ELi0EEEJPdiEEEvT_T0_DpT1_
; %bb.0:
	v_mov_b32_e32 v1, s2
	global_load_ubyte v1, v1, s[0:1] offset:1760
	s_add_u32 s3, s0, s2
	s_mul_hi_u32 s4, s2, 3
	s_mul_i32 s2, s2, 3
	s_addc_u32 s5, s1, 0
	s_add_u32 s2, s3, s2
	s_addc_u32 s3, s5, s4
	s_load_dword s6, s[2:3], 0x820
	s_mov_b32 s15, 0
	s_waitcnt vmcnt(0)
	v_readfirstlane_b32 s2, v1
	s_and_b32 s18, s2, 0xff
	s_lshl_b32 s7, s18, 3
	s_load_dwordx2 s[2:3], s[0:1], s7 offset:0x370
	s_load_dwordx2 s[4:5], s[0:1], s7 offset:0x0
	s_waitcnt lgkmcnt(0)
	s_ashr_i32 s7, s6, 31
	s_lshl_b64 s[10:11], s[6:7], 16
	s_lshl_b64 s[8:9], s[6:7], 18
	s_add_u32 s12, s4, s8
	s_addc_u32 s13, s5, s9
	s_sub_u32 s10, s2, s10
	s_subb_u32 s11, s3, s11
	s_and_b32 s14, s2, 3
	s_and_b32 s2, s12, 15
	s_mov_b32 s3, s15
	s_or_b64 s[2:3], s[14:15], s[2:3]
	s_cmp_eq_u64 s[2:3], 0
	s_cbranch_scc1 .LBB52_12
; %bb.1:
	v_cmp_lt_i64_e64 s[2:3], s[10:11], 1
	s_and_b64 vcc, exec, s[2:3]
	s_cbranch_vccnz .LBB52_13
; %bb.2:
	v_mov_b64_e32 v[2:3], 0x10000
	v_cmp_lt_i64_e32 vcc, s[10:11], v[2:3]
	s_and_b64 s[2:3], vcc, exec
	s_load_dword s2, s[0:1], 0xd4c
	v_mov_b32_e32 v11, 0
	v_mov_b32_e32 v10, v11
	s_cselect_b32 s15, s11, 0
	s_cselect_b32 s14, s10, 0x10000
	s_waitcnt lgkmcnt(0)
	s_and_b32 s16, s2, 0xffff
	v_mov_b32_e32 v12, v11
	v_mov_b32_e32 v13, v11
	;; [unrolled: 1-line block ×6, first 2 shown]
	v_mov_b64_e32 v[2:3], v[10:11]
	s_mov_b32 s7, 0x10000
	s_lshl_b32 s19, s16, 2
	v_lshl_add_u32 v18, s16, 1, v0
	v_mad_u64_u32 v[20:21], s[2:3], s16, 3, v[0:1]
	v_add_u32_e32 v22, s16, v0
	s_mov_b64 s[16:17], 0
	v_mov_b32_e32 v1, 0x3ff00000
	v_mov_b64_e32 v[4:5], v[12:13]
	v_mov_b64_e32 v[6:7], v[14:15]
	;; [unrolled: 1-line block ×3, first 2 shown]
	s_branch .LBB52_4
.LBB52_3:                               ;   in Loop: Header=BB52_4 Depth=1
	s_or_b64 exec, exec, s[2:3]
	s_add_u32 s16, s16, s19
	s_addc_u32 s17, s17, 0
	v_mov_b64_e32 v[12:13], s[14:15]
	v_cmp_lt_i64_e32 vcc, s[16:17], v[12:13]
	s_cbranch_vccz .LBB52_14
.LBB52_4:                               ; =>This Inner Loop Header: Depth=1
	v_add_u32_e32 v10, s16, v0
	v_cmp_gt_i64_e32 vcc, s[10:11], v[10:11]
	v_cmp_gt_u32_e64 s[2:3], s7, v10
	s_and_b64 s[20:21], s[2:3], vcc
	s_and_saveexec_b64 s[2:3], s[20:21]
	s_cbranch_execz .LBB52_6
; %bb.5:                                ;   in Loop: Header=BB52_4 Depth=1
	v_lshl_add_u64 v[12:13], v[10:11], 2, s[12:13]
	global_load_dword v10, v[12:13], off
	v_mov_b32_e32 v12, v11
	s_waitcnt vmcnt(0)
	v_cmp_neq_f32_e32 vcc, 0, v10
	s_nop 1
	v_cndmask_b32_e32 v13, 0, v1, vcc
	v_add_f64 v[2:3], v[2:3], v[12:13]
.LBB52_6:                               ;   in Loop: Header=BB52_4 Depth=1
	s_or_b64 exec, exec, s[2:3]
	v_add_u32_e32 v10, s16, v22
	v_cmp_gt_i64_e32 vcc, s[10:11], v[10:11]
	v_cmp_gt_u32_e64 s[2:3], s7, v10
	s_and_b64 s[20:21], s[2:3], vcc
	s_and_saveexec_b64 s[2:3], s[20:21]
	s_cbranch_execz .LBB52_8
; %bb.7:                                ;   in Loop: Header=BB52_4 Depth=1
	v_lshl_add_u64 v[12:13], v[10:11], 2, s[12:13]
	global_load_dword v10, v[12:13], off
	v_mov_b32_e32 v12, v11
	s_waitcnt vmcnt(0)
	v_cmp_neq_f32_e32 vcc, 0, v10
	s_nop 1
	v_cndmask_b32_e32 v13, 0, v1, vcc
	v_add_f64 v[4:5], v[4:5], v[12:13]
.LBB52_8:                               ;   in Loop: Header=BB52_4 Depth=1
	s_or_b64 exec, exec, s[2:3]
	v_add_u32_e32 v10, s16, v18
	v_cmp_gt_i64_e32 vcc, s[10:11], v[10:11]
	v_cmp_gt_u32_e64 s[2:3], s7, v10
	s_and_b64 s[20:21], s[2:3], vcc
	s_and_saveexec_b64 s[2:3], s[20:21]
	s_cbranch_execz .LBB52_10
; %bb.9:                                ;   in Loop: Header=BB52_4 Depth=1
	v_lshl_add_u64 v[12:13], v[10:11], 2, s[12:13]
	global_load_dword v10, v[12:13], off
	v_mov_b32_e32 v12, v11
	s_waitcnt vmcnt(0)
	v_cmp_neq_f32_e32 vcc, 0, v10
	s_nop 1
	v_cndmask_b32_e32 v13, 0, v1, vcc
	v_add_f64 v[6:7], v[6:7], v[12:13]
.LBB52_10:                              ;   in Loop: Header=BB52_4 Depth=1
	s_or_b64 exec, exec, s[2:3]
	v_add_u32_e32 v10, s16, v20
	v_cmp_gt_i64_e32 vcc, s[10:11], v[10:11]
	v_cmp_gt_u32_e64 s[2:3], s7, v10
	s_and_b64 s[20:21], s[2:3], vcc
	s_and_saveexec_b64 s[2:3], s[20:21]
	s_cbranch_execz .LBB52_3
; %bb.11:                               ;   in Loop: Header=BB52_4 Depth=1
	v_lshl_add_u64 v[12:13], v[10:11], 2, s[12:13]
	global_load_dword v10, v[12:13], off
	v_mov_b32_e32 v12, v11
	s_waitcnt vmcnt(0)
	v_cmp_neq_f32_e32 vcc, 0, v10
	s_nop 1
	v_cndmask_b32_e32 v13, 0, v1, vcc
	v_add_f64 v[8:9], v[8:9], v[12:13]
	s_branch .LBB52_3
.LBB52_12:
                                        ; implicit-def: $vgpr2_vgpr3_vgpr4_vgpr5_vgpr6_vgpr7_vgpr8_vgpr9
	s_branch .LBB52_15
.LBB52_13:
	v_mov_b32_e32 v2, 0
	v_mov_b32_e32 v3, v2
	;; [unrolled: 1-line block ×8, first 2 shown]
.LBB52_14:
	s_cbranch_execnz .LBB52_20
.LBB52_15:
	v_mov_b64_e32 v[4:5], 0x10000
	v_cmp_lt_i64_e32 vcc, s[10:11], v[4:5]
	v_mov_b32_e32 v2, 0
	s_and_b64 s[2:3], vcc, exec
	s_cselect_b32 s11, s11, 0
	s_cselect_b32 s10, s10, 0x10000
	v_lshlrev_b32_e32 v4, 2, v0
	v_mov_b32_e32 v5, v2
	s_mov_b32 s13, 0
	v_cmp_gt_i64_e32 vcc, s[10:11], v[4:5]
	v_mov_b32_e32 v3, v2
	v_mov_b32_e32 v4, v2
	;; [unrolled: 1-line block ×6, first 2 shown]
	s_and_saveexec_b64 s[14:15], vcc
	s_cbranch_execz .LBB52_19
; %bb.16:
	s_load_dword s2, s[0:1], 0xd4c
	v_lshlrev_b32_e32 v4, 4, v0
	v_mov_b32_e32 v5, v2
	v_mov_b32_e32 v1, v2
	s_mov_b64 s[16:17], 0
	s_waitcnt lgkmcnt(0)
	s_and_b32 s12, s2, 0xffff
	s_add_u32 s2, s4, s8
	s_addc_u32 s3, s5, s9
	v_lshl_add_u64 v[4:5], s[2:3], 0, v[4:5]
	s_lshl_b32 s8, s12, 4
	v_lshl_add_u64 v[12:13], v[4:5], 0, 8
	s_mov_b32 s9, s13
	v_mov_b64_e32 v[4:5], 0
	v_mov_b32_e32 v16, 0x3ff00000
	v_mov_b64_e32 v[14:15], v[0:1]
	v_mov_b64_e32 v[6:7], 0
	v_mov_b64_e32 v[8:9], 0
	v_mov_b64_e32 v[10:11], 0
.LBB52_17:                              ; =>This Inner Loop Header: Depth=1
	global_load_dwordx4 v[18:21], v[12:13], off offset:-8
	v_lshl_add_u64 v[14:15], v[14:15], 0, s[12:13]
	v_lshlrev_b64 v[22:23], 2, v[14:15]
	v_cmp_le_i64_e32 vcc, s[10:11], v[22:23]
	s_or_b64 s[16:17], vcc, s[16:17]
	v_lshl_add_u64 v[12:13], v[12:13], 0, s[8:9]
	s_waitcnt vmcnt(0)
	v_cmp_neq_f32_e32 vcc, 0, v18
	s_nop 1
	v_cndmask_b32_e32 v3, 0, v16, vcc
	v_cmp_neq_f32_e32 vcc, 0, v19
	v_cmp_neq_f32_e64 s[2:3], 0, v20
	v_add_f64 v[4:5], v[4:5], v[2:3]
	v_cndmask_b32_e32 v3, 0, v16, vcc
	v_cmp_neq_f32_e64 s[4:5], 0, v21
	v_add_f64 v[6:7], v[6:7], v[2:3]
	v_cndmask_b32_e64 v3, 0, v16, s[2:3]
	v_add_f64 v[8:9], v[8:9], v[2:3]
	v_cndmask_b32_e64 v3, 0, v16, s[4:5]
	v_add_f64 v[10:11], v[10:11], v[2:3]
	s_andn2_b64 exec, exec, s[16:17]
	s_cbranch_execnz .LBB52_17
; %bb.18:
	s_or_b64 exec, exec, s[16:17]
	v_mov_b64_e32 v[2:3], v[4:5]
	v_mov_b64_e32 v[4:5], v[6:7]
	;; [unrolled: 1-line block ×4, first 2 shown]
.LBB52_19:
	s_or_b64 exec, exec, s[14:15]
.LBB52_20:
	v_add_f64 v[2:3], v[2:3], 0
	v_add_f64 v[2:3], v[4:5], v[2:3]
	v_mbcnt_lo_u32_b32 v1, -1, 0
	v_add_f64 v[2:3], v[6:7], v[2:3]
	v_mbcnt_hi_u32_b32 v10, -1, v1
	v_mov_b32_e32 v1, 0x80
	v_add_f64 v[2:3], v[8:9], v[2:3]
	v_lshl_or_b32 v1, v10, 2, v1
	ds_bpermute_b32 v4, v1, v2
	ds_bpermute_b32 v5, v1, v3
	v_and_b32_e32 v12, 63, v10
	v_cmp_gt_u32_e32 vcc, 48, v12
	v_and_b32_e32 v11, 63, v0
	s_waitcnt lgkmcnt(0)
	v_add_f64 v[2:3], v[2:3], v[4:5]
	v_cndmask_b32_e64 v4, 0, 16, vcc
	v_add_lshl_u32 v6, v4, v10, 2
	ds_bpermute_b32 v4, v6, v2
	ds_bpermute_b32 v5, v6, v3
	v_cmp_gt_u32_e32 vcc, 56, v12
	s_barrier
	s_waitcnt lgkmcnt(0)
	v_add_f64 v[2:3], v[2:3], v[4:5]
	v_cndmask_b32_e64 v4, 0, 8, vcc
	v_add_lshl_u32 v7, v4, v10, 2
	ds_bpermute_b32 v4, v7, v2
	ds_bpermute_b32 v5, v7, v3
	v_cmp_gt_u32_e32 vcc, 60, v12
	s_waitcnt lgkmcnt(0)
	v_add_f64 v[2:3], v[2:3], v[4:5]
	v_cndmask_b32_e64 v4, 0, 4, vcc
	v_add_lshl_u32 v8, v4, v10, 2
	ds_bpermute_b32 v4, v8, v2
	ds_bpermute_b32 v5, v8, v3
	v_cmp_gt_u32_e32 vcc, 62, v12
	s_waitcnt lgkmcnt(0)
	v_add_f64 v[2:3], v[2:3], v[4:5]
	v_cndmask_b32_e64 v4, 0, 2, vcc
	v_add_lshl_u32 v9, v4, v10, 2
	ds_bpermute_b32 v4, v9, v2
	ds_bpermute_b32 v5, v9, v3
	v_cmp_ne_u32_e32 vcc, 63, v12
	s_waitcnt lgkmcnt(0)
	v_add_f64 v[2:3], v[2:3], v[4:5]
	v_addc_co_u32_e32 v4, vcc, 0, v10, vcc
	v_lshlrev_b32_e32 v10, 2, v4
	ds_bpermute_b32 v4, v10, v2
	ds_bpermute_b32 v5, v10, v3
	v_cmp_eq_u32_e32 vcc, 0, v11
	s_and_saveexec_b64 s[2:3], vcc
	s_cbranch_execz .LBB52_22
; %bb.21:
	v_lshrrev_b32_e32 v12, 3, v0
	s_waitcnt lgkmcnt(0)
	v_add_f64 v[2:3], v[2:3], v[4:5]
	ds_write_b64 v12, v[2:3]
.LBB52_22:
	s_or_b64 exec, exec, s[2:3]
	s_waitcnt lgkmcnt(0)
	s_barrier
	s_load_dword s2, s[0:1], 0xd4c
	v_mov_b64_e32 v[2:3], 0
	s_waitcnt lgkmcnt(0)
	s_bfe_u32 s2, s2, 0xa0006
	v_cmp_gt_u32_e32 vcc, s2, v0
	s_and_saveexec_b64 s[2:3], vcc
	s_cbranch_execnz .LBB52_26
; %bb.23:
	s_or_b64 exec, exec, s[2:3]
	v_cmp_gt_u32_e32 vcc, 64, v0
	s_and_saveexec_b64 s[2:3], vcc
	s_cbranch_execnz .LBB52_27
.LBB52_24:
	s_or_b64 exec, exec, s[2:3]
	v_cmp_eq_u32_e32 vcc, 0, v0
	s_and_saveexec_b64 s[2:3], vcc
	s_cbranch_execnz .LBB52_28
.LBB52_25:
	s_endpgm
.LBB52_26:
	v_lshlrev_b32_e32 v2, 3, v11
	ds_read_b64 v[2:3], v2
	s_or_b64 exec, exec, s[2:3]
	v_cmp_gt_u32_e32 vcc, 64, v0
	s_and_saveexec_b64 s[2:3], vcc
	s_cbranch_execz .LBB52_24
.LBB52_27:
	s_waitcnt lgkmcnt(0)
	ds_bpermute_b32 v4, v1, v2
	ds_bpermute_b32 v5, v1, v3
	s_waitcnt lgkmcnt(0)
	v_add_f64 v[2:3], v[2:3], v[4:5]
	ds_bpermute_b32 v4, v6, v2
	ds_bpermute_b32 v5, v6, v3
	s_waitcnt lgkmcnt(0)
	v_add_f64 v[2:3], v[2:3], v[4:5]
	;; [unrolled: 4-line block ×6, first 2 shown]
	s_or_b64 exec, exec, s[2:3]
	v_cmp_eq_u32_e32 vcc, 0, v0
	s_and_saveexec_b64 s[2:3], vcc
	s_cbranch_execz .LBB52_25
.LBB52_28:
	s_load_dword s4, s[0:1], 0xd20
	s_load_dword s5, s[0:1], 0xd38
	s_load_dwordx2 s[2:3], s[0:1], 0xd30
	v_mov_b32_e32 v0, 0
	s_waitcnt lgkmcnt(0)
	s_add_i32 s0, s4, s18
	s_mul_i32 s0, s0, s5
	s_add_i32 s0, s0, s6
	s_ashr_i32 s1, s0, 31
	s_lshl_b64 s[0:1], s[0:1], 3
	s_add_u32 s0, s2, s0
	s_addc_u32 s1, s3, s1
	global_store_dwordx2 v0, v[2:3], s[0:1]
	s_endpgm
	.section	.rodata,"a",@progbits
	.p2align	6, 0x0
	.amdhsa_kernel _ZN2at6native12_GLOBAL__N_125multi_tensor_apply_kernelINS1_18TensorListMetadataILi1EEENS0_13LpNormFunctorIfLNS0_8NormTypeE0EdLi1ELi1ELi0EEEJPdiEEEvT_T0_DpT1_
		.amdhsa_group_segment_fixed_size 4096
		.amdhsa_private_segment_fixed_size 0
		.amdhsa_kernarg_size 3648
		.amdhsa_user_sgpr_count 2
		.amdhsa_user_sgpr_dispatch_ptr 0
		.amdhsa_user_sgpr_queue_ptr 0
		.amdhsa_user_sgpr_kernarg_segment_ptr 1
		.amdhsa_user_sgpr_dispatch_id 0
		.amdhsa_user_sgpr_kernarg_preload_length 0
		.amdhsa_user_sgpr_kernarg_preload_offset 0
		.amdhsa_user_sgpr_private_segment_size 0
		.amdhsa_uses_dynamic_stack 0
		.amdhsa_enable_private_segment 0
		.amdhsa_system_sgpr_workgroup_id_x 1
		.amdhsa_system_sgpr_workgroup_id_y 0
		.amdhsa_system_sgpr_workgroup_id_z 0
		.amdhsa_system_sgpr_workgroup_info 0
		.amdhsa_system_vgpr_workitem_id 0
		.amdhsa_next_free_vgpr 24
		.amdhsa_next_free_sgpr 22
		.amdhsa_accum_offset 24
		.amdhsa_reserve_vcc 1
		.amdhsa_float_round_mode_32 0
		.amdhsa_float_round_mode_16_64 0
		.amdhsa_float_denorm_mode_32 3
		.amdhsa_float_denorm_mode_16_64 3
		.amdhsa_dx10_clamp 1
		.amdhsa_ieee_mode 1
		.amdhsa_fp16_overflow 0
		.amdhsa_tg_split 0
		.amdhsa_exception_fp_ieee_invalid_op 0
		.amdhsa_exception_fp_denorm_src 0
		.amdhsa_exception_fp_ieee_div_zero 0
		.amdhsa_exception_fp_ieee_overflow 0
		.amdhsa_exception_fp_ieee_underflow 0
		.amdhsa_exception_fp_ieee_inexact 0
		.amdhsa_exception_int_div_zero 0
	.end_amdhsa_kernel
	.section	.text._ZN2at6native12_GLOBAL__N_125multi_tensor_apply_kernelINS1_18TensorListMetadataILi1EEENS0_13LpNormFunctorIfLNS0_8NormTypeE0EdLi1ELi1ELi0EEEJPdiEEEvT_T0_DpT1_,"axG",@progbits,_ZN2at6native12_GLOBAL__N_125multi_tensor_apply_kernelINS1_18TensorListMetadataILi1EEENS0_13LpNormFunctorIfLNS0_8NormTypeE0EdLi1ELi1ELi0EEEJPdiEEEvT_T0_DpT1_,comdat
.Lfunc_end52:
	.size	_ZN2at6native12_GLOBAL__N_125multi_tensor_apply_kernelINS1_18TensorListMetadataILi1EEENS0_13LpNormFunctorIfLNS0_8NormTypeE0EdLi1ELi1ELi0EEEJPdiEEEvT_T0_DpT1_, .Lfunc_end52-_ZN2at6native12_GLOBAL__N_125multi_tensor_apply_kernelINS1_18TensorListMetadataILi1EEENS0_13LpNormFunctorIfLNS0_8NormTypeE0EdLi1ELi1ELi0EEEJPdiEEEvT_T0_DpT1_
                                        ; -- End function
	.set _ZN2at6native12_GLOBAL__N_125multi_tensor_apply_kernelINS1_18TensorListMetadataILi1EEENS0_13LpNormFunctorIfLNS0_8NormTypeE0EdLi1ELi1ELi0EEEJPdiEEEvT_T0_DpT1_.num_vgpr, 24
	.set _ZN2at6native12_GLOBAL__N_125multi_tensor_apply_kernelINS1_18TensorListMetadataILi1EEENS0_13LpNormFunctorIfLNS0_8NormTypeE0EdLi1ELi1ELi0EEEJPdiEEEvT_T0_DpT1_.num_agpr, 0
	.set _ZN2at6native12_GLOBAL__N_125multi_tensor_apply_kernelINS1_18TensorListMetadataILi1EEENS0_13LpNormFunctorIfLNS0_8NormTypeE0EdLi1ELi1ELi0EEEJPdiEEEvT_T0_DpT1_.numbered_sgpr, 22
	.set _ZN2at6native12_GLOBAL__N_125multi_tensor_apply_kernelINS1_18TensorListMetadataILi1EEENS0_13LpNormFunctorIfLNS0_8NormTypeE0EdLi1ELi1ELi0EEEJPdiEEEvT_T0_DpT1_.num_named_barrier, 0
	.set _ZN2at6native12_GLOBAL__N_125multi_tensor_apply_kernelINS1_18TensorListMetadataILi1EEENS0_13LpNormFunctorIfLNS0_8NormTypeE0EdLi1ELi1ELi0EEEJPdiEEEvT_T0_DpT1_.private_seg_size, 0
	.set _ZN2at6native12_GLOBAL__N_125multi_tensor_apply_kernelINS1_18TensorListMetadataILi1EEENS0_13LpNormFunctorIfLNS0_8NormTypeE0EdLi1ELi1ELi0EEEJPdiEEEvT_T0_DpT1_.uses_vcc, 1
	.set _ZN2at6native12_GLOBAL__N_125multi_tensor_apply_kernelINS1_18TensorListMetadataILi1EEENS0_13LpNormFunctorIfLNS0_8NormTypeE0EdLi1ELi1ELi0EEEJPdiEEEvT_T0_DpT1_.uses_flat_scratch, 0
	.set _ZN2at6native12_GLOBAL__N_125multi_tensor_apply_kernelINS1_18TensorListMetadataILi1EEENS0_13LpNormFunctorIfLNS0_8NormTypeE0EdLi1ELi1ELi0EEEJPdiEEEvT_T0_DpT1_.has_dyn_sized_stack, 0
	.set _ZN2at6native12_GLOBAL__N_125multi_tensor_apply_kernelINS1_18TensorListMetadataILi1EEENS0_13LpNormFunctorIfLNS0_8NormTypeE0EdLi1ELi1ELi0EEEJPdiEEEvT_T0_DpT1_.has_recursion, 0
	.set _ZN2at6native12_GLOBAL__N_125multi_tensor_apply_kernelINS1_18TensorListMetadataILi1EEENS0_13LpNormFunctorIfLNS0_8NormTypeE0EdLi1ELi1ELi0EEEJPdiEEEvT_T0_DpT1_.has_indirect_call, 0
	.section	.AMDGPU.csdata,"",@progbits
; Kernel info:
; codeLenInByte = 1736
; TotalNumSgprs: 28
; NumVgprs: 24
; NumAgprs: 0
; TotalNumVgprs: 24
; ScratchSize: 0
; MemoryBound: 0
; FloatMode: 240
; IeeeMode: 1
; LDSByteSize: 4096 bytes/workgroup (compile time only)
; SGPRBlocks: 3
; VGPRBlocks: 2
; NumSGPRsForWavesPerEU: 28
; NumVGPRsForWavesPerEU: 24
; AccumOffset: 24
; Occupancy: 8
; WaveLimiterHint : 0
; COMPUTE_PGM_RSRC2:SCRATCH_EN: 0
; COMPUTE_PGM_RSRC2:USER_SGPR: 2
; COMPUTE_PGM_RSRC2:TRAP_HANDLER: 0
; COMPUTE_PGM_RSRC2:TGID_X_EN: 1
; COMPUTE_PGM_RSRC2:TGID_Y_EN: 0
; COMPUTE_PGM_RSRC2:TGID_Z_EN: 0
; COMPUTE_PGM_RSRC2:TIDIG_COMP_CNT: 0
; COMPUTE_PGM_RSRC3_GFX90A:ACCUM_OFFSET: 5
; COMPUTE_PGM_RSRC3_GFX90A:TG_SPLIT: 0
	.section	.text._ZN2at6native12_GLOBAL__N_125multi_tensor_apply_kernelINS1_18TensorListMetadataILi1EEENS0_13LpNormFunctorIfLNS0_8NormTypeE1EdLi1ELi1ELi0EEEJPdiEEEvT_T0_DpT1_,"axG",@progbits,_ZN2at6native12_GLOBAL__N_125multi_tensor_apply_kernelINS1_18TensorListMetadataILi1EEENS0_13LpNormFunctorIfLNS0_8NormTypeE1EdLi1ELi1ELi0EEEJPdiEEEvT_T0_DpT1_,comdat
	.globl	_ZN2at6native12_GLOBAL__N_125multi_tensor_apply_kernelINS1_18TensorListMetadataILi1EEENS0_13LpNormFunctorIfLNS0_8NormTypeE1EdLi1ELi1ELi0EEEJPdiEEEvT_T0_DpT1_ ; -- Begin function _ZN2at6native12_GLOBAL__N_125multi_tensor_apply_kernelINS1_18TensorListMetadataILi1EEENS0_13LpNormFunctorIfLNS0_8NormTypeE1EdLi1ELi1ELi0EEEJPdiEEEvT_T0_DpT1_
	.p2align	8
	.type	_ZN2at6native12_GLOBAL__N_125multi_tensor_apply_kernelINS1_18TensorListMetadataILi1EEENS0_13LpNormFunctorIfLNS0_8NormTypeE1EdLi1ELi1ELi0EEEJPdiEEEvT_T0_DpT1_,@function
_ZN2at6native12_GLOBAL__N_125multi_tensor_apply_kernelINS1_18TensorListMetadataILi1EEENS0_13LpNormFunctorIfLNS0_8NormTypeE1EdLi1ELi1ELi0EEEJPdiEEEvT_T0_DpT1_: ; @_ZN2at6native12_GLOBAL__N_125multi_tensor_apply_kernelINS1_18TensorListMetadataILi1EEENS0_13LpNormFunctorIfLNS0_8NormTypeE1EdLi1ELi1ELi0EEEJPdiEEEvT_T0_DpT1_
; %bb.0:
	v_mov_b32_e32 v1, s2
	global_load_ubyte v1, v1, s[0:1] offset:1760
	s_add_u32 s3, s0, s2
	s_mul_hi_u32 s4, s2, 3
	s_mul_i32 s2, s2, 3
	s_addc_u32 s5, s1, 0
	s_add_u32 s2, s3, s2
	s_addc_u32 s3, s5, s4
	s_load_dword s4, s[2:3], 0x820
	s_mov_b32 s15, 0
	s_waitcnt vmcnt(0)
	v_readfirstlane_b32 s2, v1
	s_and_b32 s18, s2, 0xff
	s_lshl_b32 s5, s18, 3
	s_load_dwordx2 s[2:3], s[0:1], s5 offset:0x370
	s_load_dwordx2 s[6:7], s[0:1], s5 offset:0x0
	s_waitcnt lgkmcnt(0)
	s_ashr_i32 s5, s4, 31
	s_lshl_b64 s[10:11], s[4:5], 16
	s_lshl_b64 s[8:9], s[4:5], 18
	s_add_u32 s12, s6, s8
	s_addc_u32 s13, s7, s9
	s_sub_u32 s10, s2, s10
	s_subb_u32 s11, s3, s11
	s_and_b32 s14, s2, 3
	s_and_b32 s2, s12, 15
	s_mov_b32 s3, s15
	s_or_b64 s[2:3], s[14:15], s[2:3]
	s_cmp_eq_u64 s[2:3], 0
	s_cbranch_scc1 .LBB53_12
; %bb.1:
	v_cmp_lt_i64_e64 s[2:3], s[10:11], 1
	s_and_b64 vcc, exec, s[2:3]
	s_cbranch_vccnz .LBB53_13
; %bb.2:
	v_mov_b64_e32 v[2:3], 0x10000
	v_cmp_lt_i64_e32 vcc, s[10:11], v[2:3]
	s_and_b64 s[2:3], vcc, exec
	s_load_dword s2, s[0:1], 0xd4c
	v_mov_b32_e32 v11, 0
	v_mov_b32_e32 v10, v11
	s_cselect_b32 s15, s11, 0
	s_cselect_b32 s14, s10, 0x10000
	s_waitcnt lgkmcnt(0)
	s_and_b32 s16, s2, 0xffff
	v_mov_b32_e32 v12, v11
	v_mov_b32_e32 v13, v11
	;; [unrolled: 1-line block ×6, first 2 shown]
	v_mov_b64_e32 v[2:3], v[10:11]
	s_mov_b32 s5, 0x10000
	s_lshl_b32 s19, s16, 2
	v_lshl_add_u32 v18, s16, 1, v0
	v_mad_u64_u32 v[20:21], s[2:3], s16, 3, v[0:1]
	v_add_u32_e32 v22, s16, v0
	s_mov_b64 s[16:17], 0
	v_mov_b64_e32 v[4:5], v[12:13]
	v_mov_b64_e32 v[6:7], v[14:15]
	;; [unrolled: 1-line block ×3, first 2 shown]
	s_branch .LBB53_4
.LBB53_3:                               ;   in Loop: Header=BB53_4 Depth=1
	s_or_b64 exec, exec, s[2:3]
	s_add_u32 s16, s16, s19
	s_addc_u32 s17, s17, 0
	v_mov_b64_e32 v[12:13], s[14:15]
	v_cmp_lt_i64_e32 vcc, s[16:17], v[12:13]
	s_cbranch_vccz .LBB53_14
.LBB53_4:                               ; =>This Inner Loop Header: Depth=1
	v_add_u32_e32 v10, s16, v0
	v_cmp_gt_i64_e32 vcc, s[10:11], v[10:11]
	v_cmp_gt_u32_e64 s[2:3], s5, v10
	s_and_b64 s[20:21], s[2:3], vcc
	s_and_saveexec_b64 s[2:3], s[20:21]
	s_cbranch_execz .LBB53_6
; %bb.5:                                ;   in Loop: Header=BB53_4 Depth=1
	v_lshl_add_u64 v[12:13], v[10:11], 2, s[12:13]
	global_load_dword v1, v[12:13], off
	s_waitcnt vmcnt(0)
	v_cvt_f64_f32_e64 v[12:13], |v1|
	v_add_f64 v[2:3], v[2:3], v[12:13]
.LBB53_6:                               ;   in Loop: Header=BB53_4 Depth=1
	s_or_b64 exec, exec, s[2:3]
	v_add_u32_e32 v10, s16, v22
	v_cmp_gt_i64_e32 vcc, s[10:11], v[10:11]
	v_cmp_gt_u32_e64 s[2:3], s5, v10
	s_and_b64 s[20:21], s[2:3], vcc
	s_and_saveexec_b64 s[2:3], s[20:21]
	s_cbranch_execz .LBB53_8
; %bb.7:                                ;   in Loop: Header=BB53_4 Depth=1
	v_lshl_add_u64 v[12:13], v[10:11], 2, s[12:13]
	global_load_dword v1, v[12:13], off
	s_waitcnt vmcnt(0)
	v_cvt_f64_f32_e64 v[12:13], |v1|
	v_add_f64 v[4:5], v[4:5], v[12:13]
.LBB53_8:                               ;   in Loop: Header=BB53_4 Depth=1
	s_or_b64 exec, exec, s[2:3]
	v_add_u32_e32 v10, s16, v18
	v_cmp_gt_i64_e32 vcc, s[10:11], v[10:11]
	v_cmp_gt_u32_e64 s[2:3], s5, v10
	s_and_b64 s[20:21], s[2:3], vcc
	s_and_saveexec_b64 s[2:3], s[20:21]
	s_cbranch_execz .LBB53_10
; %bb.9:                                ;   in Loop: Header=BB53_4 Depth=1
	v_lshl_add_u64 v[12:13], v[10:11], 2, s[12:13]
	global_load_dword v1, v[12:13], off
	s_waitcnt vmcnt(0)
	v_cvt_f64_f32_e64 v[12:13], |v1|
	v_add_f64 v[6:7], v[6:7], v[12:13]
.LBB53_10:                              ;   in Loop: Header=BB53_4 Depth=1
	s_or_b64 exec, exec, s[2:3]
	v_add_u32_e32 v10, s16, v20
	v_cmp_gt_i64_e32 vcc, s[10:11], v[10:11]
	v_cmp_gt_u32_e64 s[2:3], s5, v10
	s_and_b64 s[20:21], s[2:3], vcc
	s_and_saveexec_b64 s[2:3], s[20:21]
	s_cbranch_execz .LBB53_3
; %bb.11:                               ;   in Loop: Header=BB53_4 Depth=1
	v_lshl_add_u64 v[12:13], v[10:11], 2, s[12:13]
	global_load_dword v1, v[12:13], off
	s_waitcnt vmcnt(0)
	v_cvt_f64_f32_e64 v[12:13], |v1|
	v_add_f64 v[8:9], v[8:9], v[12:13]
	s_branch .LBB53_3
.LBB53_12:
                                        ; implicit-def: $vgpr2_vgpr3_vgpr4_vgpr5_vgpr6_vgpr7_vgpr8_vgpr9
	s_branch .LBB53_15
.LBB53_13:
	v_mov_b32_e32 v2, 0
	v_mov_b32_e32 v3, v2
	;; [unrolled: 1-line block ×8, first 2 shown]
.LBB53_14:
	s_cbranch_execnz .LBB53_20
.LBB53_15:
	v_mov_b64_e32 v[4:5], 0x10000
	v_cmp_lt_i64_e32 vcc, s[10:11], v[4:5]
	s_and_b64 s[12:13], vcc, exec
	v_mov_b32_e32 v3, 0
	s_cselect_b32 s11, s11, 0
	s_cselect_b32 s10, s10, 0x10000
	v_lshlrev_b32_e32 v2, 2, v0
	s_mov_b32 s3, 0
	v_cmp_gt_i64_e32 vcc, s[10:11], v[2:3]
	v_mov_b32_e32 v2, v3
	v_mov_b32_e32 v4, v3
	;; [unrolled: 1-line block ×7, first 2 shown]
	s_and_saveexec_b64 s[12:13], vcc
	s_cbranch_execz .LBB53_19
; %bb.16:
	s_load_dword s2, s[0:1], 0xd4c
	v_lshlrev_b32_e32 v2, 4, v0
	v_mov_b32_e32 v1, v3
	s_mov_b32 s15, s3
	v_mov_b64_e32 v[12:13], v[0:1]
	s_waitcnt lgkmcnt(0)
	s_and_b32 s2, s2, 0xffff
	s_add_u32 s6, s6, s8
	s_addc_u32 s7, s7, s9
	v_lshl_add_u64 v[2:3], s[6:7], 0, v[2:3]
	s_lshl_b32 s14, s2, 4
	v_lshl_add_u64 v[10:11], v[2:3], 0, 8
	v_mov_b64_e32 v[2:3], 0
	s_mov_b64 s[6:7], 0
	v_mov_b64_e32 v[4:5], 0
	v_mov_b64_e32 v[6:7], 0
	v_mov_b64_e32 v[8:9], 0
.LBB53_17:                              ; =>This Inner Loop Header: Depth=1
	global_load_dwordx4 v[14:17], v[10:11], off offset:-8
	v_lshl_add_u64 v[12:13], v[12:13], 0, s[2:3]
	v_lshlrev_b64 v[18:19], 2, v[12:13]
	v_cmp_le_i64_e32 vcc, s[10:11], v[18:19]
	v_lshl_add_u64 v[10:11], v[10:11], 0, s[14:15]
	s_or_b64 s[6:7], vcc, s[6:7]
	s_waitcnt vmcnt(0)
	v_cvt_f64_f32_e64 v[18:19], |v14|
	v_cvt_f64_f32_e64 v[14:15], |v15|
	v_cvt_f64_f32_e64 v[20:21], |v16|
	v_cvt_f64_f32_e64 v[16:17], |v17|
	v_add_f64 v[2:3], v[2:3], v[18:19]
	v_add_f64 v[4:5], v[4:5], v[14:15]
	;; [unrolled: 1-line block ×4, first 2 shown]
	s_andn2_b64 exec, exec, s[6:7]
	s_cbranch_execnz .LBB53_17
; %bb.18:
	s_or_b64 exec, exec, s[6:7]
.LBB53_19:
	s_or_b64 exec, exec, s[12:13]
.LBB53_20:
	v_add_f64 v[2:3], v[2:3], 0
	v_add_f64 v[2:3], v[4:5], v[2:3]
	v_mbcnt_lo_u32_b32 v1, -1, 0
	v_add_f64 v[2:3], v[6:7], v[2:3]
	v_mbcnt_hi_u32_b32 v10, -1, v1
	v_mov_b32_e32 v1, 0x80
	v_add_f64 v[2:3], v[8:9], v[2:3]
	v_lshl_or_b32 v1, v10, 2, v1
	ds_bpermute_b32 v4, v1, v2
	ds_bpermute_b32 v5, v1, v3
	v_and_b32_e32 v12, 63, v10
	v_cmp_gt_u32_e32 vcc, 48, v12
	v_and_b32_e32 v11, 63, v0
	s_waitcnt lgkmcnt(0)
	v_add_f64 v[2:3], v[2:3], v[4:5]
	v_cndmask_b32_e64 v4, 0, 16, vcc
	v_add_lshl_u32 v6, v4, v10, 2
	ds_bpermute_b32 v4, v6, v2
	ds_bpermute_b32 v5, v6, v3
	v_cmp_gt_u32_e32 vcc, 56, v12
	s_barrier
	s_waitcnt lgkmcnt(0)
	v_add_f64 v[2:3], v[2:3], v[4:5]
	v_cndmask_b32_e64 v4, 0, 8, vcc
	v_add_lshl_u32 v7, v4, v10, 2
	ds_bpermute_b32 v4, v7, v2
	ds_bpermute_b32 v5, v7, v3
	v_cmp_gt_u32_e32 vcc, 60, v12
	s_waitcnt lgkmcnt(0)
	v_add_f64 v[2:3], v[2:3], v[4:5]
	v_cndmask_b32_e64 v4, 0, 4, vcc
	v_add_lshl_u32 v8, v4, v10, 2
	ds_bpermute_b32 v4, v8, v2
	ds_bpermute_b32 v5, v8, v3
	v_cmp_gt_u32_e32 vcc, 62, v12
	s_waitcnt lgkmcnt(0)
	v_add_f64 v[2:3], v[2:3], v[4:5]
	v_cndmask_b32_e64 v4, 0, 2, vcc
	v_add_lshl_u32 v9, v4, v10, 2
	ds_bpermute_b32 v4, v9, v2
	ds_bpermute_b32 v5, v9, v3
	v_cmp_ne_u32_e32 vcc, 63, v12
	s_waitcnt lgkmcnt(0)
	v_add_f64 v[2:3], v[2:3], v[4:5]
	v_addc_co_u32_e32 v4, vcc, 0, v10, vcc
	v_lshlrev_b32_e32 v10, 2, v4
	ds_bpermute_b32 v4, v10, v2
	ds_bpermute_b32 v5, v10, v3
	v_cmp_eq_u32_e32 vcc, 0, v11
	s_and_saveexec_b64 s[2:3], vcc
	s_cbranch_execz .LBB53_22
; %bb.21:
	v_lshrrev_b32_e32 v12, 3, v0
	s_waitcnt lgkmcnt(0)
	v_add_f64 v[2:3], v[2:3], v[4:5]
	ds_write_b64 v12, v[2:3]
.LBB53_22:
	s_or_b64 exec, exec, s[2:3]
	s_waitcnt lgkmcnt(0)
	s_barrier
	s_load_dword s2, s[0:1], 0xd4c
	v_mov_b64_e32 v[2:3], 0
	s_waitcnt lgkmcnt(0)
	s_bfe_u32 s2, s2, 0xa0006
	v_cmp_gt_u32_e32 vcc, s2, v0
	s_and_saveexec_b64 s[2:3], vcc
	s_cbranch_execnz .LBB53_26
; %bb.23:
	s_or_b64 exec, exec, s[2:3]
	v_cmp_gt_u32_e32 vcc, 64, v0
	s_and_saveexec_b64 s[2:3], vcc
	s_cbranch_execnz .LBB53_27
.LBB53_24:
	s_or_b64 exec, exec, s[2:3]
	v_cmp_eq_u32_e32 vcc, 0, v0
	s_and_saveexec_b64 s[2:3], vcc
	s_cbranch_execnz .LBB53_28
.LBB53_25:
	s_endpgm
.LBB53_26:
	v_lshlrev_b32_e32 v2, 3, v11
	ds_read_b64 v[2:3], v2
	s_or_b64 exec, exec, s[2:3]
	v_cmp_gt_u32_e32 vcc, 64, v0
	s_and_saveexec_b64 s[2:3], vcc
	s_cbranch_execz .LBB53_24
.LBB53_27:
	s_waitcnt lgkmcnt(0)
	ds_bpermute_b32 v4, v1, v2
	ds_bpermute_b32 v5, v1, v3
	s_waitcnt lgkmcnt(0)
	v_add_f64 v[2:3], v[2:3], v[4:5]
	ds_bpermute_b32 v4, v6, v2
	ds_bpermute_b32 v5, v6, v3
	s_waitcnt lgkmcnt(0)
	v_add_f64 v[2:3], v[2:3], v[4:5]
	;; [unrolled: 4-line block ×6, first 2 shown]
	s_or_b64 exec, exec, s[2:3]
	v_cmp_eq_u32_e32 vcc, 0, v0
	s_and_saveexec_b64 s[2:3], vcc
	s_cbranch_execz .LBB53_25
.LBB53_28:
	s_load_dword s5, s[0:1], 0xd20
	s_load_dword s6, s[0:1], 0xd38
	s_load_dwordx2 s[2:3], s[0:1], 0xd30
	v_mov_b32_e32 v0, 0
	s_waitcnt lgkmcnt(0)
	s_add_i32 s0, s5, s18
	s_mul_i32 s0, s0, s6
	s_add_i32 s0, s0, s4
	s_ashr_i32 s1, s0, 31
	s_lshl_b64 s[0:1], s[0:1], 3
	s_add_u32 s0, s2, s0
	s_addc_u32 s1, s3, s1
	global_store_dwordx2 v0, v[2:3], s[0:1]
	s_endpgm
	.section	.rodata,"a",@progbits
	.p2align	6, 0x0
	.amdhsa_kernel _ZN2at6native12_GLOBAL__N_125multi_tensor_apply_kernelINS1_18TensorListMetadataILi1EEENS0_13LpNormFunctorIfLNS0_8NormTypeE1EdLi1ELi1ELi0EEEJPdiEEEvT_T0_DpT1_
		.amdhsa_group_segment_fixed_size 4096
		.amdhsa_private_segment_fixed_size 0
		.amdhsa_kernarg_size 3648
		.amdhsa_user_sgpr_count 2
		.amdhsa_user_sgpr_dispatch_ptr 0
		.amdhsa_user_sgpr_queue_ptr 0
		.amdhsa_user_sgpr_kernarg_segment_ptr 1
		.amdhsa_user_sgpr_dispatch_id 0
		.amdhsa_user_sgpr_kernarg_preload_length 0
		.amdhsa_user_sgpr_kernarg_preload_offset 0
		.amdhsa_user_sgpr_private_segment_size 0
		.amdhsa_uses_dynamic_stack 0
		.amdhsa_enable_private_segment 0
		.amdhsa_system_sgpr_workgroup_id_x 1
		.amdhsa_system_sgpr_workgroup_id_y 0
		.amdhsa_system_sgpr_workgroup_id_z 0
		.amdhsa_system_sgpr_workgroup_info 0
		.amdhsa_system_vgpr_workitem_id 0
		.amdhsa_next_free_vgpr 23
		.amdhsa_next_free_sgpr 22
		.amdhsa_accum_offset 24
		.amdhsa_reserve_vcc 1
		.amdhsa_float_round_mode_32 0
		.amdhsa_float_round_mode_16_64 0
		.amdhsa_float_denorm_mode_32 3
		.amdhsa_float_denorm_mode_16_64 3
		.amdhsa_dx10_clamp 1
		.amdhsa_ieee_mode 1
		.amdhsa_fp16_overflow 0
		.amdhsa_tg_split 0
		.amdhsa_exception_fp_ieee_invalid_op 0
		.amdhsa_exception_fp_denorm_src 0
		.amdhsa_exception_fp_ieee_div_zero 0
		.amdhsa_exception_fp_ieee_overflow 0
		.amdhsa_exception_fp_ieee_underflow 0
		.amdhsa_exception_fp_ieee_inexact 0
		.amdhsa_exception_int_div_zero 0
	.end_amdhsa_kernel
	.section	.text._ZN2at6native12_GLOBAL__N_125multi_tensor_apply_kernelINS1_18TensorListMetadataILi1EEENS0_13LpNormFunctorIfLNS0_8NormTypeE1EdLi1ELi1ELi0EEEJPdiEEEvT_T0_DpT1_,"axG",@progbits,_ZN2at6native12_GLOBAL__N_125multi_tensor_apply_kernelINS1_18TensorListMetadataILi1EEENS0_13LpNormFunctorIfLNS0_8NormTypeE1EdLi1ELi1ELi0EEEJPdiEEEvT_T0_DpT1_,comdat
.Lfunc_end53:
	.size	_ZN2at6native12_GLOBAL__N_125multi_tensor_apply_kernelINS1_18TensorListMetadataILi1EEENS0_13LpNormFunctorIfLNS0_8NormTypeE1EdLi1ELi1ELi0EEEJPdiEEEvT_T0_DpT1_, .Lfunc_end53-_ZN2at6native12_GLOBAL__N_125multi_tensor_apply_kernelINS1_18TensorListMetadataILi1EEENS0_13LpNormFunctorIfLNS0_8NormTypeE1EdLi1ELi1ELi0EEEJPdiEEEvT_T0_DpT1_
                                        ; -- End function
	.set _ZN2at6native12_GLOBAL__N_125multi_tensor_apply_kernelINS1_18TensorListMetadataILi1EEENS0_13LpNormFunctorIfLNS0_8NormTypeE1EdLi1ELi1ELi0EEEJPdiEEEvT_T0_DpT1_.num_vgpr, 23
	.set _ZN2at6native12_GLOBAL__N_125multi_tensor_apply_kernelINS1_18TensorListMetadataILi1EEENS0_13LpNormFunctorIfLNS0_8NormTypeE1EdLi1ELi1ELi0EEEJPdiEEEvT_T0_DpT1_.num_agpr, 0
	.set _ZN2at6native12_GLOBAL__N_125multi_tensor_apply_kernelINS1_18TensorListMetadataILi1EEENS0_13LpNormFunctorIfLNS0_8NormTypeE1EdLi1ELi1ELi0EEEJPdiEEEvT_T0_DpT1_.numbered_sgpr, 22
	.set _ZN2at6native12_GLOBAL__N_125multi_tensor_apply_kernelINS1_18TensorListMetadataILi1EEENS0_13LpNormFunctorIfLNS0_8NormTypeE1EdLi1ELi1ELi0EEEJPdiEEEvT_T0_DpT1_.num_named_barrier, 0
	.set _ZN2at6native12_GLOBAL__N_125multi_tensor_apply_kernelINS1_18TensorListMetadataILi1EEENS0_13LpNormFunctorIfLNS0_8NormTypeE1EdLi1ELi1ELi0EEEJPdiEEEvT_T0_DpT1_.private_seg_size, 0
	.set _ZN2at6native12_GLOBAL__N_125multi_tensor_apply_kernelINS1_18TensorListMetadataILi1EEENS0_13LpNormFunctorIfLNS0_8NormTypeE1EdLi1ELi1ELi0EEEJPdiEEEvT_T0_DpT1_.uses_vcc, 1
	.set _ZN2at6native12_GLOBAL__N_125multi_tensor_apply_kernelINS1_18TensorListMetadataILi1EEENS0_13LpNormFunctorIfLNS0_8NormTypeE1EdLi1ELi1ELi0EEEJPdiEEEvT_T0_DpT1_.uses_flat_scratch, 0
	.set _ZN2at6native12_GLOBAL__N_125multi_tensor_apply_kernelINS1_18TensorListMetadataILi1EEENS0_13LpNormFunctorIfLNS0_8NormTypeE1EdLi1ELi1ELi0EEEJPdiEEEvT_T0_DpT1_.has_dyn_sized_stack, 0
	.set _ZN2at6native12_GLOBAL__N_125multi_tensor_apply_kernelINS1_18TensorListMetadataILi1EEENS0_13LpNormFunctorIfLNS0_8NormTypeE1EdLi1ELi1ELi0EEEJPdiEEEvT_T0_DpT1_.has_recursion, 0
	.set _ZN2at6native12_GLOBAL__N_125multi_tensor_apply_kernelINS1_18TensorListMetadataILi1EEENS0_13LpNormFunctorIfLNS0_8NormTypeE1EdLi1ELi1ELi0EEEJPdiEEEvT_T0_DpT1_.has_indirect_call, 0
	.section	.AMDGPU.csdata,"",@progbits
; Kernel info:
; codeLenInByte = 1648
; TotalNumSgprs: 28
; NumVgprs: 23
; NumAgprs: 0
; TotalNumVgprs: 23
; ScratchSize: 0
; MemoryBound: 0
; FloatMode: 240
; IeeeMode: 1
; LDSByteSize: 4096 bytes/workgroup (compile time only)
; SGPRBlocks: 3
; VGPRBlocks: 2
; NumSGPRsForWavesPerEU: 28
; NumVGPRsForWavesPerEU: 23
; AccumOffset: 24
; Occupancy: 8
; WaveLimiterHint : 0
; COMPUTE_PGM_RSRC2:SCRATCH_EN: 0
; COMPUTE_PGM_RSRC2:USER_SGPR: 2
; COMPUTE_PGM_RSRC2:TRAP_HANDLER: 0
; COMPUTE_PGM_RSRC2:TGID_X_EN: 1
; COMPUTE_PGM_RSRC2:TGID_Y_EN: 0
; COMPUTE_PGM_RSRC2:TGID_Z_EN: 0
; COMPUTE_PGM_RSRC2:TIDIG_COMP_CNT: 0
; COMPUTE_PGM_RSRC3_GFX90A:ACCUM_OFFSET: 5
; COMPUTE_PGM_RSRC3_GFX90A:TG_SPLIT: 0
	.section	.text._ZN2at6native12_GLOBAL__N_125multi_tensor_apply_kernelINS1_18TensorListMetadataILi1EEENS0_13LpNormFunctorIfLNS0_8NormTypeE2EdLi1ELi1ELi0EEEJPdiEEEvT_T0_DpT1_,"axG",@progbits,_ZN2at6native12_GLOBAL__N_125multi_tensor_apply_kernelINS1_18TensorListMetadataILi1EEENS0_13LpNormFunctorIfLNS0_8NormTypeE2EdLi1ELi1ELi0EEEJPdiEEEvT_T0_DpT1_,comdat
	.globl	_ZN2at6native12_GLOBAL__N_125multi_tensor_apply_kernelINS1_18TensorListMetadataILi1EEENS0_13LpNormFunctorIfLNS0_8NormTypeE2EdLi1ELi1ELi0EEEJPdiEEEvT_T0_DpT1_ ; -- Begin function _ZN2at6native12_GLOBAL__N_125multi_tensor_apply_kernelINS1_18TensorListMetadataILi1EEENS0_13LpNormFunctorIfLNS0_8NormTypeE2EdLi1ELi1ELi0EEEJPdiEEEvT_T0_DpT1_
	.p2align	8
	.type	_ZN2at6native12_GLOBAL__N_125multi_tensor_apply_kernelINS1_18TensorListMetadataILi1EEENS0_13LpNormFunctorIfLNS0_8NormTypeE2EdLi1ELi1ELi0EEEJPdiEEEvT_T0_DpT1_,@function
_ZN2at6native12_GLOBAL__N_125multi_tensor_apply_kernelINS1_18TensorListMetadataILi1EEENS0_13LpNormFunctorIfLNS0_8NormTypeE2EdLi1ELi1ELi0EEEJPdiEEEvT_T0_DpT1_: ; @_ZN2at6native12_GLOBAL__N_125multi_tensor_apply_kernelINS1_18TensorListMetadataILi1EEENS0_13LpNormFunctorIfLNS0_8NormTypeE2EdLi1ELi1ELi0EEEJPdiEEEvT_T0_DpT1_
; %bb.0:
	v_mov_b32_e32 v1, s2
	global_load_ubyte v1, v1, s[0:1] offset:1760
	s_add_u32 s3, s0, s2
	s_mul_hi_u32 s4, s2, 3
	s_mul_i32 s2, s2, 3
	s_addc_u32 s5, s1, 0
	s_add_u32 s2, s3, s2
	s_addc_u32 s3, s5, s4
	s_load_dword s4, s[2:3], 0x820
	s_mov_b32 s15, 0
	s_waitcnt vmcnt(0)
	v_readfirstlane_b32 s2, v1
	s_and_b32 s18, s2, 0xff
	s_lshl_b32 s5, s18, 3
	s_load_dwordx2 s[2:3], s[0:1], s5 offset:0x370
	s_load_dwordx2 s[6:7], s[0:1], s5 offset:0x0
	s_waitcnt lgkmcnt(0)
	s_ashr_i32 s5, s4, 31
	s_lshl_b64 s[10:11], s[4:5], 16
	s_lshl_b64 s[8:9], s[4:5], 18
	s_add_u32 s12, s6, s8
	s_addc_u32 s13, s7, s9
	s_sub_u32 s10, s2, s10
	s_subb_u32 s11, s3, s11
	s_and_b32 s14, s2, 3
	s_and_b32 s2, s12, 15
	s_mov_b32 s3, s15
	s_or_b64 s[2:3], s[14:15], s[2:3]
	s_cmp_eq_u64 s[2:3], 0
	s_cbranch_scc1 .LBB54_12
; %bb.1:
	v_cmp_lt_i64_e64 s[2:3], s[10:11], 1
	s_and_b64 vcc, exec, s[2:3]
	s_cbranch_vccnz .LBB54_13
; %bb.2:
	v_mov_b64_e32 v[2:3], 0x10000
	v_cmp_lt_i64_e32 vcc, s[10:11], v[2:3]
	s_and_b64 s[2:3], vcc, exec
	s_load_dword s2, s[0:1], 0xd4c
	v_mov_b32_e32 v11, 0
	v_mov_b32_e32 v10, v11
	s_cselect_b32 s15, s11, 0
	s_cselect_b32 s14, s10, 0x10000
	s_waitcnt lgkmcnt(0)
	s_and_b32 s16, s2, 0xffff
	v_mov_b32_e32 v12, v11
	v_mov_b32_e32 v13, v11
	;; [unrolled: 1-line block ×6, first 2 shown]
	v_mov_b64_e32 v[2:3], v[10:11]
	s_mov_b32 s5, 0x10000
	s_lshl_b32 s19, s16, 2
	v_lshl_add_u32 v18, s16, 1, v0
	v_mad_u64_u32 v[20:21], s[2:3], s16, 3, v[0:1]
	v_add_u32_e32 v22, s16, v0
	s_mov_b64 s[16:17], 0
	v_mov_b64_e32 v[4:5], v[12:13]
	v_mov_b64_e32 v[6:7], v[14:15]
	;; [unrolled: 1-line block ×3, first 2 shown]
	s_branch .LBB54_4
.LBB54_3:                               ;   in Loop: Header=BB54_4 Depth=1
	s_or_b64 exec, exec, s[2:3]
	s_add_u32 s16, s16, s19
	s_addc_u32 s17, s17, 0
	v_mov_b64_e32 v[12:13], s[14:15]
	v_cmp_lt_i64_e32 vcc, s[16:17], v[12:13]
	s_cbranch_vccz .LBB54_14
.LBB54_4:                               ; =>This Inner Loop Header: Depth=1
	v_add_u32_e32 v10, s16, v0
	v_cmp_gt_i64_e32 vcc, s[10:11], v[10:11]
	v_cmp_gt_u32_e64 s[2:3], s5, v10
	s_and_b64 s[20:21], s[2:3], vcc
	s_and_saveexec_b64 s[2:3], s[20:21]
	s_cbranch_execz .LBB54_6
; %bb.5:                                ;   in Loop: Header=BB54_4 Depth=1
	v_lshl_add_u64 v[12:13], v[10:11], 2, s[12:13]
	global_load_dword v1, v[12:13], off
	s_waitcnt vmcnt(0)
	v_cvt_f64_f32_e32 v[12:13], v1
	v_fmac_f64_e32 v[2:3], v[12:13], v[12:13]
.LBB54_6:                               ;   in Loop: Header=BB54_4 Depth=1
	s_or_b64 exec, exec, s[2:3]
	v_add_u32_e32 v10, s16, v22
	v_cmp_gt_i64_e32 vcc, s[10:11], v[10:11]
	v_cmp_gt_u32_e64 s[2:3], s5, v10
	s_and_b64 s[20:21], s[2:3], vcc
	s_and_saveexec_b64 s[2:3], s[20:21]
	s_cbranch_execz .LBB54_8
; %bb.7:                                ;   in Loop: Header=BB54_4 Depth=1
	v_lshl_add_u64 v[12:13], v[10:11], 2, s[12:13]
	global_load_dword v1, v[12:13], off
	s_waitcnt vmcnt(0)
	v_cvt_f64_f32_e32 v[12:13], v1
	v_fmac_f64_e32 v[4:5], v[12:13], v[12:13]
.LBB54_8:                               ;   in Loop: Header=BB54_4 Depth=1
	s_or_b64 exec, exec, s[2:3]
	v_add_u32_e32 v10, s16, v18
	v_cmp_gt_i64_e32 vcc, s[10:11], v[10:11]
	v_cmp_gt_u32_e64 s[2:3], s5, v10
	s_and_b64 s[20:21], s[2:3], vcc
	s_and_saveexec_b64 s[2:3], s[20:21]
	s_cbranch_execz .LBB54_10
; %bb.9:                                ;   in Loop: Header=BB54_4 Depth=1
	v_lshl_add_u64 v[12:13], v[10:11], 2, s[12:13]
	global_load_dword v1, v[12:13], off
	s_waitcnt vmcnt(0)
	v_cvt_f64_f32_e32 v[12:13], v1
	v_fmac_f64_e32 v[6:7], v[12:13], v[12:13]
.LBB54_10:                              ;   in Loop: Header=BB54_4 Depth=1
	s_or_b64 exec, exec, s[2:3]
	v_add_u32_e32 v10, s16, v20
	v_cmp_gt_i64_e32 vcc, s[10:11], v[10:11]
	v_cmp_gt_u32_e64 s[2:3], s5, v10
	s_and_b64 s[20:21], s[2:3], vcc
	s_and_saveexec_b64 s[2:3], s[20:21]
	s_cbranch_execz .LBB54_3
; %bb.11:                               ;   in Loop: Header=BB54_4 Depth=1
	v_lshl_add_u64 v[12:13], v[10:11], 2, s[12:13]
	global_load_dword v1, v[12:13], off
	s_waitcnt vmcnt(0)
	v_cvt_f64_f32_e32 v[12:13], v1
	v_fmac_f64_e32 v[8:9], v[12:13], v[12:13]
	s_branch .LBB54_3
.LBB54_12:
                                        ; implicit-def: $vgpr2_vgpr3_vgpr4_vgpr5_vgpr6_vgpr7_vgpr8_vgpr9
	s_branch .LBB54_15
.LBB54_13:
	v_mov_b32_e32 v2, 0
	v_mov_b32_e32 v3, v2
	;; [unrolled: 1-line block ×8, first 2 shown]
.LBB54_14:
	s_cbranch_execnz .LBB54_20
.LBB54_15:
	v_mov_b64_e32 v[4:5], 0x10000
	v_cmp_lt_i64_e32 vcc, s[10:11], v[4:5]
	s_and_b64 s[12:13], vcc, exec
	v_mov_b32_e32 v3, 0
	s_cselect_b32 s11, s11, 0
	s_cselect_b32 s10, s10, 0x10000
	v_lshlrev_b32_e32 v2, 2, v0
	s_mov_b32 s3, 0
	v_cmp_gt_i64_e32 vcc, s[10:11], v[2:3]
	v_mov_b32_e32 v2, v3
	v_mov_b32_e32 v4, v3
	;; [unrolled: 1-line block ×7, first 2 shown]
	s_and_saveexec_b64 s[12:13], vcc
	s_cbranch_execz .LBB54_19
; %bb.16:
	s_load_dword s2, s[0:1], 0xd4c
	v_lshlrev_b32_e32 v2, 4, v0
	v_mov_b32_e32 v1, v3
	s_mov_b32 s15, s3
	v_mov_b64_e32 v[12:13], v[0:1]
	s_waitcnt lgkmcnt(0)
	s_and_b32 s2, s2, 0xffff
	s_add_u32 s6, s6, s8
	s_addc_u32 s7, s7, s9
	v_lshl_add_u64 v[2:3], s[6:7], 0, v[2:3]
	s_lshl_b32 s14, s2, 4
	v_lshl_add_u64 v[10:11], v[2:3], 0, 8
	v_mov_b64_e32 v[2:3], 0
	s_mov_b64 s[6:7], 0
	v_mov_b64_e32 v[4:5], 0
	v_mov_b64_e32 v[6:7], 0
	v_mov_b64_e32 v[8:9], 0
.LBB54_17:                              ; =>This Inner Loop Header: Depth=1
	global_load_dwordx4 v[14:17], v[10:11], off offset:-8
	v_lshl_add_u64 v[12:13], v[12:13], 0, s[2:3]
	v_lshlrev_b64 v[18:19], 2, v[12:13]
	v_cmp_le_i64_e32 vcc, s[10:11], v[18:19]
	v_lshl_add_u64 v[10:11], v[10:11], 0, s[14:15]
	s_or_b64 s[6:7], vcc, s[6:7]
	s_waitcnt vmcnt(0)
	v_cvt_f64_f32_e32 v[18:19], v14
	v_cvt_f64_f32_e32 v[14:15], v15
	;; [unrolled: 1-line block ×4, first 2 shown]
	v_fmac_f64_e32 v[2:3], v[18:19], v[18:19]
	v_fmac_f64_e32 v[4:5], v[14:15], v[14:15]
	;; [unrolled: 1-line block ×4, first 2 shown]
	s_andn2_b64 exec, exec, s[6:7]
	s_cbranch_execnz .LBB54_17
; %bb.18:
	s_or_b64 exec, exec, s[6:7]
.LBB54_19:
	s_or_b64 exec, exec, s[12:13]
.LBB54_20:
	v_add_f64 v[2:3], v[2:3], 0
	v_add_f64 v[2:3], v[4:5], v[2:3]
	v_mbcnt_lo_u32_b32 v1, -1, 0
	v_add_f64 v[2:3], v[6:7], v[2:3]
	v_mbcnt_hi_u32_b32 v10, -1, v1
	v_mov_b32_e32 v1, 0x80
	v_add_f64 v[2:3], v[8:9], v[2:3]
	v_lshl_or_b32 v1, v10, 2, v1
	ds_bpermute_b32 v4, v1, v2
	ds_bpermute_b32 v5, v1, v3
	v_and_b32_e32 v12, 63, v10
	v_cmp_gt_u32_e32 vcc, 48, v12
	v_and_b32_e32 v11, 63, v0
	s_waitcnt lgkmcnt(0)
	v_add_f64 v[2:3], v[2:3], v[4:5]
	v_cndmask_b32_e64 v4, 0, 16, vcc
	v_add_lshl_u32 v6, v4, v10, 2
	ds_bpermute_b32 v4, v6, v2
	ds_bpermute_b32 v5, v6, v3
	v_cmp_gt_u32_e32 vcc, 56, v12
	s_barrier
	s_waitcnt lgkmcnt(0)
	v_add_f64 v[2:3], v[2:3], v[4:5]
	v_cndmask_b32_e64 v4, 0, 8, vcc
	v_add_lshl_u32 v7, v4, v10, 2
	ds_bpermute_b32 v4, v7, v2
	ds_bpermute_b32 v5, v7, v3
	v_cmp_gt_u32_e32 vcc, 60, v12
	s_waitcnt lgkmcnt(0)
	v_add_f64 v[2:3], v[2:3], v[4:5]
	v_cndmask_b32_e64 v4, 0, 4, vcc
	v_add_lshl_u32 v8, v4, v10, 2
	ds_bpermute_b32 v4, v8, v2
	ds_bpermute_b32 v5, v8, v3
	v_cmp_gt_u32_e32 vcc, 62, v12
	s_waitcnt lgkmcnt(0)
	v_add_f64 v[2:3], v[2:3], v[4:5]
	v_cndmask_b32_e64 v4, 0, 2, vcc
	v_add_lshl_u32 v9, v4, v10, 2
	ds_bpermute_b32 v4, v9, v2
	ds_bpermute_b32 v5, v9, v3
	v_cmp_ne_u32_e32 vcc, 63, v12
	s_waitcnt lgkmcnt(0)
	v_add_f64 v[2:3], v[2:3], v[4:5]
	v_addc_co_u32_e32 v4, vcc, 0, v10, vcc
	v_lshlrev_b32_e32 v10, 2, v4
	ds_bpermute_b32 v4, v10, v2
	ds_bpermute_b32 v5, v10, v3
	v_cmp_eq_u32_e32 vcc, 0, v11
	s_and_saveexec_b64 s[2:3], vcc
	s_cbranch_execz .LBB54_22
; %bb.21:
	v_lshrrev_b32_e32 v12, 3, v0
	s_waitcnt lgkmcnt(0)
	v_add_f64 v[2:3], v[2:3], v[4:5]
	ds_write_b64 v12, v[2:3]
.LBB54_22:
	s_or_b64 exec, exec, s[2:3]
	s_waitcnt lgkmcnt(0)
	s_barrier
	s_load_dword s2, s[0:1], 0xd4c
	v_mov_b64_e32 v[2:3], 0
	s_waitcnt lgkmcnt(0)
	s_bfe_u32 s2, s2, 0xa0006
	v_cmp_gt_u32_e32 vcc, s2, v0
	s_and_saveexec_b64 s[2:3], vcc
	s_cbranch_execnz .LBB54_26
; %bb.23:
	s_or_b64 exec, exec, s[2:3]
	v_cmp_gt_u32_e32 vcc, 64, v0
	s_and_saveexec_b64 s[2:3], vcc
	s_cbranch_execnz .LBB54_27
.LBB54_24:
	s_or_b64 exec, exec, s[2:3]
	v_cmp_eq_u32_e32 vcc, 0, v0
	s_and_saveexec_b64 s[2:3], vcc
	s_cbranch_execnz .LBB54_28
.LBB54_25:
	s_endpgm
.LBB54_26:
	v_lshlrev_b32_e32 v2, 3, v11
	ds_read_b64 v[2:3], v2
	s_or_b64 exec, exec, s[2:3]
	v_cmp_gt_u32_e32 vcc, 64, v0
	s_and_saveexec_b64 s[2:3], vcc
	s_cbranch_execz .LBB54_24
.LBB54_27:
	s_waitcnt lgkmcnt(0)
	ds_bpermute_b32 v4, v1, v2
	ds_bpermute_b32 v5, v1, v3
	s_waitcnt lgkmcnt(0)
	v_add_f64 v[2:3], v[2:3], v[4:5]
	ds_bpermute_b32 v4, v6, v2
	ds_bpermute_b32 v5, v6, v3
	s_waitcnt lgkmcnt(0)
	v_add_f64 v[2:3], v[2:3], v[4:5]
	;; [unrolled: 4-line block ×6, first 2 shown]
	s_or_b64 exec, exec, s[2:3]
	v_cmp_eq_u32_e32 vcc, 0, v0
	s_and_saveexec_b64 s[2:3], vcc
	s_cbranch_execz .LBB54_25
.LBB54_28:
	s_load_dword s5, s[0:1], 0xd20
	s_load_dword s6, s[0:1], 0xd38
	s_load_dwordx2 s[2:3], s[0:1], 0xd30
	v_mov_b32_e32 v0, 0
	s_waitcnt lgkmcnt(0)
	s_add_i32 s0, s5, s18
	s_mul_i32 s0, s0, s6
	s_add_i32 s0, s0, s4
	s_ashr_i32 s1, s0, 31
	s_lshl_b64 s[0:1], s[0:1], 3
	s_add_u32 s0, s2, s0
	s_addc_u32 s1, s3, s1
	global_store_dwordx2 v0, v[2:3], s[0:1]
	s_endpgm
	.section	.rodata,"a",@progbits
	.p2align	6, 0x0
	.amdhsa_kernel _ZN2at6native12_GLOBAL__N_125multi_tensor_apply_kernelINS1_18TensorListMetadataILi1EEENS0_13LpNormFunctorIfLNS0_8NormTypeE2EdLi1ELi1ELi0EEEJPdiEEEvT_T0_DpT1_
		.amdhsa_group_segment_fixed_size 4096
		.amdhsa_private_segment_fixed_size 0
		.amdhsa_kernarg_size 3648
		.amdhsa_user_sgpr_count 2
		.amdhsa_user_sgpr_dispatch_ptr 0
		.amdhsa_user_sgpr_queue_ptr 0
		.amdhsa_user_sgpr_kernarg_segment_ptr 1
		.amdhsa_user_sgpr_dispatch_id 0
		.amdhsa_user_sgpr_kernarg_preload_length 0
		.amdhsa_user_sgpr_kernarg_preload_offset 0
		.amdhsa_user_sgpr_private_segment_size 0
		.amdhsa_uses_dynamic_stack 0
		.amdhsa_enable_private_segment 0
		.amdhsa_system_sgpr_workgroup_id_x 1
		.amdhsa_system_sgpr_workgroup_id_y 0
		.amdhsa_system_sgpr_workgroup_id_z 0
		.amdhsa_system_sgpr_workgroup_info 0
		.amdhsa_system_vgpr_workitem_id 0
		.amdhsa_next_free_vgpr 23
		.amdhsa_next_free_sgpr 22
		.amdhsa_accum_offset 24
		.amdhsa_reserve_vcc 1
		.amdhsa_float_round_mode_32 0
		.amdhsa_float_round_mode_16_64 0
		.amdhsa_float_denorm_mode_32 3
		.amdhsa_float_denorm_mode_16_64 3
		.amdhsa_dx10_clamp 1
		.amdhsa_ieee_mode 1
		.amdhsa_fp16_overflow 0
		.amdhsa_tg_split 0
		.amdhsa_exception_fp_ieee_invalid_op 0
		.amdhsa_exception_fp_denorm_src 0
		.amdhsa_exception_fp_ieee_div_zero 0
		.amdhsa_exception_fp_ieee_overflow 0
		.amdhsa_exception_fp_ieee_underflow 0
		.amdhsa_exception_fp_ieee_inexact 0
		.amdhsa_exception_int_div_zero 0
	.end_amdhsa_kernel
	.section	.text._ZN2at6native12_GLOBAL__N_125multi_tensor_apply_kernelINS1_18TensorListMetadataILi1EEENS0_13LpNormFunctorIfLNS0_8NormTypeE2EdLi1ELi1ELi0EEEJPdiEEEvT_T0_DpT1_,"axG",@progbits,_ZN2at6native12_GLOBAL__N_125multi_tensor_apply_kernelINS1_18TensorListMetadataILi1EEENS0_13LpNormFunctorIfLNS0_8NormTypeE2EdLi1ELi1ELi0EEEJPdiEEEvT_T0_DpT1_,comdat
.Lfunc_end54:
	.size	_ZN2at6native12_GLOBAL__N_125multi_tensor_apply_kernelINS1_18TensorListMetadataILi1EEENS0_13LpNormFunctorIfLNS0_8NormTypeE2EdLi1ELi1ELi0EEEJPdiEEEvT_T0_DpT1_, .Lfunc_end54-_ZN2at6native12_GLOBAL__N_125multi_tensor_apply_kernelINS1_18TensorListMetadataILi1EEENS0_13LpNormFunctorIfLNS0_8NormTypeE2EdLi1ELi1ELi0EEEJPdiEEEvT_T0_DpT1_
                                        ; -- End function
	.set _ZN2at6native12_GLOBAL__N_125multi_tensor_apply_kernelINS1_18TensorListMetadataILi1EEENS0_13LpNormFunctorIfLNS0_8NormTypeE2EdLi1ELi1ELi0EEEJPdiEEEvT_T0_DpT1_.num_vgpr, 23
	.set _ZN2at6native12_GLOBAL__N_125multi_tensor_apply_kernelINS1_18TensorListMetadataILi1EEENS0_13LpNormFunctorIfLNS0_8NormTypeE2EdLi1ELi1ELi0EEEJPdiEEEvT_T0_DpT1_.num_agpr, 0
	.set _ZN2at6native12_GLOBAL__N_125multi_tensor_apply_kernelINS1_18TensorListMetadataILi1EEENS0_13LpNormFunctorIfLNS0_8NormTypeE2EdLi1ELi1ELi0EEEJPdiEEEvT_T0_DpT1_.numbered_sgpr, 22
	.set _ZN2at6native12_GLOBAL__N_125multi_tensor_apply_kernelINS1_18TensorListMetadataILi1EEENS0_13LpNormFunctorIfLNS0_8NormTypeE2EdLi1ELi1ELi0EEEJPdiEEEvT_T0_DpT1_.num_named_barrier, 0
	.set _ZN2at6native12_GLOBAL__N_125multi_tensor_apply_kernelINS1_18TensorListMetadataILi1EEENS0_13LpNormFunctorIfLNS0_8NormTypeE2EdLi1ELi1ELi0EEEJPdiEEEvT_T0_DpT1_.private_seg_size, 0
	.set _ZN2at6native12_GLOBAL__N_125multi_tensor_apply_kernelINS1_18TensorListMetadataILi1EEENS0_13LpNormFunctorIfLNS0_8NormTypeE2EdLi1ELi1ELi0EEEJPdiEEEvT_T0_DpT1_.uses_vcc, 1
	.set _ZN2at6native12_GLOBAL__N_125multi_tensor_apply_kernelINS1_18TensorListMetadataILi1EEENS0_13LpNormFunctorIfLNS0_8NormTypeE2EdLi1ELi1ELi0EEEJPdiEEEvT_T0_DpT1_.uses_flat_scratch, 0
	.set _ZN2at6native12_GLOBAL__N_125multi_tensor_apply_kernelINS1_18TensorListMetadataILi1EEENS0_13LpNormFunctorIfLNS0_8NormTypeE2EdLi1ELi1ELi0EEEJPdiEEEvT_T0_DpT1_.has_dyn_sized_stack, 0
	.set _ZN2at6native12_GLOBAL__N_125multi_tensor_apply_kernelINS1_18TensorListMetadataILi1EEENS0_13LpNormFunctorIfLNS0_8NormTypeE2EdLi1ELi1ELi0EEEJPdiEEEvT_T0_DpT1_.has_recursion, 0
	.set _ZN2at6native12_GLOBAL__N_125multi_tensor_apply_kernelINS1_18TensorListMetadataILi1EEENS0_13LpNormFunctorIfLNS0_8NormTypeE2EdLi1ELi1ELi0EEEJPdiEEEvT_T0_DpT1_.has_indirect_call, 0
	.section	.AMDGPU.csdata,"",@progbits
; Kernel info:
; codeLenInByte = 1584
; TotalNumSgprs: 28
; NumVgprs: 23
; NumAgprs: 0
; TotalNumVgprs: 23
; ScratchSize: 0
; MemoryBound: 0
; FloatMode: 240
; IeeeMode: 1
; LDSByteSize: 4096 bytes/workgroup (compile time only)
; SGPRBlocks: 3
; VGPRBlocks: 2
; NumSGPRsForWavesPerEU: 28
; NumVGPRsForWavesPerEU: 23
; AccumOffset: 24
; Occupancy: 8
; WaveLimiterHint : 0
; COMPUTE_PGM_RSRC2:SCRATCH_EN: 0
; COMPUTE_PGM_RSRC2:USER_SGPR: 2
; COMPUTE_PGM_RSRC2:TRAP_HANDLER: 0
; COMPUTE_PGM_RSRC2:TGID_X_EN: 1
; COMPUTE_PGM_RSRC2:TGID_Y_EN: 0
; COMPUTE_PGM_RSRC2:TGID_Z_EN: 0
; COMPUTE_PGM_RSRC2:TIDIG_COMP_CNT: 0
; COMPUTE_PGM_RSRC3_GFX90A:ACCUM_OFFSET: 5
; COMPUTE_PGM_RSRC3_GFX90A:TG_SPLIT: 0
	.section	.text._ZN2at6native12_GLOBAL__N_125multi_tensor_apply_kernelINS1_18TensorListMetadataILi1EEENS0_13LpNormFunctorIfLNS0_8NormTypeE3EdLi1ELi1ELi0EEEJPdiEEEvT_T0_DpT1_,"axG",@progbits,_ZN2at6native12_GLOBAL__N_125multi_tensor_apply_kernelINS1_18TensorListMetadataILi1EEENS0_13LpNormFunctorIfLNS0_8NormTypeE3EdLi1ELi1ELi0EEEJPdiEEEvT_T0_DpT1_,comdat
	.globl	_ZN2at6native12_GLOBAL__N_125multi_tensor_apply_kernelINS1_18TensorListMetadataILi1EEENS0_13LpNormFunctorIfLNS0_8NormTypeE3EdLi1ELi1ELi0EEEJPdiEEEvT_T0_DpT1_ ; -- Begin function _ZN2at6native12_GLOBAL__N_125multi_tensor_apply_kernelINS1_18TensorListMetadataILi1EEENS0_13LpNormFunctorIfLNS0_8NormTypeE3EdLi1ELi1ELi0EEEJPdiEEEvT_T0_DpT1_
	.p2align	8
	.type	_ZN2at6native12_GLOBAL__N_125multi_tensor_apply_kernelINS1_18TensorListMetadataILi1EEENS0_13LpNormFunctorIfLNS0_8NormTypeE3EdLi1ELi1ELi0EEEJPdiEEEvT_T0_DpT1_,@function
_ZN2at6native12_GLOBAL__N_125multi_tensor_apply_kernelINS1_18TensorListMetadataILi1EEENS0_13LpNormFunctorIfLNS0_8NormTypeE3EdLi1ELi1ELi0EEEJPdiEEEvT_T0_DpT1_: ; @_ZN2at6native12_GLOBAL__N_125multi_tensor_apply_kernelINS1_18TensorListMetadataILi1EEENS0_13LpNormFunctorIfLNS0_8NormTypeE3EdLi1ELi1ELi0EEEJPdiEEEvT_T0_DpT1_
; %bb.0:
	v_mov_b32_e32 v1, s2
	global_load_ubyte v1, v1, s[0:1] offset:1760
	s_add_u32 s3, s0, s2
	s_mul_hi_u32 s4, s2, 3
	s_mul_i32 s2, s2, 3
	s_addc_u32 s5, s1, 0
	s_add_u32 s2, s3, s2
	s_addc_u32 s3, s5, s4
	s_load_dword s18, s[2:3], 0x820
	s_mov_b32 s13, 0
	s_waitcnt lgkmcnt(0)
	s_ashr_i32 s19, s18, 31
	s_lshl_b64 s[8:9], s[18:19], 16
	s_waitcnt vmcnt(0)
	v_readfirstlane_b32 s2, v1
	s_and_b32 s30, s2, 0xff
	s_lshl_b32 s6, s30, 3
	s_load_dwordx2 s[2:3], s[0:1], s6 offset:0x370
	s_load_dwordx2 s[4:5], s[0:1], s6 offset:0x0
	s_lshl_b64 s[6:7], s[18:19], 18
	s_waitcnt lgkmcnt(0)
	s_add_u32 s10, s4, s6
	s_addc_u32 s11, s5, s7
	s_sub_u32 s8, s2, s8
	s_subb_u32 s9, s3, s9
	s_and_b32 s12, s2, 3
	s_and_b32 s2, s10, 15
	s_mov_b32 s3, s13
	s_or_b64 s[2:3], s[12:13], s[2:3]
	s_cmp_eq_u64 s[2:3], 0
	s_cbranch_scc1 .LBB55_12
; %bb.1:
	v_cmp_lt_i64_e64 s[2:3], s[8:9], 1
	s_and_b64 vcc, exec, s[2:3]
	s_cbranch_vccnz .LBB55_13
; %bb.2:
	v_mov_b64_e32 v[2:3], 0x10000
	v_cmp_lt_i64_e32 vcc, s[8:9], v[2:3]
	s_and_b64 s[2:3], vcc, exec
	s_load_dword s2, s[0:1], 0xd4c
	v_mov_b32_e32 v11, 0
	v_mov_b32_e32 v10, v11
	s_cselect_b32 s13, s9, 0
	s_cselect_b32 s12, s8, 0x10000
	s_waitcnt lgkmcnt(0)
	s_and_b32 s14, s2, 0xffff
	v_mov_b32_e32 v12, v11
	v_mov_b32_e32 v13, v11
	;; [unrolled: 1-line block ×6, first 2 shown]
	v_mov_b64_e32 v[2:3], v[10:11]
	s_mov_b32 s19, 0x10000
	s_lshl_b32 s20, s14, 2
	v_lshl_add_u32 v18, s14, 1, v0
	v_mad_u64_u32 v[20:21], s[2:3], s14, 3, v[0:1]
	v_add_u32_e32 v22, s14, v0
	s_mov_b64 s[14:15], 0
	v_mov_b64_e32 v[4:5], v[12:13]
	v_mov_b64_e32 v[6:7], v[14:15]
	;; [unrolled: 1-line block ×3, first 2 shown]
	s_branch .LBB55_4
.LBB55_3:                               ;   in Loop: Header=BB55_4 Depth=1
	s_or_b64 exec, exec, s[16:17]
	s_add_u32 s14, s14, s20
	s_addc_u32 s15, s15, 0
	v_mov_b64_e32 v[12:13], s[12:13]
	v_cmp_lt_i64_e32 vcc, s[14:15], v[12:13]
	s_cbranch_vccz .LBB55_14
.LBB55_4:                               ; =>This Inner Loop Header: Depth=1
	v_add_u32_e32 v10, s14, v0
	v_cmp_gt_i64_e32 vcc, s[8:9], v[10:11]
	v_cmp_gt_u32_e64 s[2:3], s19, v10
	s_and_b64 s[2:3], s[2:3], vcc
	s_and_saveexec_b64 s[16:17], s[2:3]
	s_cbranch_execz .LBB55_6
; %bb.5:                                ;   in Loop: Header=BB55_4 Depth=1
	v_lshl_add_u64 v[12:13], v[10:11], 2, s[10:11]
	global_load_dword v1, v[12:13], off
	s_waitcnt vmcnt(0)
	v_cvt_f64_f32_e64 v[12:13], |v1|
	v_cmp_u_f32_e32 vcc, v1, v1
	v_cmp_lt_f64_e64 s[2:3], v[2:3], v[12:13]
	s_or_b64 vcc, vcc, s[2:3]
	v_cndmask_b32_e32 v3, v3, v13, vcc
	v_cndmask_b32_e32 v2, v2, v12, vcc
.LBB55_6:                               ;   in Loop: Header=BB55_4 Depth=1
	s_or_b64 exec, exec, s[16:17]
	v_add_u32_e32 v10, s14, v22
	v_cmp_gt_i64_e32 vcc, s[8:9], v[10:11]
	v_cmp_gt_u32_e64 s[2:3], s19, v10
	s_and_b64 s[2:3], s[2:3], vcc
	s_and_saveexec_b64 s[16:17], s[2:3]
	s_cbranch_execz .LBB55_8
; %bb.7:                                ;   in Loop: Header=BB55_4 Depth=1
	v_lshl_add_u64 v[12:13], v[10:11], 2, s[10:11]
	global_load_dword v1, v[12:13], off
	s_waitcnt vmcnt(0)
	v_cvt_f64_f32_e64 v[12:13], |v1|
	v_cmp_u_f32_e32 vcc, v1, v1
	v_cmp_lt_f64_e64 s[2:3], v[4:5], v[12:13]
	s_or_b64 vcc, vcc, s[2:3]
	v_cndmask_b32_e32 v5, v5, v13, vcc
	v_cndmask_b32_e32 v4, v4, v12, vcc
.LBB55_8:                               ;   in Loop: Header=BB55_4 Depth=1
	s_or_b64 exec, exec, s[16:17]
	v_add_u32_e32 v10, s14, v18
	v_cmp_gt_i64_e32 vcc, s[8:9], v[10:11]
	v_cmp_gt_u32_e64 s[2:3], s19, v10
	s_and_b64 s[2:3], s[2:3], vcc
	s_and_saveexec_b64 s[16:17], s[2:3]
	s_cbranch_execz .LBB55_10
; %bb.9:                                ;   in Loop: Header=BB55_4 Depth=1
	v_lshl_add_u64 v[12:13], v[10:11], 2, s[10:11]
	global_load_dword v1, v[12:13], off
	s_waitcnt vmcnt(0)
	v_cvt_f64_f32_e64 v[12:13], |v1|
	v_cmp_u_f32_e32 vcc, v1, v1
	v_cmp_lt_f64_e64 s[2:3], v[6:7], v[12:13]
	s_or_b64 vcc, vcc, s[2:3]
	v_cndmask_b32_e32 v7, v7, v13, vcc
	v_cndmask_b32_e32 v6, v6, v12, vcc
.LBB55_10:                              ;   in Loop: Header=BB55_4 Depth=1
	s_or_b64 exec, exec, s[16:17]
	v_add_u32_e32 v10, s14, v20
	v_cmp_gt_i64_e32 vcc, s[8:9], v[10:11]
	v_cmp_gt_u32_e64 s[2:3], s19, v10
	s_and_b64 s[2:3], s[2:3], vcc
	s_and_saveexec_b64 s[16:17], s[2:3]
	s_cbranch_execz .LBB55_3
; %bb.11:                               ;   in Loop: Header=BB55_4 Depth=1
	v_lshl_add_u64 v[12:13], v[10:11], 2, s[10:11]
	global_load_dword v1, v[12:13], off
	s_waitcnt vmcnt(0)
	v_cvt_f64_f32_e64 v[12:13], |v1|
	v_cmp_u_f32_e32 vcc, v1, v1
	v_cmp_lt_f64_e64 s[2:3], v[8:9], v[12:13]
	s_or_b64 vcc, vcc, s[2:3]
	v_cndmask_b32_e32 v9, v9, v13, vcc
	v_cndmask_b32_e32 v8, v8, v12, vcc
	s_branch .LBB55_3
.LBB55_12:
                                        ; implicit-def: $vgpr2_vgpr3_vgpr4_vgpr5_vgpr6_vgpr7_vgpr8_vgpr9
	s_branch .LBB55_15
.LBB55_13:
	v_mov_b32_e32 v2, 0
	v_mov_b32_e32 v3, v2
	v_mov_b32_e32 v4, v2
	v_mov_b32_e32 v5, v2
	v_mov_b32_e32 v6, v2
	v_mov_b32_e32 v7, v2
	v_mov_b32_e32 v8, v2
	v_mov_b32_e32 v9, v2
.LBB55_14:
	s_cbranch_execnz .LBB55_20
.LBB55_15:
	v_mov_b64_e32 v[4:5], 0x10000
	v_cmp_lt_i64_e32 vcc, s[8:9], v[4:5]
	s_and_b64 s[2:3], vcc, exec
	v_mov_b32_e32 v3, 0
	s_cselect_b32 s23, s9, 0
	s_cselect_b32 s22, s8, 0x10000
	v_lshlrev_b32_e32 v2, 2, v0
	s_mov_b32 s21, 0
	v_cmp_gt_i64_e32 vcc, s[22:23], v[2:3]
	v_mov_b32_e32 v2, v3
	v_mov_b32_e32 v4, v3
	;; [unrolled: 1-line block ×7, first 2 shown]
	s_and_saveexec_b64 s[24:25], vcc
	s_cbranch_execz .LBB55_19
; %bb.16:
	s_load_dword s2, s[0:1], 0xd4c
	v_lshlrev_b32_e32 v2, 4, v0
	v_mov_b32_e32 v1, v3
	s_mov_b32 s27, s21
	s_mov_b64 s[28:29], 0
	s_waitcnt lgkmcnt(0)
	s_and_b32 s20, s2, 0xffff
	s_add_u32 s2, s4, s6
	s_addc_u32 s3, s5, s7
	v_lshl_add_u64 v[2:3], s[2:3], 0, v[2:3]
	s_lshl_b32 s26, s20, 4
	v_lshl_add_u64 v[10:11], v[2:3], 0, 8
	v_mov_b64_e32 v[2:3], 0
	v_mov_b64_e32 v[12:13], v[0:1]
	v_mov_b64_e32 v[4:5], 0
	v_mov_b64_e32 v[6:7], 0
	v_mov_b64_e32 v[8:9], 0
.LBB55_17:                              ; =>This Inner Loop Header: Depth=1
	global_load_dwordx4 v[14:17], v[10:11], off offset:-8
	v_lshl_add_u64 v[12:13], v[12:13], 0, s[20:21]
	v_lshlrev_b64 v[18:19], 2, v[12:13]
	v_cmp_le_i64_e32 vcc, s[22:23], v[18:19]
	v_lshl_add_u64 v[10:11], v[10:11], 0, s[26:27]
	s_waitcnt vmcnt(0)
	v_cvt_f64_f32_e64 v[18:19], |v14|
	v_cmp_u_f32_e64 s[2:3], v14, v14
	v_cvt_f64_f32_e64 v[20:21], |v15|
	v_cmp_u_f32_e64 s[4:5], v15, v15
	v_cvt_f64_f32_e64 v[14:15], |v16|
	v_cvt_f64_f32_e64 v[22:23], |v17|
	v_cmp_u_f32_e64 s[6:7], v16, v16
	v_cmp_u_f32_e64 s[8:9], v17, v17
	v_cmp_lt_f64_e64 s[10:11], v[2:3], v[18:19]
	v_cmp_lt_f64_e64 s[12:13], v[4:5], v[20:21]
	;; [unrolled: 1-line block ×4, first 2 shown]
	s_or_b64 s[2:3], s[2:3], s[10:11]
	s_or_b64 s[4:5], s[4:5], s[12:13]
	;; [unrolled: 1-line block ×4, first 2 shown]
	v_cndmask_b32_e64 v3, v3, v19, s[2:3]
	v_cndmask_b32_e64 v5, v5, v21, s[4:5]
	;; [unrolled: 1-line block ×7, first 2 shown]
	s_or_b64 s[28:29], vcc, s[28:29]
	v_cndmask_b32_e64 v8, v8, v22, s[8:9]
	s_andn2_b64 exec, exec, s[28:29]
	s_cbranch_execnz .LBB55_17
; %bb.18:
	s_or_b64 exec, exec, s[28:29]
.LBB55_19:
	s_or_b64 exec, exec, s[24:25]
.LBB55_20:
	v_cmp_nge_f64_e32 vcc, 0, v[2:3]
	v_mbcnt_lo_u32_b32 v1, -1, 0
	v_mbcnt_hi_u32_b32 v10, -1, v1
	v_cndmask_b32_e32 v3, 0, v3, vcc
	v_cndmask_b32_e32 v2, 0, v2, vcc
	v_cmp_u_f64_e32 vcc, v[4:5], v[4:5]
	v_cmp_lt_f64_e64 s[2:3], v[2:3], v[4:5]
	s_or_b64 vcc, vcc, s[2:3]
	v_cndmask_b32_e32 v3, v3, v5, vcc
	v_cndmask_b32_e32 v2, v2, v4, vcc
	v_cmp_u_f64_e32 vcc, v[6:7], v[6:7]
	v_cmp_lt_f64_e64 s[2:3], v[2:3], v[6:7]
	s_or_b64 vcc, vcc, s[2:3]
	v_cndmask_b32_e32 v3, v3, v7, vcc
	v_cndmask_b32_e32 v2, v2, v6, vcc
	v_cmp_u_f64_e32 vcc, v[8:9], v[8:9]
	v_cmp_lt_f64_e64 s[2:3], v[2:3], v[8:9]
	s_or_b64 vcc, vcc, s[2:3]
	v_mov_b32_e32 v1, 0x80
	v_cndmask_b32_e32 v3, v3, v9, vcc
	v_cndmask_b32_e32 v2, v2, v8, vcc
	v_lshl_or_b32 v1, v10, 2, v1
	ds_bpermute_b32 v4, v1, v2
	ds_bpermute_b32 v5, v1, v3
	v_and_b32_e32 v12, 63, v10
	v_and_b32_e32 v11, 63, v0
	s_waitcnt lgkmcnt(0)
	s_barrier
	v_cmp_u_f64_e32 vcc, v[4:5], v[4:5]
	v_cmp_lt_f64_e64 s[2:3], v[2:3], v[4:5]
	s_or_b64 vcc, vcc, s[2:3]
	v_cndmask_b32_e32 v3, v3, v5, vcc
	v_cndmask_b32_e32 v2, v2, v4, vcc
	v_cmp_gt_u32_e32 vcc, 48, v12
	s_nop 1
	v_cndmask_b32_e64 v4, 0, 16, vcc
	v_add_lshl_u32 v6, v4, v10, 2
	ds_bpermute_b32 v4, v6, v2
	ds_bpermute_b32 v5, v6, v3
	s_waitcnt lgkmcnt(0)
	v_cmp_u_f64_e32 vcc, v[4:5], v[4:5]
	v_cmp_lt_f64_e64 s[2:3], v[2:3], v[4:5]
	s_or_b64 vcc, vcc, s[2:3]
	v_cndmask_b32_e32 v3, v3, v5, vcc
	v_cndmask_b32_e32 v2, v2, v4, vcc
	v_cmp_gt_u32_e32 vcc, 56, v12
	s_nop 1
	v_cndmask_b32_e64 v4, 0, 8, vcc
	v_add_lshl_u32 v7, v4, v10, 2
	ds_bpermute_b32 v4, v7, v2
	ds_bpermute_b32 v5, v7, v3
	s_waitcnt lgkmcnt(0)
	;; [unrolled: 12-line block ×4, first 2 shown]
	v_cmp_u_f64_e32 vcc, v[4:5], v[4:5]
	v_cmp_lt_f64_e64 s[2:3], v[2:3], v[4:5]
	s_or_b64 vcc, vcc, s[2:3]
	v_cndmask_b32_e32 v3, v3, v5, vcc
	v_cndmask_b32_e32 v2, v2, v4, vcc
	v_cmp_ne_u32_e32 vcc, 63, v12
	s_nop 1
	v_addc_co_u32_e32 v4, vcc, 0, v10, vcc
	v_lshlrev_b32_e32 v10, 2, v4
	ds_bpermute_b32 v4, v10, v2
	ds_bpermute_b32 v5, v10, v3
	v_cmp_eq_u32_e32 vcc, 0, v11
	s_and_saveexec_b64 s[4:5], vcc
	s_cbranch_execz .LBB55_22
; %bb.21:
	s_waitcnt lgkmcnt(0)
	v_cmp_u_f64_e32 vcc, v[4:5], v[4:5]
	v_cmp_lt_f64_e64 s[2:3], v[2:3], v[4:5]
	s_or_b64 vcc, vcc, s[2:3]
	v_lshrrev_b32_e32 v12, 3, v0
	v_cndmask_b32_e32 v3, v3, v5, vcc
	v_cndmask_b32_e32 v2, v2, v4, vcc
	ds_write_b64 v12, v[2:3]
.LBB55_22:
	s_or_b64 exec, exec, s[4:5]
	s_waitcnt lgkmcnt(0)
	s_barrier
	s_load_dword s2, s[0:1], 0xd4c
	v_mov_b32_e32 v2, -1
	v_mov_b32_e32 v3, 0xffefffff
	s_waitcnt lgkmcnt(0)
	s_bfe_u32 s2, s2, 0xa0006
	v_cmp_gt_u32_e32 vcc, s2, v0
	s_and_saveexec_b64 s[2:3], vcc
	s_cbranch_execnz .LBB55_26
; %bb.23:
	s_or_b64 exec, exec, s[2:3]
	v_cmp_gt_u32_e32 vcc, 64, v0
	s_and_saveexec_b64 s[4:5], vcc
	s_cbranch_execnz .LBB55_27
.LBB55_24:
	s_or_b64 exec, exec, s[4:5]
	v_cmp_eq_u32_e32 vcc, 0, v0
	s_and_saveexec_b64 s[2:3], vcc
	s_cbranch_execnz .LBB55_28
.LBB55_25:
	s_endpgm
.LBB55_26:
	v_lshlrev_b32_e32 v2, 3, v11
	ds_read_b64 v[2:3], v2
	s_or_b64 exec, exec, s[2:3]
	v_cmp_gt_u32_e32 vcc, 64, v0
	s_and_saveexec_b64 s[4:5], vcc
	s_cbranch_execz .LBB55_24
.LBB55_27:
	s_waitcnt lgkmcnt(0)
	ds_bpermute_b32 v4, v1, v2
	ds_bpermute_b32 v5, v1, v3
	s_waitcnt lgkmcnt(0)
	v_cmp_u_f64_e32 vcc, v[4:5], v[4:5]
	v_cmp_lt_f64_e64 s[2:3], v[2:3], v[4:5]
	s_or_b64 vcc, vcc, s[2:3]
	v_cndmask_b32_e32 v3, v3, v5, vcc
	v_cndmask_b32_e32 v2, v2, v4, vcc
	ds_bpermute_b32 v5, v6, v3
	ds_bpermute_b32 v4, v6, v2
	s_waitcnt lgkmcnt(0)
	v_cmp_u_f64_e32 vcc, v[4:5], v[4:5]
	v_cmp_lt_f64_e64 s[2:3], v[2:3], v[4:5]
	s_or_b64 vcc, vcc, s[2:3]
	v_cndmask_b32_e32 v3, v3, v5, vcc
	v_cndmask_b32_e32 v2, v2, v4, vcc
	;; [unrolled: 8-line block ×6, first 2 shown]
	s_or_b64 exec, exec, s[4:5]
	v_cmp_eq_u32_e32 vcc, 0, v0
	s_and_saveexec_b64 s[2:3], vcc
	s_cbranch_execz .LBB55_25
.LBB55_28:
	s_load_dword s4, s[0:1], 0xd20
	s_load_dword s5, s[0:1], 0xd38
	s_load_dwordx2 s[2:3], s[0:1], 0xd30
	v_mov_b32_e32 v0, 0
	s_waitcnt lgkmcnt(0)
	s_add_i32 s0, s4, s30
	s_mul_i32 s0, s0, s5
	s_add_i32 s0, s0, s18
	s_ashr_i32 s1, s0, 31
	s_lshl_b64 s[0:1], s[0:1], 3
	s_add_u32 s0, s2, s0
	s_addc_u32 s1, s3, s1
	global_store_dwordx2 v0, v[2:3], s[0:1]
	s_endpgm
	.section	.rodata,"a",@progbits
	.p2align	6, 0x0
	.amdhsa_kernel _ZN2at6native12_GLOBAL__N_125multi_tensor_apply_kernelINS1_18TensorListMetadataILi1EEENS0_13LpNormFunctorIfLNS0_8NormTypeE3EdLi1ELi1ELi0EEEJPdiEEEvT_T0_DpT1_
		.amdhsa_group_segment_fixed_size 4096
		.amdhsa_private_segment_fixed_size 0
		.amdhsa_kernarg_size 3648
		.amdhsa_user_sgpr_count 2
		.amdhsa_user_sgpr_dispatch_ptr 0
		.amdhsa_user_sgpr_queue_ptr 0
		.amdhsa_user_sgpr_kernarg_segment_ptr 1
		.amdhsa_user_sgpr_dispatch_id 0
		.amdhsa_user_sgpr_kernarg_preload_length 0
		.amdhsa_user_sgpr_kernarg_preload_offset 0
		.amdhsa_user_sgpr_private_segment_size 0
		.amdhsa_uses_dynamic_stack 0
		.amdhsa_enable_private_segment 0
		.amdhsa_system_sgpr_workgroup_id_x 1
		.amdhsa_system_sgpr_workgroup_id_y 0
		.amdhsa_system_sgpr_workgroup_id_z 0
		.amdhsa_system_sgpr_workgroup_info 0
		.amdhsa_system_vgpr_workitem_id 0
		.amdhsa_next_free_vgpr 24
		.amdhsa_next_free_sgpr 31
		.amdhsa_accum_offset 24
		.amdhsa_reserve_vcc 1
		.amdhsa_float_round_mode_32 0
		.amdhsa_float_round_mode_16_64 0
		.amdhsa_float_denorm_mode_32 3
		.amdhsa_float_denorm_mode_16_64 3
		.amdhsa_dx10_clamp 1
		.amdhsa_ieee_mode 1
		.amdhsa_fp16_overflow 0
		.amdhsa_tg_split 0
		.amdhsa_exception_fp_ieee_invalid_op 0
		.amdhsa_exception_fp_denorm_src 0
		.amdhsa_exception_fp_ieee_div_zero 0
		.amdhsa_exception_fp_ieee_overflow 0
		.amdhsa_exception_fp_ieee_underflow 0
		.amdhsa_exception_fp_ieee_inexact 0
		.amdhsa_exception_int_div_zero 0
	.end_amdhsa_kernel
	.section	.text._ZN2at6native12_GLOBAL__N_125multi_tensor_apply_kernelINS1_18TensorListMetadataILi1EEENS0_13LpNormFunctorIfLNS0_8NormTypeE3EdLi1ELi1ELi0EEEJPdiEEEvT_T0_DpT1_,"axG",@progbits,_ZN2at6native12_GLOBAL__N_125multi_tensor_apply_kernelINS1_18TensorListMetadataILi1EEENS0_13LpNormFunctorIfLNS0_8NormTypeE3EdLi1ELi1ELi0EEEJPdiEEEvT_T0_DpT1_,comdat
.Lfunc_end55:
	.size	_ZN2at6native12_GLOBAL__N_125multi_tensor_apply_kernelINS1_18TensorListMetadataILi1EEENS0_13LpNormFunctorIfLNS0_8NormTypeE3EdLi1ELi1ELi0EEEJPdiEEEvT_T0_DpT1_, .Lfunc_end55-_ZN2at6native12_GLOBAL__N_125multi_tensor_apply_kernelINS1_18TensorListMetadataILi1EEENS0_13LpNormFunctorIfLNS0_8NormTypeE3EdLi1ELi1ELi0EEEJPdiEEEvT_T0_DpT1_
                                        ; -- End function
	.set _ZN2at6native12_GLOBAL__N_125multi_tensor_apply_kernelINS1_18TensorListMetadataILi1EEENS0_13LpNormFunctorIfLNS0_8NormTypeE3EdLi1ELi1ELi0EEEJPdiEEEvT_T0_DpT1_.num_vgpr, 24
	.set _ZN2at6native12_GLOBAL__N_125multi_tensor_apply_kernelINS1_18TensorListMetadataILi1EEENS0_13LpNormFunctorIfLNS0_8NormTypeE3EdLi1ELi1ELi0EEEJPdiEEEvT_T0_DpT1_.num_agpr, 0
	.set _ZN2at6native12_GLOBAL__N_125multi_tensor_apply_kernelINS1_18TensorListMetadataILi1EEENS0_13LpNormFunctorIfLNS0_8NormTypeE3EdLi1ELi1ELi0EEEJPdiEEEvT_T0_DpT1_.numbered_sgpr, 31
	.set _ZN2at6native12_GLOBAL__N_125multi_tensor_apply_kernelINS1_18TensorListMetadataILi1EEENS0_13LpNormFunctorIfLNS0_8NormTypeE3EdLi1ELi1ELi0EEEJPdiEEEvT_T0_DpT1_.num_named_barrier, 0
	.set _ZN2at6native12_GLOBAL__N_125multi_tensor_apply_kernelINS1_18TensorListMetadataILi1EEENS0_13LpNormFunctorIfLNS0_8NormTypeE3EdLi1ELi1ELi0EEEJPdiEEEvT_T0_DpT1_.private_seg_size, 0
	.set _ZN2at6native12_GLOBAL__N_125multi_tensor_apply_kernelINS1_18TensorListMetadataILi1EEENS0_13LpNormFunctorIfLNS0_8NormTypeE3EdLi1ELi1ELi0EEEJPdiEEEvT_T0_DpT1_.uses_vcc, 1
	.set _ZN2at6native12_GLOBAL__N_125multi_tensor_apply_kernelINS1_18TensorListMetadataILi1EEENS0_13LpNormFunctorIfLNS0_8NormTypeE3EdLi1ELi1ELi0EEEJPdiEEEvT_T0_DpT1_.uses_flat_scratch, 0
	.set _ZN2at6native12_GLOBAL__N_125multi_tensor_apply_kernelINS1_18TensorListMetadataILi1EEENS0_13LpNormFunctorIfLNS0_8NormTypeE3EdLi1ELi1ELi0EEEJPdiEEEvT_T0_DpT1_.has_dyn_sized_stack, 0
	.set _ZN2at6native12_GLOBAL__N_125multi_tensor_apply_kernelINS1_18TensorListMetadataILi1EEENS0_13LpNormFunctorIfLNS0_8NormTypeE3EdLi1ELi1ELi0EEEJPdiEEEvT_T0_DpT1_.has_recursion, 0
	.set _ZN2at6native12_GLOBAL__N_125multi_tensor_apply_kernelINS1_18TensorListMetadataILi1EEENS0_13LpNormFunctorIfLNS0_8NormTypeE3EdLi1ELi1ELi0EEEJPdiEEEvT_T0_DpT1_.has_indirect_call, 0
	.section	.AMDGPU.csdata,"",@progbits
; Kernel info:
; codeLenInByte = 2100
; TotalNumSgprs: 37
; NumVgprs: 24
; NumAgprs: 0
; TotalNumVgprs: 24
; ScratchSize: 0
; MemoryBound: 0
; FloatMode: 240
; IeeeMode: 1
; LDSByteSize: 4096 bytes/workgroup (compile time only)
; SGPRBlocks: 4
; VGPRBlocks: 2
; NumSGPRsForWavesPerEU: 37
; NumVGPRsForWavesPerEU: 24
; AccumOffset: 24
; Occupancy: 8
; WaveLimiterHint : 0
; COMPUTE_PGM_RSRC2:SCRATCH_EN: 0
; COMPUTE_PGM_RSRC2:USER_SGPR: 2
; COMPUTE_PGM_RSRC2:TRAP_HANDLER: 0
; COMPUTE_PGM_RSRC2:TGID_X_EN: 1
; COMPUTE_PGM_RSRC2:TGID_Y_EN: 0
; COMPUTE_PGM_RSRC2:TGID_Z_EN: 0
; COMPUTE_PGM_RSRC2:TIDIG_COMP_CNT: 0
; COMPUTE_PGM_RSRC3_GFX90A:ACCUM_OFFSET: 5
; COMPUTE_PGM_RSRC3_GFX90A:TG_SPLIT: 0
	.section	.text._ZN2at6native14lpnorm_cleanupIfLNS0_8NormTypeE0EdLb1EdEEvPKT3_NS0_19TensorListAddressesEi,"axG",@progbits,_ZN2at6native14lpnorm_cleanupIfLNS0_8NormTypeE0EdLb1EdEEvPKT3_NS0_19TensorListAddressesEi,comdat
	.protected	_ZN2at6native14lpnorm_cleanupIfLNS0_8NormTypeE0EdLb1EdEEvPKT3_NS0_19TensorListAddressesEi ; -- Begin function _ZN2at6native14lpnorm_cleanupIfLNS0_8NormTypeE0EdLb1EdEEvPKT3_NS0_19TensorListAddressesEi
	.globl	_ZN2at6native14lpnorm_cleanupIfLNS0_8NormTypeE0EdLb1EdEEvPKT3_NS0_19TensorListAddressesEi
	.p2align	8
	.type	_ZN2at6native14lpnorm_cleanupIfLNS0_8NormTypeE0EdLb1EdEEvPKT3_NS0_19TensorListAddressesEi,@function
_ZN2at6native14lpnorm_cleanupIfLNS0_8NormTypeE0EdLb1EdEEvPKT3_NS0_19TensorListAddressesEi: ; @_ZN2at6native14lpnorm_cleanupIfLNS0_8NormTypeE0EdLb1EdEEvPKT3_NS0_19TensorListAddressesEi
; %bb.0:
	s_load_dword s6, s[0:1], 0xc88
	v_mov_b64_e32 v[2:3], 0
	s_waitcnt lgkmcnt(0)
	v_cmp_gt_u32_e32 vcc, s6, v0
	s_and_saveexec_b64 s[4:5], vcc
	s_cbranch_execz .LBB56_4
; %bb.1:
	s_load_dwordx2 s[12:13], s[0:1], 0x0
	s_load_dword s3, s[0:1], 0xc9c
	s_mul_i32 s8, s6, s2
	s_mov_b32 s9, 0
	s_ashr_i32 s7, s6, 31
	s_lshl_b64 s[14:15], s[8:9], 3
	s_waitcnt lgkmcnt(0)
	s_and_b32 s10, s3, 0xffff
	v_mov_b32_e32 v1, 0
	s_add_u32 s12, s12, s14
	v_lshlrev_b32_e32 v2, 3, v0
	v_mov_b32_e32 v3, v1
	s_addc_u32 s13, s13, s15
	s_mov_b32 s11, s9
	v_lshl_add_u64 v[4:5], s[12:13], 0, v[2:3]
	s_lshl_b32 s8, s10, 3
	v_mov_b64_e32 v[2:3], 0
	s_mov_b64 s[12:13], 0
	v_mov_b64_e32 v[6:7], v[0:1]
.LBB56_2:                               ; =>This Inner Loop Header: Depth=1
	global_load_dwordx2 v[8:9], v[4:5], off
	v_lshl_add_u64 v[6:7], v[6:7], 0, s[10:11]
	v_cmp_le_u64_e32 vcc, s[6:7], v[6:7]
	v_lshl_add_u64 v[4:5], v[4:5], 0, s[8:9]
	s_or_b64 s[12:13], vcc, s[12:13]
	s_waitcnt vmcnt(0)
	v_add_f64 v[2:3], v[2:3], v[8:9]
	s_andn2_b64 exec, exec, s[12:13]
	s_cbranch_execnz .LBB56_2
; %bb.3:
	s_or_b64 exec, exec, s[12:13]
.LBB56_4:
	s_or_b64 exec, exec, s[4:5]
	v_mbcnt_lo_u32_b32 v1, -1, 0
	v_mbcnt_hi_u32_b32 v10, -1, v1
	v_mov_b32_e32 v1, 0x80
	v_lshl_or_b32 v1, v10, 2, v1
	ds_bpermute_b32 v4, v1, v2
	ds_bpermute_b32 v5, v1, v3
	v_and_b32_e32 v12, 63, v10
	v_cmp_gt_u32_e32 vcc, 48, v12
	v_and_b32_e32 v11, 63, v0
	s_waitcnt lgkmcnt(0)
	v_add_f64 v[2:3], v[2:3], v[4:5]
	v_cndmask_b32_e64 v4, 0, 16, vcc
	v_add_lshl_u32 v6, v4, v10, 2
	ds_bpermute_b32 v4, v6, v2
	ds_bpermute_b32 v5, v6, v3
	v_cmp_gt_u32_e32 vcc, 56, v12
	s_barrier
	s_waitcnt lgkmcnt(0)
	v_add_f64 v[2:3], v[2:3], v[4:5]
	v_cndmask_b32_e64 v4, 0, 8, vcc
	v_add_lshl_u32 v7, v4, v10, 2
	ds_bpermute_b32 v4, v7, v2
	ds_bpermute_b32 v5, v7, v3
	v_cmp_gt_u32_e32 vcc, 60, v12
	s_waitcnt lgkmcnt(0)
	v_add_f64 v[2:3], v[2:3], v[4:5]
	v_cndmask_b32_e64 v4, 0, 4, vcc
	v_add_lshl_u32 v8, v4, v10, 2
	ds_bpermute_b32 v4, v8, v2
	ds_bpermute_b32 v5, v8, v3
	v_cmp_gt_u32_e32 vcc, 62, v12
	s_waitcnt lgkmcnt(0)
	v_add_f64 v[2:3], v[2:3], v[4:5]
	v_cndmask_b32_e64 v4, 0, 2, vcc
	v_add_lshl_u32 v9, v4, v10, 2
	ds_bpermute_b32 v4, v9, v2
	ds_bpermute_b32 v5, v9, v3
	v_cmp_ne_u32_e32 vcc, 63, v12
	s_waitcnt lgkmcnt(0)
	v_add_f64 v[2:3], v[2:3], v[4:5]
	v_addc_co_u32_e32 v4, vcc, 0, v10, vcc
	v_lshlrev_b32_e32 v10, 2, v4
	ds_bpermute_b32 v4, v10, v2
	ds_bpermute_b32 v5, v10, v3
	v_cmp_eq_u32_e32 vcc, 0, v11
	s_and_saveexec_b64 s[4:5], vcc
	s_cbranch_execz .LBB56_6
; %bb.5:
	v_lshrrev_b32_e32 v12, 3, v0
	s_waitcnt lgkmcnt(0)
	v_add_f64 v[2:3], v[2:3], v[4:5]
	ds_write_b64 v12, v[2:3]
.LBB56_6:
	s_or_b64 exec, exec, s[4:5]
	s_waitcnt lgkmcnt(0)
	s_barrier
	s_load_dword s3, s[0:1], 0xc9c
	v_mov_b64_e32 v[2:3], 0
	s_waitcnt lgkmcnt(0)
	s_bfe_u32 s3, s3, 0xa0006
	v_cmp_gt_u32_e32 vcc, s3, v0
	s_and_saveexec_b64 s[4:5], vcc
; %bb.7:
	v_lshlrev_b32_e32 v2, 3, v11
	ds_read_b64 v[2:3], v2
; %bb.8:
	s_or_b64 exec, exec, s[4:5]
	v_cmp_gt_u32_e32 vcc, 64, v0
	s_and_saveexec_b64 s[4:5], vcc
	s_cbranch_execz .LBB56_10
; %bb.9:
	s_waitcnt lgkmcnt(0)
	ds_bpermute_b32 v4, v1, v2
	ds_bpermute_b32 v5, v1, v3
	s_waitcnt lgkmcnt(0)
	v_add_f64 v[2:3], v[2:3], v[4:5]
	ds_bpermute_b32 v4, v6, v2
	ds_bpermute_b32 v5, v6, v3
	s_waitcnt lgkmcnt(0)
	v_add_f64 v[2:3], v[2:3], v[4:5]
	;; [unrolled: 4-line block ×6, first 2 shown]
.LBB56_10:
	s_or_b64 exec, exec, s[4:5]
	s_mov_b32 s3, 0
	v_cmp_eq_u32_e32 vcc, 0, v0
	s_and_saveexec_b64 s[4:5], vcc
	s_cbranch_execz .LBB56_12
; %bb.11:
	s_lshl_b64 s[2:3], s[2:3], 3
	s_add_u32 s0, s0, s2
	s_addc_u32 s1, s1, s3
	s_load_dwordx2 s[0:1], s[0:1], 0x8
	v_mov_b32_e32 v0, 0
	s_waitcnt lgkmcnt(0)
	global_store_dwordx2 v0, v[2:3], s[0:1]
.LBB56_12:
	s_endpgm
	.section	.rodata,"a",@progbits
	.p2align	6, 0x0
	.amdhsa_kernel _ZN2at6native14lpnorm_cleanupIfLNS0_8NormTypeE0EdLb1EdEEvPKT3_NS0_19TensorListAddressesEi
		.amdhsa_group_segment_fixed_size 4096
		.amdhsa_private_segment_fixed_size 0
		.amdhsa_kernarg_size 3472
		.amdhsa_user_sgpr_count 2
		.amdhsa_user_sgpr_dispatch_ptr 0
		.amdhsa_user_sgpr_queue_ptr 0
		.amdhsa_user_sgpr_kernarg_segment_ptr 1
		.amdhsa_user_sgpr_dispatch_id 0
		.amdhsa_user_sgpr_kernarg_preload_length 0
		.amdhsa_user_sgpr_kernarg_preload_offset 0
		.amdhsa_user_sgpr_private_segment_size 0
		.amdhsa_uses_dynamic_stack 0
		.amdhsa_enable_private_segment 0
		.amdhsa_system_sgpr_workgroup_id_x 1
		.amdhsa_system_sgpr_workgroup_id_y 0
		.amdhsa_system_sgpr_workgroup_id_z 0
		.amdhsa_system_sgpr_workgroup_info 0
		.amdhsa_system_vgpr_workitem_id 0
		.amdhsa_next_free_vgpr 13
		.amdhsa_next_free_sgpr 16
		.amdhsa_accum_offset 16
		.amdhsa_reserve_vcc 1
		.amdhsa_float_round_mode_32 0
		.amdhsa_float_round_mode_16_64 0
		.amdhsa_float_denorm_mode_32 3
		.amdhsa_float_denorm_mode_16_64 3
		.amdhsa_dx10_clamp 1
		.amdhsa_ieee_mode 1
		.amdhsa_fp16_overflow 0
		.amdhsa_tg_split 0
		.amdhsa_exception_fp_ieee_invalid_op 0
		.amdhsa_exception_fp_denorm_src 0
		.amdhsa_exception_fp_ieee_div_zero 0
		.amdhsa_exception_fp_ieee_overflow 0
		.amdhsa_exception_fp_ieee_underflow 0
		.amdhsa_exception_fp_ieee_inexact 0
		.amdhsa_exception_int_div_zero 0
	.end_amdhsa_kernel
	.section	.text._ZN2at6native14lpnorm_cleanupIfLNS0_8NormTypeE0EdLb1EdEEvPKT3_NS0_19TensorListAddressesEi,"axG",@progbits,_ZN2at6native14lpnorm_cleanupIfLNS0_8NormTypeE0EdLb1EdEEvPKT3_NS0_19TensorListAddressesEi,comdat
.Lfunc_end56:
	.size	_ZN2at6native14lpnorm_cleanupIfLNS0_8NormTypeE0EdLb1EdEEvPKT3_NS0_19TensorListAddressesEi, .Lfunc_end56-_ZN2at6native14lpnorm_cleanupIfLNS0_8NormTypeE0EdLb1EdEEvPKT3_NS0_19TensorListAddressesEi
                                        ; -- End function
	.set _ZN2at6native14lpnorm_cleanupIfLNS0_8NormTypeE0EdLb1EdEEvPKT3_NS0_19TensorListAddressesEi.num_vgpr, 13
	.set _ZN2at6native14lpnorm_cleanupIfLNS0_8NormTypeE0EdLb1EdEEvPKT3_NS0_19TensorListAddressesEi.num_agpr, 0
	.set _ZN2at6native14lpnorm_cleanupIfLNS0_8NormTypeE0EdLb1EdEEvPKT3_NS0_19TensorListAddressesEi.numbered_sgpr, 16
	.set _ZN2at6native14lpnorm_cleanupIfLNS0_8NormTypeE0EdLb1EdEEvPKT3_NS0_19TensorListAddressesEi.num_named_barrier, 0
	.set _ZN2at6native14lpnorm_cleanupIfLNS0_8NormTypeE0EdLb1EdEEvPKT3_NS0_19TensorListAddressesEi.private_seg_size, 0
	.set _ZN2at6native14lpnorm_cleanupIfLNS0_8NormTypeE0EdLb1EdEEvPKT3_NS0_19TensorListAddressesEi.uses_vcc, 1
	.set _ZN2at6native14lpnorm_cleanupIfLNS0_8NormTypeE0EdLb1EdEEvPKT3_NS0_19TensorListAddressesEi.uses_flat_scratch, 0
	.set _ZN2at6native14lpnorm_cleanupIfLNS0_8NormTypeE0EdLb1EdEEvPKT3_NS0_19TensorListAddressesEi.has_dyn_sized_stack, 0
	.set _ZN2at6native14lpnorm_cleanupIfLNS0_8NormTypeE0EdLb1EdEEvPKT3_NS0_19TensorListAddressesEi.has_recursion, 0
	.set _ZN2at6native14lpnorm_cleanupIfLNS0_8NormTypeE0EdLb1EdEEvPKT3_NS0_19TensorListAddressesEi.has_indirect_call, 0
	.section	.AMDGPU.csdata,"",@progbits
; Kernel info:
; codeLenInByte = 812
; TotalNumSgprs: 22
; NumVgprs: 13
; NumAgprs: 0
; TotalNumVgprs: 13
; ScratchSize: 0
; MemoryBound: 0
; FloatMode: 240
; IeeeMode: 1
; LDSByteSize: 4096 bytes/workgroup (compile time only)
; SGPRBlocks: 2
; VGPRBlocks: 1
; NumSGPRsForWavesPerEU: 22
; NumVGPRsForWavesPerEU: 13
; AccumOffset: 16
; Occupancy: 8
; WaveLimiterHint : 0
; COMPUTE_PGM_RSRC2:SCRATCH_EN: 0
; COMPUTE_PGM_RSRC2:USER_SGPR: 2
; COMPUTE_PGM_RSRC2:TRAP_HANDLER: 0
; COMPUTE_PGM_RSRC2:TGID_X_EN: 1
; COMPUTE_PGM_RSRC2:TGID_Y_EN: 0
; COMPUTE_PGM_RSRC2:TGID_Z_EN: 0
; COMPUTE_PGM_RSRC2:TIDIG_COMP_CNT: 0
; COMPUTE_PGM_RSRC3_GFX90A:ACCUM_OFFSET: 3
; COMPUTE_PGM_RSRC3_GFX90A:TG_SPLIT: 0
	.section	.text._ZN2at6native14lpnorm_cleanupIfLNS0_8NormTypeE1EdLb1EdEEvPKT3_NS0_19TensorListAddressesEi,"axG",@progbits,_ZN2at6native14lpnorm_cleanupIfLNS0_8NormTypeE1EdLb1EdEEvPKT3_NS0_19TensorListAddressesEi,comdat
	.protected	_ZN2at6native14lpnorm_cleanupIfLNS0_8NormTypeE1EdLb1EdEEvPKT3_NS0_19TensorListAddressesEi ; -- Begin function _ZN2at6native14lpnorm_cleanupIfLNS0_8NormTypeE1EdLb1EdEEvPKT3_NS0_19TensorListAddressesEi
	.globl	_ZN2at6native14lpnorm_cleanupIfLNS0_8NormTypeE1EdLb1EdEEvPKT3_NS0_19TensorListAddressesEi
	.p2align	8
	.type	_ZN2at6native14lpnorm_cleanupIfLNS0_8NormTypeE1EdLb1EdEEvPKT3_NS0_19TensorListAddressesEi,@function
_ZN2at6native14lpnorm_cleanupIfLNS0_8NormTypeE1EdLb1EdEEvPKT3_NS0_19TensorListAddressesEi: ; @_ZN2at6native14lpnorm_cleanupIfLNS0_8NormTypeE1EdLb1EdEEvPKT3_NS0_19TensorListAddressesEi
; %bb.0:
	s_load_dword s6, s[0:1], 0xc88
	v_mov_b64_e32 v[2:3], 0
	s_waitcnt lgkmcnt(0)
	v_cmp_gt_u32_e32 vcc, s6, v0
	s_and_saveexec_b64 s[4:5], vcc
	s_cbranch_execz .LBB57_4
; %bb.1:
	s_load_dwordx2 s[12:13], s[0:1], 0x0
	s_load_dword s3, s[0:1], 0xc9c
	s_mul_i32 s8, s6, s2
	s_mov_b32 s9, 0
	s_ashr_i32 s7, s6, 31
	s_lshl_b64 s[14:15], s[8:9], 3
	s_waitcnt lgkmcnt(0)
	s_and_b32 s10, s3, 0xffff
	v_mov_b32_e32 v1, 0
	s_add_u32 s12, s12, s14
	v_lshlrev_b32_e32 v2, 3, v0
	v_mov_b32_e32 v3, v1
	s_addc_u32 s13, s13, s15
	s_mov_b32 s11, s9
	v_lshl_add_u64 v[4:5], s[12:13], 0, v[2:3]
	s_lshl_b32 s8, s10, 3
	v_mov_b64_e32 v[2:3], 0
	s_mov_b64 s[12:13], 0
	v_mov_b64_e32 v[6:7], v[0:1]
.LBB57_2:                               ; =>This Inner Loop Header: Depth=1
	global_load_dwordx2 v[8:9], v[4:5], off
	v_lshl_add_u64 v[6:7], v[6:7], 0, s[10:11]
	v_cmp_le_u64_e32 vcc, s[6:7], v[6:7]
	v_lshl_add_u64 v[4:5], v[4:5], 0, s[8:9]
	s_or_b64 s[12:13], vcc, s[12:13]
	s_waitcnt vmcnt(0)
	v_add_f64 v[2:3], v[2:3], v[8:9]
	s_andn2_b64 exec, exec, s[12:13]
	s_cbranch_execnz .LBB57_2
; %bb.3:
	s_or_b64 exec, exec, s[12:13]
.LBB57_4:
	s_or_b64 exec, exec, s[4:5]
	v_mbcnt_lo_u32_b32 v1, -1, 0
	v_mbcnt_hi_u32_b32 v10, -1, v1
	v_mov_b32_e32 v1, 0x80
	v_lshl_or_b32 v1, v10, 2, v1
	ds_bpermute_b32 v4, v1, v2
	ds_bpermute_b32 v5, v1, v3
	v_and_b32_e32 v12, 63, v10
	v_cmp_gt_u32_e32 vcc, 48, v12
	v_and_b32_e32 v11, 63, v0
	s_waitcnt lgkmcnt(0)
	v_add_f64 v[2:3], v[2:3], v[4:5]
	v_cndmask_b32_e64 v4, 0, 16, vcc
	v_add_lshl_u32 v6, v4, v10, 2
	ds_bpermute_b32 v4, v6, v2
	ds_bpermute_b32 v5, v6, v3
	v_cmp_gt_u32_e32 vcc, 56, v12
	s_barrier
	s_waitcnt lgkmcnt(0)
	v_add_f64 v[2:3], v[2:3], v[4:5]
	v_cndmask_b32_e64 v4, 0, 8, vcc
	v_add_lshl_u32 v7, v4, v10, 2
	ds_bpermute_b32 v4, v7, v2
	ds_bpermute_b32 v5, v7, v3
	v_cmp_gt_u32_e32 vcc, 60, v12
	s_waitcnt lgkmcnt(0)
	v_add_f64 v[2:3], v[2:3], v[4:5]
	v_cndmask_b32_e64 v4, 0, 4, vcc
	v_add_lshl_u32 v8, v4, v10, 2
	ds_bpermute_b32 v4, v8, v2
	ds_bpermute_b32 v5, v8, v3
	v_cmp_gt_u32_e32 vcc, 62, v12
	s_waitcnt lgkmcnt(0)
	v_add_f64 v[2:3], v[2:3], v[4:5]
	v_cndmask_b32_e64 v4, 0, 2, vcc
	v_add_lshl_u32 v9, v4, v10, 2
	ds_bpermute_b32 v4, v9, v2
	ds_bpermute_b32 v5, v9, v3
	v_cmp_ne_u32_e32 vcc, 63, v12
	s_waitcnt lgkmcnt(0)
	v_add_f64 v[2:3], v[2:3], v[4:5]
	v_addc_co_u32_e32 v4, vcc, 0, v10, vcc
	v_lshlrev_b32_e32 v10, 2, v4
	ds_bpermute_b32 v4, v10, v2
	ds_bpermute_b32 v5, v10, v3
	v_cmp_eq_u32_e32 vcc, 0, v11
	s_and_saveexec_b64 s[4:5], vcc
	s_cbranch_execz .LBB57_6
; %bb.5:
	v_lshrrev_b32_e32 v12, 3, v0
	s_waitcnt lgkmcnt(0)
	v_add_f64 v[2:3], v[2:3], v[4:5]
	ds_write_b64 v12, v[2:3]
.LBB57_6:
	s_or_b64 exec, exec, s[4:5]
	s_waitcnt lgkmcnt(0)
	s_barrier
	s_load_dword s3, s[0:1], 0xc9c
	v_mov_b64_e32 v[2:3], 0
	s_waitcnt lgkmcnt(0)
	s_bfe_u32 s3, s3, 0xa0006
	v_cmp_gt_u32_e32 vcc, s3, v0
	s_and_saveexec_b64 s[4:5], vcc
; %bb.7:
	v_lshlrev_b32_e32 v2, 3, v11
	ds_read_b64 v[2:3], v2
; %bb.8:
	s_or_b64 exec, exec, s[4:5]
	v_cmp_gt_u32_e32 vcc, 64, v0
	s_and_saveexec_b64 s[4:5], vcc
	s_cbranch_execz .LBB57_10
; %bb.9:
	s_waitcnt lgkmcnt(0)
	ds_bpermute_b32 v4, v1, v2
	ds_bpermute_b32 v5, v1, v3
	s_waitcnt lgkmcnt(0)
	v_add_f64 v[2:3], v[2:3], v[4:5]
	ds_bpermute_b32 v4, v6, v2
	ds_bpermute_b32 v5, v6, v3
	s_waitcnt lgkmcnt(0)
	v_add_f64 v[2:3], v[2:3], v[4:5]
	;; [unrolled: 4-line block ×6, first 2 shown]
.LBB57_10:
	s_or_b64 exec, exec, s[4:5]
	s_mov_b32 s3, 0
	v_cmp_eq_u32_e32 vcc, 0, v0
	s_and_saveexec_b64 s[4:5], vcc
	s_cbranch_execz .LBB57_12
; %bb.11:
	s_lshl_b64 s[2:3], s[2:3], 3
	s_add_u32 s0, s0, s2
	s_addc_u32 s1, s1, s3
	s_load_dwordx2 s[0:1], s[0:1], 0x8
	v_mov_b32_e32 v0, 0
	s_waitcnt lgkmcnt(0)
	global_store_dwordx2 v0, v[2:3], s[0:1]
.LBB57_12:
	s_endpgm
	.section	.rodata,"a",@progbits
	.p2align	6, 0x0
	.amdhsa_kernel _ZN2at6native14lpnorm_cleanupIfLNS0_8NormTypeE1EdLb1EdEEvPKT3_NS0_19TensorListAddressesEi
		.amdhsa_group_segment_fixed_size 4096
		.amdhsa_private_segment_fixed_size 0
		.amdhsa_kernarg_size 3472
		.amdhsa_user_sgpr_count 2
		.amdhsa_user_sgpr_dispatch_ptr 0
		.amdhsa_user_sgpr_queue_ptr 0
		.amdhsa_user_sgpr_kernarg_segment_ptr 1
		.amdhsa_user_sgpr_dispatch_id 0
		.amdhsa_user_sgpr_kernarg_preload_length 0
		.amdhsa_user_sgpr_kernarg_preload_offset 0
		.amdhsa_user_sgpr_private_segment_size 0
		.amdhsa_uses_dynamic_stack 0
		.amdhsa_enable_private_segment 0
		.amdhsa_system_sgpr_workgroup_id_x 1
		.amdhsa_system_sgpr_workgroup_id_y 0
		.amdhsa_system_sgpr_workgroup_id_z 0
		.amdhsa_system_sgpr_workgroup_info 0
		.amdhsa_system_vgpr_workitem_id 0
		.amdhsa_next_free_vgpr 13
		.amdhsa_next_free_sgpr 16
		.amdhsa_accum_offset 16
		.amdhsa_reserve_vcc 1
		.amdhsa_float_round_mode_32 0
		.amdhsa_float_round_mode_16_64 0
		.amdhsa_float_denorm_mode_32 3
		.amdhsa_float_denorm_mode_16_64 3
		.amdhsa_dx10_clamp 1
		.amdhsa_ieee_mode 1
		.amdhsa_fp16_overflow 0
		.amdhsa_tg_split 0
		.amdhsa_exception_fp_ieee_invalid_op 0
		.amdhsa_exception_fp_denorm_src 0
		.amdhsa_exception_fp_ieee_div_zero 0
		.amdhsa_exception_fp_ieee_overflow 0
		.amdhsa_exception_fp_ieee_underflow 0
		.amdhsa_exception_fp_ieee_inexact 0
		.amdhsa_exception_int_div_zero 0
	.end_amdhsa_kernel
	.section	.text._ZN2at6native14lpnorm_cleanupIfLNS0_8NormTypeE1EdLb1EdEEvPKT3_NS0_19TensorListAddressesEi,"axG",@progbits,_ZN2at6native14lpnorm_cleanupIfLNS0_8NormTypeE1EdLb1EdEEvPKT3_NS0_19TensorListAddressesEi,comdat
.Lfunc_end57:
	.size	_ZN2at6native14lpnorm_cleanupIfLNS0_8NormTypeE1EdLb1EdEEvPKT3_NS0_19TensorListAddressesEi, .Lfunc_end57-_ZN2at6native14lpnorm_cleanupIfLNS0_8NormTypeE1EdLb1EdEEvPKT3_NS0_19TensorListAddressesEi
                                        ; -- End function
	.set _ZN2at6native14lpnorm_cleanupIfLNS0_8NormTypeE1EdLb1EdEEvPKT3_NS0_19TensorListAddressesEi.num_vgpr, 13
	.set _ZN2at6native14lpnorm_cleanupIfLNS0_8NormTypeE1EdLb1EdEEvPKT3_NS0_19TensorListAddressesEi.num_agpr, 0
	.set _ZN2at6native14lpnorm_cleanupIfLNS0_8NormTypeE1EdLb1EdEEvPKT3_NS0_19TensorListAddressesEi.numbered_sgpr, 16
	.set _ZN2at6native14lpnorm_cleanupIfLNS0_8NormTypeE1EdLb1EdEEvPKT3_NS0_19TensorListAddressesEi.num_named_barrier, 0
	.set _ZN2at6native14lpnorm_cleanupIfLNS0_8NormTypeE1EdLb1EdEEvPKT3_NS0_19TensorListAddressesEi.private_seg_size, 0
	.set _ZN2at6native14lpnorm_cleanupIfLNS0_8NormTypeE1EdLb1EdEEvPKT3_NS0_19TensorListAddressesEi.uses_vcc, 1
	.set _ZN2at6native14lpnorm_cleanupIfLNS0_8NormTypeE1EdLb1EdEEvPKT3_NS0_19TensorListAddressesEi.uses_flat_scratch, 0
	.set _ZN2at6native14lpnorm_cleanupIfLNS0_8NormTypeE1EdLb1EdEEvPKT3_NS0_19TensorListAddressesEi.has_dyn_sized_stack, 0
	.set _ZN2at6native14lpnorm_cleanupIfLNS0_8NormTypeE1EdLb1EdEEvPKT3_NS0_19TensorListAddressesEi.has_recursion, 0
	.set _ZN2at6native14lpnorm_cleanupIfLNS0_8NormTypeE1EdLb1EdEEvPKT3_NS0_19TensorListAddressesEi.has_indirect_call, 0
	.section	.AMDGPU.csdata,"",@progbits
; Kernel info:
; codeLenInByte = 812
; TotalNumSgprs: 22
; NumVgprs: 13
; NumAgprs: 0
; TotalNumVgprs: 13
; ScratchSize: 0
; MemoryBound: 0
; FloatMode: 240
; IeeeMode: 1
; LDSByteSize: 4096 bytes/workgroup (compile time only)
; SGPRBlocks: 2
; VGPRBlocks: 1
; NumSGPRsForWavesPerEU: 22
; NumVGPRsForWavesPerEU: 13
; AccumOffset: 16
; Occupancy: 8
; WaveLimiterHint : 0
; COMPUTE_PGM_RSRC2:SCRATCH_EN: 0
; COMPUTE_PGM_RSRC2:USER_SGPR: 2
; COMPUTE_PGM_RSRC2:TRAP_HANDLER: 0
; COMPUTE_PGM_RSRC2:TGID_X_EN: 1
; COMPUTE_PGM_RSRC2:TGID_Y_EN: 0
; COMPUTE_PGM_RSRC2:TGID_Z_EN: 0
; COMPUTE_PGM_RSRC2:TIDIG_COMP_CNT: 0
; COMPUTE_PGM_RSRC3_GFX90A:ACCUM_OFFSET: 3
; COMPUTE_PGM_RSRC3_GFX90A:TG_SPLIT: 0
	.section	.text._ZN2at6native14lpnorm_cleanupIfLNS0_8NormTypeE2EdLb1EdEEvPKT3_NS0_19TensorListAddressesEi,"axG",@progbits,_ZN2at6native14lpnorm_cleanupIfLNS0_8NormTypeE2EdLb1EdEEvPKT3_NS0_19TensorListAddressesEi,comdat
	.protected	_ZN2at6native14lpnorm_cleanupIfLNS0_8NormTypeE2EdLb1EdEEvPKT3_NS0_19TensorListAddressesEi ; -- Begin function _ZN2at6native14lpnorm_cleanupIfLNS0_8NormTypeE2EdLb1EdEEvPKT3_NS0_19TensorListAddressesEi
	.globl	_ZN2at6native14lpnorm_cleanupIfLNS0_8NormTypeE2EdLb1EdEEvPKT3_NS0_19TensorListAddressesEi
	.p2align	8
	.type	_ZN2at6native14lpnorm_cleanupIfLNS0_8NormTypeE2EdLb1EdEEvPKT3_NS0_19TensorListAddressesEi,@function
_ZN2at6native14lpnorm_cleanupIfLNS0_8NormTypeE2EdLb1EdEEvPKT3_NS0_19TensorListAddressesEi: ; @_ZN2at6native14lpnorm_cleanupIfLNS0_8NormTypeE2EdLb1EdEEvPKT3_NS0_19TensorListAddressesEi
; %bb.0:
	s_load_dword s6, s[0:1], 0xc88
	v_mov_b64_e32 v[2:3], 0
	s_waitcnt lgkmcnt(0)
	v_cmp_gt_u32_e32 vcc, s6, v0
	s_and_saveexec_b64 s[4:5], vcc
	s_cbranch_execz .LBB58_4
; %bb.1:
	s_load_dwordx2 s[12:13], s[0:1], 0x0
	s_load_dword s3, s[0:1], 0xc9c
	s_mul_i32 s8, s6, s2
	s_mov_b32 s9, 0
	s_ashr_i32 s7, s6, 31
	s_lshl_b64 s[14:15], s[8:9], 3
	s_waitcnt lgkmcnt(0)
	s_and_b32 s10, s3, 0xffff
	v_mov_b32_e32 v1, 0
	s_add_u32 s12, s12, s14
	v_lshlrev_b32_e32 v2, 3, v0
	v_mov_b32_e32 v3, v1
	s_addc_u32 s13, s13, s15
	s_mov_b32 s11, s9
	v_lshl_add_u64 v[4:5], s[12:13], 0, v[2:3]
	s_lshl_b32 s8, s10, 3
	v_mov_b64_e32 v[2:3], 0
	s_mov_b64 s[12:13], 0
	v_mov_b64_e32 v[6:7], v[0:1]
.LBB58_2:                               ; =>This Inner Loop Header: Depth=1
	global_load_dwordx2 v[8:9], v[4:5], off
	v_lshl_add_u64 v[6:7], v[6:7], 0, s[10:11]
	v_cmp_le_u64_e32 vcc, s[6:7], v[6:7]
	v_lshl_add_u64 v[4:5], v[4:5], 0, s[8:9]
	s_or_b64 s[12:13], vcc, s[12:13]
	s_waitcnt vmcnt(0)
	v_add_f64 v[2:3], v[2:3], v[8:9]
	s_andn2_b64 exec, exec, s[12:13]
	s_cbranch_execnz .LBB58_2
; %bb.3:
	s_or_b64 exec, exec, s[12:13]
.LBB58_4:
	s_or_b64 exec, exec, s[4:5]
	v_mbcnt_lo_u32_b32 v1, -1, 0
	v_mbcnt_hi_u32_b32 v10, -1, v1
	v_mov_b32_e32 v1, 0x80
	v_lshl_or_b32 v1, v10, 2, v1
	ds_bpermute_b32 v4, v1, v2
	ds_bpermute_b32 v5, v1, v3
	v_and_b32_e32 v12, 63, v10
	v_cmp_gt_u32_e32 vcc, 48, v12
	v_and_b32_e32 v11, 63, v0
	s_waitcnt lgkmcnt(0)
	v_add_f64 v[2:3], v[2:3], v[4:5]
	v_cndmask_b32_e64 v4, 0, 16, vcc
	v_add_lshl_u32 v6, v4, v10, 2
	ds_bpermute_b32 v4, v6, v2
	ds_bpermute_b32 v5, v6, v3
	v_cmp_gt_u32_e32 vcc, 56, v12
	s_barrier
	s_waitcnt lgkmcnt(0)
	v_add_f64 v[2:3], v[2:3], v[4:5]
	v_cndmask_b32_e64 v4, 0, 8, vcc
	v_add_lshl_u32 v7, v4, v10, 2
	ds_bpermute_b32 v4, v7, v2
	ds_bpermute_b32 v5, v7, v3
	v_cmp_gt_u32_e32 vcc, 60, v12
	s_waitcnt lgkmcnt(0)
	v_add_f64 v[2:3], v[2:3], v[4:5]
	v_cndmask_b32_e64 v4, 0, 4, vcc
	v_add_lshl_u32 v8, v4, v10, 2
	ds_bpermute_b32 v4, v8, v2
	ds_bpermute_b32 v5, v8, v3
	v_cmp_gt_u32_e32 vcc, 62, v12
	s_waitcnt lgkmcnt(0)
	v_add_f64 v[2:3], v[2:3], v[4:5]
	v_cndmask_b32_e64 v4, 0, 2, vcc
	v_add_lshl_u32 v9, v4, v10, 2
	ds_bpermute_b32 v4, v9, v2
	ds_bpermute_b32 v5, v9, v3
	v_cmp_ne_u32_e32 vcc, 63, v12
	s_waitcnt lgkmcnt(0)
	v_add_f64 v[2:3], v[2:3], v[4:5]
	v_addc_co_u32_e32 v4, vcc, 0, v10, vcc
	v_lshlrev_b32_e32 v10, 2, v4
	ds_bpermute_b32 v4, v10, v2
	ds_bpermute_b32 v5, v10, v3
	v_cmp_eq_u32_e32 vcc, 0, v11
	s_and_saveexec_b64 s[4:5], vcc
	s_cbranch_execz .LBB58_6
; %bb.5:
	v_lshrrev_b32_e32 v12, 3, v0
	s_waitcnt lgkmcnt(0)
	v_add_f64 v[2:3], v[2:3], v[4:5]
	ds_write_b64 v12, v[2:3]
.LBB58_6:
	s_or_b64 exec, exec, s[4:5]
	s_waitcnt lgkmcnt(0)
	s_barrier
	s_load_dword s3, s[0:1], 0xc9c
	v_mov_b64_e32 v[2:3], 0
	s_waitcnt lgkmcnt(0)
	s_bfe_u32 s3, s3, 0xa0006
	v_cmp_gt_u32_e32 vcc, s3, v0
	s_and_saveexec_b64 s[4:5], vcc
; %bb.7:
	v_lshlrev_b32_e32 v2, 3, v11
	ds_read_b64 v[2:3], v2
; %bb.8:
	s_or_b64 exec, exec, s[4:5]
	v_cmp_gt_u32_e32 vcc, 64, v0
	s_and_saveexec_b64 s[4:5], vcc
	s_cbranch_execz .LBB58_10
; %bb.9:
	s_waitcnt lgkmcnt(0)
	ds_bpermute_b32 v4, v1, v2
	ds_bpermute_b32 v5, v1, v3
	s_waitcnt lgkmcnt(0)
	v_add_f64 v[2:3], v[2:3], v[4:5]
	ds_bpermute_b32 v4, v6, v2
	ds_bpermute_b32 v5, v6, v3
	s_waitcnt lgkmcnt(0)
	v_add_f64 v[2:3], v[2:3], v[4:5]
	;; [unrolled: 4-line block ×6, first 2 shown]
.LBB58_10:
	s_or_b64 exec, exec, s[4:5]
	s_mov_b32 s3, 0
	v_cmp_eq_u32_e32 vcc, 0, v0
	s_and_saveexec_b64 s[4:5], vcc
	s_cbranch_execz .LBB58_12
; %bb.11:
	s_mov_b32 s4, 0
	s_brev_b32 s5, 8
	v_mov_b32_e32 v0, 0x100
	s_waitcnt lgkmcnt(0)
	v_cmp_gt_f64_e32 vcc, s[4:5], v[2:3]
	s_lshl_b64 s[2:3], s[2:3], 3
	s_add_u32 s0, s0, s2
	v_cndmask_b32_e32 v0, 0, v0, vcc
	v_ldexp_f64 v[0:1], v[2:3], v0
	v_rsq_f64_e32 v[2:3], v[0:1]
	s_addc_u32 s1, s1, s3
	s_load_dwordx2 s[0:1], s[0:1], 0x8
	v_mul_f64 v[4:5], v[0:1], v[2:3]
	v_mul_f64 v[2:3], v[2:3], 0.5
	v_fma_f64 v[6:7], -v[2:3], v[4:5], 0.5
	v_fmac_f64_e32 v[4:5], v[4:5], v[6:7]
	v_fma_f64 v[8:9], -v[4:5], v[4:5], v[0:1]
	v_fmac_f64_e32 v[2:3], v[2:3], v[6:7]
	v_fmac_f64_e32 v[4:5], v[8:9], v[2:3]
	v_fma_f64 v[6:7], -v[4:5], v[4:5], v[0:1]
	v_fmac_f64_e32 v[4:5], v[6:7], v[2:3]
	v_mov_b32_e32 v2, 0xffffff80
	v_cndmask_b32_e32 v2, 0, v2, vcc
	v_ldexp_f64 v[2:3], v[4:5], v2
	v_mov_b32_e32 v4, 0x260
	v_cmp_class_f64_e32 vcc, v[0:1], v4
	s_nop 1
	v_cndmask_b32_e32 v1, v3, v1, vcc
	v_cndmask_b32_e32 v0, v2, v0, vcc
	v_mov_b32_e32 v2, 0
	s_waitcnt lgkmcnt(0)
	global_store_dwordx2 v2, v[0:1], s[0:1]
.LBB58_12:
	s_endpgm
	.section	.rodata,"a",@progbits
	.p2align	6, 0x0
	.amdhsa_kernel _ZN2at6native14lpnorm_cleanupIfLNS0_8NormTypeE2EdLb1EdEEvPKT3_NS0_19TensorListAddressesEi
		.amdhsa_group_segment_fixed_size 4096
		.amdhsa_private_segment_fixed_size 0
		.amdhsa_kernarg_size 3472
		.amdhsa_user_sgpr_count 2
		.amdhsa_user_sgpr_dispatch_ptr 0
		.amdhsa_user_sgpr_queue_ptr 0
		.amdhsa_user_sgpr_kernarg_segment_ptr 1
		.amdhsa_user_sgpr_dispatch_id 0
		.amdhsa_user_sgpr_kernarg_preload_length 0
		.amdhsa_user_sgpr_kernarg_preload_offset 0
		.amdhsa_user_sgpr_private_segment_size 0
		.amdhsa_uses_dynamic_stack 0
		.amdhsa_enable_private_segment 0
		.amdhsa_system_sgpr_workgroup_id_x 1
		.amdhsa_system_sgpr_workgroup_id_y 0
		.amdhsa_system_sgpr_workgroup_id_z 0
		.amdhsa_system_sgpr_workgroup_info 0
		.amdhsa_system_vgpr_workitem_id 0
		.amdhsa_next_free_vgpr 13
		.amdhsa_next_free_sgpr 16
		.amdhsa_accum_offset 16
		.amdhsa_reserve_vcc 1
		.amdhsa_float_round_mode_32 0
		.amdhsa_float_round_mode_16_64 0
		.amdhsa_float_denorm_mode_32 3
		.amdhsa_float_denorm_mode_16_64 3
		.amdhsa_dx10_clamp 1
		.amdhsa_ieee_mode 1
		.amdhsa_fp16_overflow 0
		.amdhsa_tg_split 0
		.amdhsa_exception_fp_ieee_invalid_op 0
		.amdhsa_exception_fp_denorm_src 0
		.amdhsa_exception_fp_ieee_div_zero 0
		.amdhsa_exception_fp_ieee_overflow 0
		.amdhsa_exception_fp_ieee_underflow 0
		.amdhsa_exception_fp_ieee_inexact 0
		.amdhsa_exception_int_div_zero 0
	.end_amdhsa_kernel
	.section	.text._ZN2at6native14lpnorm_cleanupIfLNS0_8NormTypeE2EdLb1EdEEvPKT3_NS0_19TensorListAddressesEi,"axG",@progbits,_ZN2at6native14lpnorm_cleanupIfLNS0_8NormTypeE2EdLb1EdEEvPKT3_NS0_19TensorListAddressesEi,comdat
.Lfunc_end58:
	.size	_ZN2at6native14lpnorm_cleanupIfLNS0_8NormTypeE2EdLb1EdEEvPKT3_NS0_19TensorListAddressesEi, .Lfunc_end58-_ZN2at6native14lpnorm_cleanupIfLNS0_8NormTypeE2EdLb1EdEEvPKT3_NS0_19TensorListAddressesEi
                                        ; -- End function
	.set _ZN2at6native14lpnorm_cleanupIfLNS0_8NormTypeE2EdLb1EdEEvPKT3_NS0_19TensorListAddressesEi.num_vgpr, 13
	.set _ZN2at6native14lpnorm_cleanupIfLNS0_8NormTypeE2EdLb1EdEEvPKT3_NS0_19TensorListAddressesEi.num_agpr, 0
	.set _ZN2at6native14lpnorm_cleanupIfLNS0_8NormTypeE2EdLb1EdEEvPKT3_NS0_19TensorListAddressesEi.numbered_sgpr, 16
	.set _ZN2at6native14lpnorm_cleanupIfLNS0_8NormTypeE2EdLb1EdEEvPKT3_NS0_19TensorListAddressesEi.num_named_barrier, 0
	.set _ZN2at6native14lpnorm_cleanupIfLNS0_8NormTypeE2EdLb1EdEEvPKT3_NS0_19TensorListAddressesEi.private_seg_size, 0
	.set _ZN2at6native14lpnorm_cleanupIfLNS0_8NormTypeE2EdLb1EdEEvPKT3_NS0_19TensorListAddressesEi.uses_vcc, 1
	.set _ZN2at6native14lpnorm_cleanupIfLNS0_8NormTypeE2EdLb1EdEEvPKT3_NS0_19TensorListAddressesEi.uses_flat_scratch, 0
	.set _ZN2at6native14lpnorm_cleanupIfLNS0_8NormTypeE2EdLb1EdEEvPKT3_NS0_19TensorListAddressesEi.has_dyn_sized_stack, 0
	.set _ZN2at6native14lpnorm_cleanupIfLNS0_8NormTypeE2EdLb1EdEEvPKT3_NS0_19TensorListAddressesEi.has_recursion, 0
	.set _ZN2at6native14lpnorm_cleanupIfLNS0_8NormTypeE2EdLb1EdEEvPKT3_NS0_19TensorListAddressesEi.has_indirect_call, 0
	.section	.AMDGPU.csdata,"",@progbits
; Kernel info:
; codeLenInByte = 952
; TotalNumSgprs: 22
; NumVgprs: 13
; NumAgprs: 0
; TotalNumVgprs: 13
; ScratchSize: 0
; MemoryBound: 0
; FloatMode: 240
; IeeeMode: 1
; LDSByteSize: 4096 bytes/workgroup (compile time only)
; SGPRBlocks: 2
; VGPRBlocks: 1
; NumSGPRsForWavesPerEU: 22
; NumVGPRsForWavesPerEU: 13
; AccumOffset: 16
; Occupancy: 8
; WaveLimiterHint : 0
; COMPUTE_PGM_RSRC2:SCRATCH_EN: 0
; COMPUTE_PGM_RSRC2:USER_SGPR: 2
; COMPUTE_PGM_RSRC2:TRAP_HANDLER: 0
; COMPUTE_PGM_RSRC2:TGID_X_EN: 1
; COMPUTE_PGM_RSRC2:TGID_Y_EN: 0
; COMPUTE_PGM_RSRC2:TGID_Z_EN: 0
; COMPUTE_PGM_RSRC2:TIDIG_COMP_CNT: 0
; COMPUTE_PGM_RSRC3_GFX90A:ACCUM_OFFSET: 3
; COMPUTE_PGM_RSRC3_GFX90A:TG_SPLIT: 0
	.section	.text._ZN2at6native14lpnorm_cleanupIfLNS0_8NormTypeE3EdLb1EdEEvPKT3_NS0_19TensorListAddressesEi,"axG",@progbits,_ZN2at6native14lpnorm_cleanupIfLNS0_8NormTypeE3EdLb1EdEEvPKT3_NS0_19TensorListAddressesEi,comdat
	.protected	_ZN2at6native14lpnorm_cleanupIfLNS0_8NormTypeE3EdLb1EdEEvPKT3_NS0_19TensorListAddressesEi ; -- Begin function _ZN2at6native14lpnorm_cleanupIfLNS0_8NormTypeE3EdLb1EdEEvPKT3_NS0_19TensorListAddressesEi
	.globl	_ZN2at6native14lpnorm_cleanupIfLNS0_8NormTypeE3EdLb1EdEEvPKT3_NS0_19TensorListAddressesEi
	.p2align	8
	.type	_ZN2at6native14lpnorm_cleanupIfLNS0_8NormTypeE3EdLb1EdEEvPKT3_NS0_19TensorListAddressesEi,@function
_ZN2at6native14lpnorm_cleanupIfLNS0_8NormTypeE3EdLb1EdEEvPKT3_NS0_19TensorListAddressesEi: ; @_ZN2at6native14lpnorm_cleanupIfLNS0_8NormTypeE3EdLb1EdEEvPKT3_NS0_19TensorListAddressesEi
; %bb.0:
	s_load_dword s10, s[0:1], 0xc88
	v_mov_b64_e32 v[2:3], 0
	s_waitcnt lgkmcnt(0)
	v_cmp_gt_u32_e32 vcc, s10, v0
	s_and_saveexec_b64 s[8:9], vcc
	s_cbranch_execz .LBB59_4
; %bb.1:
	s_load_dwordx2 s[4:5], s[0:1], 0x0
	s_load_dword s3, s[0:1], 0xc9c
	s_mul_i32 s12, s10, s2
	s_mov_b32 s13, 0
	s_ashr_i32 s11, s10, 31
	s_lshl_b64 s[6:7], s[12:13], 3
	s_waitcnt lgkmcnt(0)
	s_and_b32 s14, s3, 0xffff
	v_mov_b32_e32 v1, 0
	s_add_u32 s4, s4, s6
	v_lshlrev_b32_e32 v2, 3, v0
	v_mov_b32_e32 v3, v1
	s_addc_u32 s5, s5, s7
	s_mov_b32 s15, s13
	v_lshl_add_u64 v[4:5], s[4:5], 0, v[2:3]
	s_lshl_b32 s12, s14, 3
	v_mov_b64_e32 v[2:3], 0
	s_mov_b64 s[16:17], 0
	v_mov_b64_e32 v[6:7], v[0:1]
.LBB59_2:                               ; =>This Inner Loop Header: Depth=1
	global_load_dwordx2 v[8:9], v[4:5], off
	v_lshl_add_u64 v[6:7], v[6:7], 0, s[14:15]
	v_cmp_le_u64_e32 vcc, s[10:11], v[6:7]
	v_lshl_add_u64 v[4:5], v[4:5], 0, s[12:13]
	s_waitcnt vmcnt(0)
	v_cmp_u_f64_e64 s[4:5], v[8:9], v[8:9]
	v_cmp_lt_f64_e64 s[6:7], v[2:3], v[8:9]
	s_or_b64 s[4:5], s[4:5], s[6:7]
	v_cndmask_b32_e64 v3, v3, v9, s[4:5]
	s_or_b64 s[16:17], vcc, s[16:17]
	v_cndmask_b32_e64 v2, v2, v8, s[4:5]
	s_andn2_b64 exec, exec, s[16:17]
	s_cbranch_execnz .LBB59_2
; %bb.3:
	s_or_b64 exec, exec, s[16:17]
.LBB59_4:
	s_or_b64 exec, exec, s[8:9]
	v_mbcnt_lo_u32_b32 v1, -1, 0
	v_mbcnt_hi_u32_b32 v10, -1, v1
	v_mov_b32_e32 v1, 0x80
	v_lshl_or_b32 v1, v10, 2, v1
	ds_bpermute_b32 v4, v1, v2
	ds_bpermute_b32 v5, v1, v3
	v_and_b32_e32 v12, 63, v10
	v_and_b32_e32 v11, 63, v0
	s_waitcnt lgkmcnt(0)
	s_barrier
	v_cmp_u_f64_e32 vcc, v[4:5], v[4:5]
	v_cmp_lt_f64_e64 s[4:5], v[2:3], v[4:5]
	s_or_b64 vcc, vcc, s[4:5]
	v_cndmask_b32_e32 v3, v3, v5, vcc
	v_cndmask_b32_e32 v2, v2, v4, vcc
	v_cmp_gt_u32_e32 vcc, 48, v12
	s_nop 1
	v_cndmask_b32_e64 v4, 0, 16, vcc
	v_add_lshl_u32 v6, v4, v10, 2
	ds_bpermute_b32 v4, v6, v2
	ds_bpermute_b32 v5, v6, v3
	s_waitcnt lgkmcnt(0)
	v_cmp_u_f64_e32 vcc, v[4:5], v[4:5]
	v_cmp_lt_f64_e64 s[4:5], v[2:3], v[4:5]
	s_or_b64 vcc, vcc, s[4:5]
	v_cndmask_b32_e32 v3, v3, v5, vcc
	v_cndmask_b32_e32 v2, v2, v4, vcc
	v_cmp_gt_u32_e32 vcc, 56, v12
	s_nop 1
	v_cndmask_b32_e64 v4, 0, 8, vcc
	v_add_lshl_u32 v7, v4, v10, 2
	ds_bpermute_b32 v4, v7, v2
	ds_bpermute_b32 v5, v7, v3
	s_waitcnt lgkmcnt(0)
	v_cmp_u_f64_e32 vcc, v[4:5], v[4:5]
	v_cmp_lt_f64_e64 s[4:5], v[2:3], v[4:5]
	s_or_b64 vcc, vcc, s[4:5]
	v_cndmask_b32_e32 v3, v3, v5, vcc
	v_cndmask_b32_e32 v2, v2, v4, vcc
	v_cmp_gt_u32_e32 vcc, 60, v12
	s_nop 1
	v_cndmask_b32_e64 v4, 0, 4, vcc
	v_add_lshl_u32 v8, v4, v10, 2
	ds_bpermute_b32 v4, v8, v2
	ds_bpermute_b32 v5, v8, v3
	s_waitcnt lgkmcnt(0)
	v_cmp_u_f64_e32 vcc, v[4:5], v[4:5]
	v_cmp_lt_f64_e64 s[4:5], v[2:3], v[4:5]
	s_or_b64 vcc, vcc, s[4:5]
	v_cndmask_b32_e32 v3, v3, v5, vcc
	v_cndmask_b32_e32 v2, v2, v4, vcc
	v_cmp_gt_u32_e32 vcc, 62, v12
	s_nop 1
	v_cndmask_b32_e64 v4, 0, 2, vcc
	v_add_lshl_u32 v9, v4, v10, 2
	ds_bpermute_b32 v4, v9, v2
	ds_bpermute_b32 v5, v9, v3
	s_waitcnt lgkmcnt(0)
	v_cmp_u_f64_e32 vcc, v[4:5], v[4:5]
	v_cmp_lt_f64_e64 s[4:5], v[2:3], v[4:5]
	s_or_b64 vcc, vcc, s[4:5]
	v_cndmask_b32_e32 v3, v3, v5, vcc
	v_cndmask_b32_e32 v2, v2, v4, vcc
	v_cmp_ne_u32_e32 vcc, 63, v12
	s_nop 1
	v_addc_co_u32_e32 v4, vcc, 0, v10, vcc
	v_lshlrev_b32_e32 v10, 2, v4
	ds_bpermute_b32 v4, v10, v2
	ds_bpermute_b32 v5, v10, v3
	v_cmp_eq_u32_e32 vcc, 0, v11
	s_and_saveexec_b64 s[6:7], vcc
	s_cbranch_execz .LBB59_6
; %bb.5:
	s_waitcnt lgkmcnt(0)
	v_cmp_u_f64_e32 vcc, v[4:5], v[4:5]
	v_cmp_lt_f64_e64 s[4:5], v[2:3], v[4:5]
	s_or_b64 vcc, vcc, s[4:5]
	v_lshrrev_b32_e32 v12, 3, v0
	v_cndmask_b32_e32 v3, v3, v5, vcc
	v_cndmask_b32_e32 v2, v2, v4, vcc
	ds_write_b64 v12, v[2:3]
.LBB59_6:
	s_or_b64 exec, exec, s[6:7]
	s_waitcnt lgkmcnt(0)
	s_barrier
	s_load_dword s3, s[0:1], 0xc9c
	v_mov_b32_e32 v2, -1
	v_mov_b32_e32 v3, 0xffefffff
	s_waitcnt lgkmcnt(0)
	s_bfe_u32 s3, s3, 0xa0006
	v_cmp_gt_u32_e32 vcc, s3, v0
	s_and_saveexec_b64 s[4:5], vcc
; %bb.7:
	v_lshlrev_b32_e32 v2, 3, v11
	ds_read_b64 v[2:3], v2
; %bb.8:
	s_or_b64 exec, exec, s[4:5]
	v_cmp_gt_u32_e32 vcc, 64, v0
	s_and_saveexec_b64 s[6:7], vcc
	s_cbranch_execz .LBB59_10
; %bb.9:
	s_waitcnt lgkmcnt(0)
	ds_bpermute_b32 v4, v1, v2
	ds_bpermute_b32 v5, v1, v3
	s_waitcnt lgkmcnt(0)
	v_cmp_u_f64_e32 vcc, v[4:5], v[4:5]
	v_cmp_lt_f64_e64 s[4:5], v[2:3], v[4:5]
	s_or_b64 vcc, vcc, s[4:5]
	v_cndmask_b32_e32 v3, v3, v5, vcc
	v_cndmask_b32_e32 v2, v2, v4, vcc
	ds_bpermute_b32 v5, v6, v3
	ds_bpermute_b32 v4, v6, v2
	s_waitcnt lgkmcnt(0)
	v_cmp_u_f64_e32 vcc, v[4:5], v[4:5]
	v_cmp_lt_f64_e64 s[4:5], v[2:3], v[4:5]
	s_or_b64 vcc, vcc, s[4:5]
	v_cndmask_b32_e32 v3, v3, v5, vcc
	v_cndmask_b32_e32 v2, v2, v4, vcc
	;; [unrolled: 8-line block ×6, first 2 shown]
.LBB59_10:
	s_or_b64 exec, exec, s[6:7]
	s_mov_b32 s3, 0
	v_cmp_eq_u32_e32 vcc, 0, v0
	s_and_saveexec_b64 s[4:5], vcc
	s_cbranch_execz .LBB59_12
; %bb.11:
	s_lshl_b64 s[2:3], s[2:3], 3
	s_add_u32 s0, s0, s2
	s_addc_u32 s1, s1, s3
	s_load_dwordx2 s[0:1], s[0:1], 0x8
	v_mov_b32_e32 v0, 0
	s_waitcnt lgkmcnt(0)
	global_store_dwordx2 v0, v[2:3], s[0:1]
.LBB59_12:
	s_endpgm
	.section	.rodata,"a",@progbits
	.p2align	6, 0x0
	.amdhsa_kernel _ZN2at6native14lpnorm_cleanupIfLNS0_8NormTypeE3EdLb1EdEEvPKT3_NS0_19TensorListAddressesEi
		.amdhsa_group_segment_fixed_size 4096
		.amdhsa_private_segment_fixed_size 0
		.amdhsa_kernarg_size 3472
		.amdhsa_user_sgpr_count 2
		.amdhsa_user_sgpr_dispatch_ptr 0
		.amdhsa_user_sgpr_queue_ptr 0
		.amdhsa_user_sgpr_kernarg_segment_ptr 1
		.amdhsa_user_sgpr_dispatch_id 0
		.amdhsa_user_sgpr_kernarg_preload_length 0
		.amdhsa_user_sgpr_kernarg_preload_offset 0
		.amdhsa_user_sgpr_private_segment_size 0
		.amdhsa_uses_dynamic_stack 0
		.amdhsa_enable_private_segment 0
		.amdhsa_system_sgpr_workgroup_id_x 1
		.amdhsa_system_sgpr_workgroup_id_y 0
		.amdhsa_system_sgpr_workgroup_id_z 0
		.amdhsa_system_sgpr_workgroup_info 0
		.amdhsa_system_vgpr_workitem_id 0
		.amdhsa_next_free_vgpr 13
		.amdhsa_next_free_sgpr 18
		.amdhsa_accum_offset 16
		.amdhsa_reserve_vcc 1
		.amdhsa_float_round_mode_32 0
		.amdhsa_float_round_mode_16_64 0
		.amdhsa_float_denorm_mode_32 3
		.amdhsa_float_denorm_mode_16_64 3
		.amdhsa_dx10_clamp 1
		.amdhsa_ieee_mode 1
		.amdhsa_fp16_overflow 0
		.amdhsa_tg_split 0
		.amdhsa_exception_fp_ieee_invalid_op 0
		.amdhsa_exception_fp_denorm_src 0
		.amdhsa_exception_fp_ieee_div_zero 0
		.amdhsa_exception_fp_ieee_overflow 0
		.amdhsa_exception_fp_ieee_underflow 0
		.amdhsa_exception_fp_ieee_inexact 0
		.amdhsa_exception_int_div_zero 0
	.end_amdhsa_kernel
	.section	.text._ZN2at6native14lpnorm_cleanupIfLNS0_8NormTypeE3EdLb1EdEEvPKT3_NS0_19TensorListAddressesEi,"axG",@progbits,_ZN2at6native14lpnorm_cleanupIfLNS0_8NormTypeE3EdLb1EdEEvPKT3_NS0_19TensorListAddressesEi,comdat
.Lfunc_end59:
	.size	_ZN2at6native14lpnorm_cleanupIfLNS0_8NormTypeE3EdLb1EdEEvPKT3_NS0_19TensorListAddressesEi, .Lfunc_end59-_ZN2at6native14lpnorm_cleanupIfLNS0_8NormTypeE3EdLb1EdEEvPKT3_NS0_19TensorListAddressesEi
                                        ; -- End function
	.set _ZN2at6native14lpnorm_cleanupIfLNS0_8NormTypeE3EdLb1EdEEvPKT3_NS0_19TensorListAddressesEi.num_vgpr, 13
	.set _ZN2at6native14lpnorm_cleanupIfLNS0_8NormTypeE3EdLb1EdEEvPKT3_NS0_19TensorListAddressesEi.num_agpr, 0
	.set _ZN2at6native14lpnorm_cleanupIfLNS0_8NormTypeE3EdLb1EdEEvPKT3_NS0_19TensorListAddressesEi.numbered_sgpr, 18
	.set _ZN2at6native14lpnorm_cleanupIfLNS0_8NormTypeE3EdLb1EdEEvPKT3_NS0_19TensorListAddressesEi.num_named_barrier, 0
	.set _ZN2at6native14lpnorm_cleanupIfLNS0_8NormTypeE3EdLb1EdEEvPKT3_NS0_19TensorListAddressesEi.private_seg_size, 0
	.set _ZN2at6native14lpnorm_cleanupIfLNS0_8NormTypeE3EdLb1EdEEvPKT3_NS0_19TensorListAddressesEi.uses_vcc, 1
	.set _ZN2at6native14lpnorm_cleanupIfLNS0_8NormTypeE3EdLb1EdEEvPKT3_NS0_19TensorListAddressesEi.uses_flat_scratch, 0
	.set _ZN2at6native14lpnorm_cleanupIfLNS0_8NormTypeE3EdLb1EdEEvPKT3_NS0_19TensorListAddressesEi.has_dyn_sized_stack, 0
	.set _ZN2at6native14lpnorm_cleanupIfLNS0_8NormTypeE3EdLb1EdEEvPKT3_NS0_19TensorListAddressesEi.has_recursion, 0
	.set _ZN2at6native14lpnorm_cleanupIfLNS0_8NormTypeE3EdLb1EdEEvPKT3_NS0_19TensorListAddressesEi.has_indirect_call, 0
	.section	.AMDGPU.csdata,"",@progbits
; Kernel info:
; codeLenInByte = 1060
; TotalNumSgprs: 24
; NumVgprs: 13
; NumAgprs: 0
; TotalNumVgprs: 13
; ScratchSize: 0
; MemoryBound: 0
; FloatMode: 240
; IeeeMode: 1
; LDSByteSize: 4096 bytes/workgroup (compile time only)
; SGPRBlocks: 2
; VGPRBlocks: 1
; NumSGPRsForWavesPerEU: 24
; NumVGPRsForWavesPerEU: 13
; AccumOffset: 16
; Occupancy: 8
; WaveLimiterHint : 0
; COMPUTE_PGM_RSRC2:SCRATCH_EN: 0
; COMPUTE_PGM_RSRC2:USER_SGPR: 2
; COMPUTE_PGM_RSRC2:TRAP_HANDLER: 0
; COMPUTE_PGM_RSRC2:TGID_X_EN: 1
; COMPUTE_PGM_RSRC2:TGID_Y_EN: 0
; COMPUTE_PGM_RSRC2:TGID_Z_EN: 0
; COMPUTE_PGM_RSRC2:TIDIG_COMP_CNT: 0
; COMPUTE_PGM_RSRC3_GFX90A:ACCUM_OFFSET: 3
; COMPUTE_PGM_RSRC3_GFX90A:TG_SPLIT: 0
	.section	.text._ZN2at6native12_GLOBAL__N_125multi_tensor_apply_kernelINS1_18TensorListMetadataILi1EEENS0_13LpNormFunctorIfLNS0_8NormTypeE0EfLi1ELi1ELi0EEEJPfiEEEvT_T0_DpT1_,"axG",@progbits,_ZN2at6native12_GLOBAL__N_125multi_tensor_apply_kernelINS1_18TensorListMetadataILi1EEENS0_13LpNormFunctorIfLNS0_8NormTypeE0EfLi1ELi1ELi0EEEJPfiEEEvT_T0_DpT1_,comdat
	.globl	_ZN2at6native12_GLOBAL__N_125multi_tensor_apply_kernelINS1_18TensorListMetadataILi1EEENS0_13LpNormFunctorIfLNS0_8NormTypeE0EfLi1ELi1ELi0EEEJPfiEEEvT_T0_DpT1_ ; -- Begin function _ZN2at6native12_GLOBAL__N_125multi_tensor_apply_kernelINS1_18TensorListMetadataILi1EEENS0_13LpNormFunctorIfLNS0_8NormTypeE0EfLi1ELi1ELi0EEEJPfiEEEvT_T0_DpT1_
	.p2align	8
	.type	_ZN2at6native12_GLOBAL__N_125multi_tensor_apply_kernelINS1_18TensorListMetadataILi1EEENS0_13LpNormFunctorIfLNS0_8NormTypeE0EfLi1ELi1ELi0EEEJPfiEEEvT_T0_DpT1_,@function
_ZN2at6native12_GLOBAL__N_125multi_tensor_apply_kernelINS1_18TensorListMetadataILi1EEENS0_13LpNormFunctorIfLNS0_8NormTypeE0EfLi1ELi1ELi0EEEJPfiEEEvT_T0_DpT1_: ; @_ZN2at6native12_GLOBAL__N_125multi_tensor_apply_kernelINS1_18TensorListMetadataILi1EEENS0_13LpNormFunctorIfLNS0_8NormTypeE0EfLi1ELi1ELi0EEEJPfiEEEvT_T0_DpT1_
; %bb.0:
	v_mov_b32_e32 v1, s2
	global_load_ubyte v1, v1, s[0:1] offset:1760
	s_add_u32 s3, s0, s2
	s_mul_hi_u32 s4, s2, 3
	s_mul_i32 s2, s2, 3
	s_addc_u32 s5, s1, 0
	s_add_u32 s2, s3, s2
	s_addc_u32 s3, s5, s4
	s_load_dword s4, s[2:3], 0x820
	s_mov_b32 s15, 0
	s_waitcnt vmcnt(0)
	v_readfirstlane_b32 s2, v1
	s_and_b32 s16, s2, 0xff
	s_lshl_b32 s5, s16, 3
	s_load_dwordx2 s[2:3], s[0:1], s5 offset:0x370
	s_load_dwordx2 s[6:7], s[0:1], s5 offset:0x0
	s_waitcnt lgkmcnt(0)
	s_ashr_i32 s5, s4, 31
	s_lshl_b64 s[10:11], s[4:5], 16
	s_lshl_b64 s[8:9], s[4:5], 18
	s_add_u32 s12, s6, s8
	s_addc_u32 s13, s7, s9
	s_sub_u32 s10, s2, s10
	s_subb_u32 s11, s3, s11
	s_and_b32 s14, s2, 3
	s_and_b32 s2, s12, 15
	s_mov_b32 s3, s15
	s_or_b64 s[2:3], s[14:15], s[2:3]
	s_cmp_eq_u64 s[2:3], 0
	s_cbranch_scc1 .LBB60_12
; %bb.1:
	v_cmp_lt_i64_e64 s[2:3], s[10:11], 1
	s_and_b64 vcc, exec, s[2:3]
	s_cbranch_vccnz .LBB60_13
; %bb.2:
	s_load_dword s14, s[0:1], 0xd4c
	v_mov_b64_e32 v[2:3], 0x10000
	v_cmp_lt_i64_e32 vcc, s[10:11], v[2:3]
	s_and_b64 s[2:3], vcc, exec
	v_mov_b32_e32 v7, 0
	s_cselect_b32 s3, s11, 0
	s_cselect_b32 s2, s10, 0x10000
	s_waitcnt lgkmcnt(0)
	s_and_b32 s18, s14, 0xffff
	v_mov_b32_e32 v6, v7
	v_mad_u64_u32 v[12:13], s[14:15], s18, 3, v[0:1]
	v_mov_b32_e32 v8, v7
	v_mov_b32_e32 v9, v7
	v_mov_b64_e32 v[2:3], v[6:7]
	s_mov_b32 s5, 0x10000
	s_lshl_b32 s17, s18, 2
	v_lshl_add_u32 v10, s18, 1, v0
	v_add_u32_e32 v14, s18, v0
	s_mov_b64 s[14:15], 0
	v_mov_b64_e32 v[16:17], s[2:3]
	v_mov_b64_e32 v[4:5], v[8:9]
	s_branch .LBB60_4
.LBB60_3:                               ;   in Loop: Header=BB60_4 Depth=1
	s_or_b64 exec, exec, s[2:3]
	s_add_u32 s14, s14, s17
	s_addc_u32 s15, s15, 0
	v_cmp_lt_i64_e32 vcc, s[14:15], v[16:17]
	s_cbranch_vccz .LBB60_14
.LBB60_4:                               ; =>This Inner Loop Header: Depth=1
	v_add_u32_e32 v6, s14, v0
	v_cmp_gt_i64_e32 vcc, s[10:11], v[6:7]
	v_cmp_gt_u32_e64 s[2:3], s5, v6
	s_and_b64 s[18:19], s[2:3], vcc
	s_and_saveexec_b64 s[2:3], s[18:19]
	s_cbranch_execz .LBB60_6
; %bb.5:                                ;   in Loop: Header=BB60_4 Depth=1
	v_lshl_add_u64 v[8:9], v[6:7], 2, s[12:13]
	global_load_dword v1, v[8:9], off
	s_waitcnt vmcnt(0)
	v_cmp_neq_f32_e32 vcc, 0, v1
	s_nop 1
	v_cndmask_b32_e64 v1, 0, 1.0, vcc
	v_add_f32_e32 v2, v2, v1
.LBB60_6:                               ;   in Loop: Header=BB60_4 Depth=1
	s_or_b64 exec, exec, s[2:3]
	v_add_u32_e32 v6, s14, v14
	v_cmp_gt_i64_e32 vcc, s[10:11], v[6:7]
	v_cmp_gt_u32_e64 s[2:3], s5, v6
	s_and_b64 s[18:19], s[2:3], vcc
	s_and_saveexec_b64 s[2:3], s[18:19]
	s_cbranch_execz .LBB60_8
; %bb.7:                                ;   in Loop: Header=BB60_4 Depth=1
	v_lshl_add_u64 v[8:9], v[6:7], 2, s[12:13]
	global_load_dword v1, v[8:9], off
	s_waitcnt vmcnt(0)
	v_cmp_neq_f32_e32 vcc, 0, v1
	s_nop 1
	v_cndmask_b32_e64 v1, 0, 1.0, vcc
	v_add_f32_e32 v3, v3, v1
.LBB60_8:                               ;   in Loop: Header=BB60_4 Depth=1
	s_or_b64 exec, exec, s[2:3]
	v_add_u32_e32 v6, s14, v10
	v_cmp_gt_i64_e32 vcc, s[10:11], v[6:7]
	v_cmp_gt_u32_e64 s[2:3], s5, v6
	s_and_b64 s[18:19], s[2:3], vcc
	s_and_saveexec_b64 s[2:3], s[18:19]
	s_cbranch_execz .LBB60_10
; %bb.9:                                ;   in Loop: Header=BB60_4 Depth=1
	v_lshl_add_u64 v[8:9], v[6:7], 2, s[12:13]
	global_load_dword v1, v[8:9], off
	s_waitcnt vmcnt(0)
	v_cmp_neq_f32_e32 vcc, 0, v1
	s_nop 1
	v_cndmask_b32_e64 v1, 0, 1.0, vcc
	v_add_f32_e32 v4, v4, v1
.LBB60_10:                              ;   in Loop: Header=BB60_4 Depth=1
	s_or_b64 exec, exec, s[2:3]
	v_add_u32_e32 v6, s14, v12
	v_cmp_gt_i64_e32 vcc, s[10:11], v[6:7]
	v_cmp_gt_u32_e64 s[2:3], s5, v6
	s_and_b64 s[18:19], s[2:3], vcc
	s_and_saveexec_b64 s[2:3], s[18:19]
	s_cbranch_execz .LBB60_3
; %bb.11:                               ;   in Loop: Header=BB60_4 Depth=1
	v_lshl_add_u64 v[8:9], v[6:7], 2, s[12:13]
	global_load_dword v1, v[8:9], off
	s_waitcnt vmcnt(0)
	v_cmp_neq_f32_e32 vcc, 0, v1
	s_nop 1
	v_cndmask_b32_e64 v1, 0, 1.0, vcc
	v_add_f32_e32 v5, v5, v1
	s_branch .LBB60_3
.LBB60_12:
                                        ; implicit-def: $vgpr2_vgpr3_vgpr4_vgpr5
	s_branch .LBB60_15
.LBB60_13:
	v_mov_b32_e32 v2, 0
	v_mov_b32_e32 v3, v2
	;; [unrolled: 1-line block ×4, first 2 shown]
.LBB60_14:
	s_cbranch_execnz .LBB60_20
.LBB60_15:
	v_mov_b64_e32 v[4:5], 0x10000
	v_cmp_lt_i64_e32 vcc, s[10:11], v[4:5]
	v_mov_b32_e32 v2, 0
	s_and_b64 s[2:3], vcc, exec
	s_cselect_b32 s3, s11, 0
	s_cselect_b32 s2, s10, 0x10000
	v_lshlrev_b32_e32 v4, 2, v0
	v_mov_b32_e32 v5, v2
	v_cmp_gt_i64_e32 vcc, s[2:3], v[4:5]
	s_mov_b32 s13, 0
	v_mov_b32_e32 v3, v2
	v_mov_b32_e32 v4, v2
	s_and_saveexec_b64 s[10:11], vcc
	s_cbranch_execz .LBB60_19
; %bb.16:
	s_load_dword s5, s[0:1], 0xd4c
	v_lshlrev_b32_e32 v4, 4, v0
	v_mov_b32_e32 v5, v2
	v_mov_b32_e32 v1, v2
	v_mov_b64_e32 v[8:9], v[0:1]
	s_waitcnt lgkmcnt(0)
	s_and_b32 s12, s5, 0xffff
	s_add_u32 s8, s6, s8
	s_addc_u32 s9, s7, s9
	v_lshl_add_u64 v[4:5], s[8:9], 0, v[4:5]
	s_lshl_b32 s6, s12, 4
	v_lshl_add_u64 v[6:7], v[4:5], 0, 8
	s_mov_b32 s7, s13
	s_mov_b64 s[8:9], 0
	v_mov_b32_e32 v3, v2
	v_mov_b32_e32 v4, v2
	;; [unrolled: 1-line block ×3, first 2 shown]
.LBB60_17:                              ; =>This Inner Loop Header: Depth=1
	global_load_dwordx4 v[10:13], v[6:7], off offset:-8
	v_lshl_add_u64 v[8:9], v[8:9], 0, s[12:13]
	v_lshlrev_b64 v[14:15], 2, v[8:9]
	v_cmp_le_i64_e32 vcc, s[2:3], v[14:15]
	s_or_b64 s[8:9], vcc, s[8:9]
	v_lshl_add_u64 v[6:7], v[6:7], 0, s[6:7]
	s_waitcnt vmcnt(0)
	v_cmp_eq_f32_e32 vcc, 0, v11
	s_nop 1
	v_cndmask_b32_e64 v11, 1.0, 0, vcc
	v_cmp_eq_f32_e32 vcc, 0, v10
	s_nop 1
	v_cndmask_b32_e64 v10, 1.0, 0, vcc
	v_cmp_eq_f32_e32 vcc, 0, v13
	v_pk_add_f32 v[2:3], v[2:3], v[10:11]
	s_nop 0
	v_cndmask_b32_e64 v13, 1.0, 0, vcc
	v_cmp_eq_f32_e32 vcc, 0, v12
	s_nop 1
	v_cndmask_b32_e64 v12, 1.0, 0, vcc
	v_pk_add_f32 v[4:5], v[4:5], v[12:13]
	s_andn2_b64 exec, exec, s[8:9]
	s_cbranch_execnz .LBB60_17
; %bb.18:
	s_or_b64 exec, exec, s[8:9]
.LBB60_19:
	s_or_b64 exec, exec, s[10:11]
.LBB60_20:
	v_add_f32_e32 v1, 0, v2
	v_add_f32_e32 v1, v3, v1
	;; [unrolled: 1-line block ×4, first 2 shown]
	v_mbcnt_lo_u32_b32 v1, -1, 0
	v_mbcnt_hi_u32_b32 v6, -1, v1
	v_mov_b32_e32 v1, 0x80
	v_lshl_or_b32 v1, v6, 2, v1
	ds_bpermute_b32 v3, v1, v2
	v_and_b32_e32 v9, 63, v6
	v_cmp_gt_u32_e32 vcc, 48, v9
	s_waitcnt lgkmcnt(0)
	s_barrier
	v_add_f32_e32 v3, v2, v3
	v_cndmask_b32_e64 v2, 0, 16, vcc
	v_add_lshl_u32 v2, v2, v6, 2
	ds_bpermute_b32 v4, v2, v3
	v_cmp_gt_u32_e32 vcc, 56, v9
	s_waitcnt lgkmcnt(0)
	v_add_f32_e32 v4, v3, v4
	v_cndmask_b32_e64 v3, 0, 8, vcc
	v_add_lshl_u32 v3, v3, v6, 2
	ds_bpermute_b32 v5, v3, v4
	v_cmp_gt_u32_e32 vcc, 60, v9
	s_waitcnt lgkmcnt(0)
	;; [unrolled: 6-line block ×3, first 2 shown]
	v_add_f32_e32 v7, v5, v7
	v_cndmask_b32_e64 v8, 0, 2, vcc
	v_add_lshl_u32 v5, v8, v6, 2
	ds_bpermute_b32 v10, v5, v7
	v_cmp_ne_u32_e32 vcc, 63, v9
	v_and_b32_e32 v8, 63, v0
	s_waitcnt lgkmcnt(0)
	v_add_f32_e32 v7, v7, v10
	v_addc_co_u32_e32 v6, vcc, 0, v6, vcc
	v_lshlrev_b32_e32 v6, 2, v6
	ds_bpermute_b32 v9, v6, v7
	v_cmp_eq_u32_e32 vcc, 0, v8
	s_and_saveexec_b64 s[2:3], vcc
	s_cbranch_execz .LBB60_22
; %bb.21:
	v_lshrrev_b32_e32 v10, 4, v0
	s_waitcnt lgkmcnt(0)
	v_add_f32_e32 v7, v7, v9
	ds_write_b32 v10, v7
.LBB60_22:
	s_or_b64 exec, exec, s[2:3]
	s_waitcnt lgkmcnt(0)
	s_barrier
	s_load_dword s2, s[0:1], 0xd4c
	v_mov_b32_e32 v7, 0
	s_waitcnt lgkmcnt(0)
	s_bfe_u32 s2, s2, 0xa0006
	v_cmp_gt_u32_e32 vcc, s2, v0
	s_and_saveexec_b64 s[2:3], vcc
	s_cbranch_execnz .LBB60_26
; %bb.23:
	s_or_b64 exec, exec, s[2:3]
	v_cmp_gt_u32_e32 vcc, 64, v0
	s_and_saveexec_b64 s[2:3], vcc
	s_cbranch_execnz .LBB60_27
.LBB60_24:
	s_or_b64 exec, exec, s[2:3]
	v_cmp_eq_u32_e32 vcc, 0, v0
	s_and_saveexec_b64 s[2:3], vcc
	s_cbranch_execnz .LBB60_28
.LBB60_25:
	s_endpgm
.LBB60_26:
	v_lshlrev_b32_e32 v7, 2, v8
	ds_read_b32 v7, v7
	s_or_b64 exec, exec, s[2:3]
	v_cmp_gt_u32_e32 vcc, 64, v0
	s_and_saveexec_b64 s[2:3], vcc
	s_cbranch_execz .LBB60_24
.LBB60_27:
	s_waitcnt lgkmcnt(0)
	ds_bpermute_b32 v1, v1, v7
	s_waitcnt lgkmcnt(0)
	v_add_f32_e32 v1, v7, v1
	ds_bpermute_b32 v2, v2, v1
	s_waitcnt lgkmcnt(0)
	v_add_f32_e32 v1, v1, v2
	;; [unrolled: 3-line block ×6, first 2 shown]
	s_or_b64 exec, exec, s[2:3]
	v_cmp_eq_u32_e32 vcc, 0, v0
	s_and_saveexec_b64 s[2:3], vcc
	s_cbranch_execz .LBB60_25
.LBB60_28:
	s_load_dword s5, s[0:1], 0xd20
	s_load_dword s6, s[0:1], 0xd38
	s_load_dwordx2 s[2:3], s[0:1], 0xd30
	v_mov_b32_e32 v0, 0
	s_waitcnt lgkmcnt(0)
	s_add_i32 s0, s5, s16
	s_mul_i32 s0, s0, s6
	s_add_i32 s0, s0, s4
	s_ashr_i32 s1, s0, 31
	s_lshl_b64 s[0:1], s[0:1], 2
	s_add_u32 s0, s2, s0
	s_addc_u32 s1, s3, s1
	global_store_dword v0, v7, s[0:1]
	s_endpgm
	.section	.rodata,"a",@progbits
	.p2align	6, 0x0
	.amdhsa_kernel _ZN2at6native12_GLOBAL__N_125multi_tensor_apply_kernelINS1_18TensorListMetadataILi1EEENS0_13LpNormFunctorIfLNS0_8NormTypeE0EfLi1ELi1ELi0EEEJPfiEEEvT_T0_DpT1_
		.amdhsa_group_segment_fixed_size 2048
		.amdhsa_private_segment_fixed_size 0
		.amdhsa_kernarg_size 3648
		.amdhsa_user_sgpr_count 2
		.amdhsa_user_sgpr_dispatch_ptr 0
		.amdhsa_user_sgpr_queue_ptr 0
		.amdhsa_user_sgpr_kernarg_segment_ptr 1
		.amdhsa_user_sgpr_dispatch_id 0
		.amdhsa_user_sgpr_kernarg_preload_length 0
		.amdhsa_user_sgpr_kernarg_preload_offset 0
		.amdhsa_user_sgpr_private_segment_size 0
		.amdhsa_uses_dynamic_stack 0
		.amdhsa_enable_private_segment 0
		.amdhsa_system_sgpr_workgroup_id_x 1
		.amdhsa_system_sgpr_workgroup_id_y 0
		.amdhsa_system_sgpr_workgroup_id_z 0
		.amdhsa_system_sgpr_workgroup_info 0
		.amdhsa_system_vgpr_workitem_id 0
		.amdhsa_next_free_vgpr 18
		.amdhsa_next_free_sgpr 20
		.amdhsa_accum_offset 20
		.amdhsa_reserve_vcc 1
		.amdhsa_float_round_mode_32 0
		.amdhsa_float_round_mode_16_64 0
		.amdhsa_float_denorm_mode_32 3
		.amdhsa_float_denorm_mode_16_64 3
		.amdhsa_dx10_clamp 1
		.amdhsa_ieee_mode 1
		.amdhsa_fp16_overflow 0
		.amdhsa_tg_split 0
		.amdhsa_exception_fp_ieee_invalid_op 0
		.amdhsa_exception_fp_denorm_src 0
		.amdhsa_exception_fp_ieee_div_zero 0
		.amdhsa_exception_fp_ieee_overflow 0
		.amdhsa_exception_fp_ieee_underflow 0
		.amdhsa_exception_fp_ieee_inexact 0
		.amdhsa_exception_int_div_zero 0
	.end_amdhsa_kernel
	.section	.text._ZN2at6native12_GLOBAL__N_125multi_tensor_apply_kernelINS1_18TensorListMetadataILi1EEENS0_13LpNormFunctorIfLNS0_8NormTypeE0EfLi1ELi1ELi0EEEJPfiEEEvT_T0_DpT1_,"axG",@progbits,_ZN2at6native12_GLOBAL__N_125multi_tensor_apply_kernelINS1_18TensorListMetadataILi1EEENS0_13LpNormFunctorIfLNS0_8NormTypeE0EfLi1ELi1ELi0EEEJPfiEEEvT_T0_DpT1_,comdat
.Lfunc_end60:
	.size	_ZN2at6native12_GLOBAL__N_125multi_tensor_apply_kernelINS1_18TensorListMetadataILi1EEENS0_13LpNormFunctorIfLNS0_8NormTypeE0EfLi1ELi1ELi0EEEJPfiEEEvT_T0_DpT1_, .Lfunc_end60-_ZN2at6native12_GLOBAL__N_125multi_tensor_apply_kernelINS1_18TensorListMetadataILi1EEENS0_13LpNormFunctorIfLNS0_8NormTypeE0EfLi1ELi1ELi0EEEJPfiEEEvT_T0_DpT1_
                                        ; -- End function
	.set _ZN2at6native12_GLOBAL__N_125multi_tensor_apply_kernelINS1_18TensorListMetadataILi1EEENS0_13LpNormFunctorIfLNS0_8NormTypeE0EfLi1ELi1ELi0EEEJPfiEEEvT_T0_DpT1_.num_vgpr, 18
	.set _ZN2at6native12_GLOBAL__N_125multi_tensor_apply_kernelINS1_18TensorListMetadataILi1EEENS0_13LpNormFunctorIfLNS0_8NormTypeE0EfLi1ELi1ELi0EEEJPfiEEEvT_T0_DpT1_.num_agpr, 0
	.set _ZN2at6native12_GLOBAL__N_125multi_tensor_apply_kernelINS1_18TensorListMetadataILi1EEENS0_13LpNormFunctorIfLNS0_8NormTypeE0EfLi1ELi1ELi0EEEJPfiEEEvT_T0_DpT1_.numbered_sgpr, 20
	.set _ZN2at6native12_GLOBAL__N_125multi_tensor_apply_kernelINS1_18TensorListMetadataILi1EEENS0_13LpNormFunctorIfLNS0_8NormTypeE0EfLi1ELi1ELi0EEEJPfiEEEvT_T0_DpT1_.num_named_barrier, 0
	.set _ZN2at6native12_GLOBAL__N_125multi_tensor_apply_kernelINS1_18TensorListMetadataILi1EEENS0_13LpNormFunctorIfLNS0_8NormTypeE0EfLi1ELi1ELi0EEEJPfiEEEvT_T0_DpT1_.private_seg_size, 0
	.set _ZN2at6native12_GLOBAL__N_125multi_tensor_apply_kernelINS1_18TensorListMetadataILi1EEENS0_13LpNormFunctorIfLNS0_8NormTypeE0EfLi1ELi1ELi0EEEJPfiEEEvT_T0_DpT1_.uses_vcc, 1
	.set _ZN2at6native12_GLOBAL__N_125multi_tensor_apply_kernelINS1_18TensorListMetadataILi1EEENS0_13LpNormFunctorIfLNS0_8NormTypeE0EfLi1ELi1ELi0EEEJPfiEEEvT_T0_DpT1_.uses_flat_scratch, 0
	.set _ZN2at6native12_GLOBAL__N_125multi_tensor_apply_kernelINS1_18TensorListMetadataILi1EEENS0_13LpNormFunctorIfLNS0_8NormTypeE0EfLi1ELi1ELi0EEEJPfiEEEvT_T0_DpT1_.has_dyn_sized_stack, 0
	.set _ZN2at6native12_GLOBAL__N_125multi_tensor_apply_kernelINS1_18TensorListMetadataILi1EEENS0_13LpNormFunctorIfLNS0_8NormTypeE0EfLi1ELi1ELi0EEEJPfiEEEvT_T0_DpT1_.has_recursion, 0
	.set _ZN2at6native12_GLOBAL__N_125multi_tensor_apply_kernelINS1_18TensorListMetadataILi1EEENS0_13LpNormFunctorIfLNS0_8NormTypeE0EfLi1ELi1ELi0EEEJPfiEEEvT_T0_DpT1_.has_indirect_call, 0
	.section	.AMDGPU.csdata,"",@progbits
; Kernel info:
; codeLenInByte = 1464
; TotalNumSgprs: 26
; NumVgprs: 18
; NumAgprs: 0
; TotalNumVgprs: 18
; ScratchSize: 0
; MemoryBound: 0
; FloatMode: 240
; IeeeMode: 1
; LDSByteSize: 2048 bytes/workgroup (compile time only)
; SGPRBlocks: 3
; VGPRBlocks: 2
; NumSGPRsForWavesPerEU: 26
; NumVGPRsForWavesPerEU: 18
; AccumOffset: 20
; Occupancy: 8
; WaveLimiterHint : 0
; COMPUTE_PGM_RSRC2:SCRATCH_EN: 0
; COMPUTE_PGM_RSRC2:USER_SGPR: 2
; COMPUTE_PGM_RSRC2:TRAP_HANDLER: 0
; COMPUTE_PGM_RSRC2:TGID_X_EN: 1
; COMPUTE_PGM_RSRC2:TGID_Y_EN: 0
; COMPUTE_PGM_RSRC2:TGID_Z_EN: 0
; COMPUTE_PGM_RSRC2:TIDIG_COMP_CNT: 0
; COMPUTE_PGM_RSRC3_GFX90A:ACCUM_OFFSET: 4
; COMPUTE_PGM_RSRC3_GFX90A:TG_SPLIT: 0
	.section	.text._ZN2at6native12_GLOBAL__N_125multi_tensor_apply_kernelINS1_18TensorListMetadataILi1EEENS0_13LpNormFunctorIfLNS0_8NormTypeE1EfLi1ELi1ELi0EEEJPfiEEEvT_T0_DpT1_,"axG",@progbits,_ZN2at6native12_GLOBAL__N_125multi_tensor_apply_kernelINS1_18TensorListMetadataILi1EEENS0_13LpNormFunctorIfLNS0_8NormTypeE1EfLi1ELi1ELi0EEEJPfiEEEvT_T0_DpT1_,comdat
	.globl	_ZN2at6native12_GLOBAL__N_125multi_tensor_apply_kernelINS1_18TensorListMetadataILi1EEENS0_13LpNormFunctorIfLNS0_8NormTypeE1EfLi1ELi1ELi0EEEJPfiEEEvT_T0_DpT1_ ; -- Begin function _ZN2at6native12_GLOBAL__N_125multi_tensor_apply_kernelINS1_18TensorListMetadataILi1EEENS0_13LpNormFunctorIfLNS0_8NormTypeE1EfLi1ELi1ELi0EEEJPfiEEEvT_T0_DpT1_
	.p2align	8
	.type	_ZN2at6native12_GLOBAL__N_125multi_tensor_apply_kernelINS1_18TensorListMetadataILi1EEENS0_13LpNormFunctorIfLNS0_8NormTypeE1EfLi1ELi1ELi0EEEJPfiEEEvT_T0_DpT1_,@function
_ZN2at6native12_GLOBAL__N_125multi_tensor_apply_kernelINS1_18TensorListMetadataILi1EEENS0_13LpNormFunctorIfLNS0_8NormTypeE1EfLi1ELi1ELi0EEEJPfiEEEvT_T0_DpT1_: ; @_ZN2at6native12_GLOBAL__N_125multi_tensor_apply_kernelINS1_18TensorListMetadataILi1EEENS0_13LpNormFunctorIfLNS0_8NormTypeE1EfLi1ELi1ELi0EEEJPfiEEEvT_T0_DpT1_
; %bb.0:
	v_mov_b32_e32 v1, s2
	global_load_ubyte v1, v1, s[0:1] offset:1760
	s_add_u32 s3, s0, s2
	s_mul_hi_u32 s4, s2, 3
	s_mul_i32 s2, s2, 3
	s_addc_u32 s5, s1, 0
	s_add_u32 s2, s3, s2
	s_addc_u32 s3, s5, s4
	s_load_dword s4, s[2:3], 0x820
	s_mov_b32 s15, 0
	s_waitcnt vmcnt(0)
	v_readfirstlane_b32 s2, v1
	s_and_b32 s16, s2, 0xff
	s_lshl_b32 s5, s16, 3
	s_load_dwordx2 s[2:3], s[0:1], s5 offset:0x370
	s_load_dwordx2 s[6:7], s[0:1], s5 offset:0x0
	s_waitcnt lgkmcnt(0)
	s_ashr_i32 s5, s4, 31
	s_lshl_b64 s[10:11], s[4:5], 16
	s_lshl_b64 s[8:9], s[4:5], 18
	s_add_u32 s12, s6, s8
	s_addc_u32 s13, s7, s9
	s_sub_u32 s10, s2, s10
	s_subb_u32 s11, s3, s11
	s_and_b32 s14, s2, 3
	s_and_b32 s2, s12, 15
	s_mov_b32 s3, s15
	s_or_b64 s[2:3], s[14:15], s[2:3]
	s_cmp_eq_u64 s[2:3], 0
	s_cbranch_scc1 .LBB61_12
; %bb.1:
	v_cmp_lt_i64_e64 s[2:3], s[10:11], 1
	s_and_b64 vcc, exec, s[2:3]
	s_cbranch_vccnz .LBB61_13
; %bb.2:
	s_load_dword s14, s[0:1], 0xd4c
	v_mov_b64_e32 v[2:3], 0x10000
	v_cmp_lt_i64_e32 vcc, s[10:11], v[2:3]
	s_and_b64 s[2:3], vcc, exec
	v_mov_b32_e32 v7, 0
	s_cselect_b32 s3, s11, 0
	s_cselect_b32 s2, s10, 0x10000
	s_waitcnt lgkmcnt(0)
	s_and_b32 s18, s14, 0xffff
	v_mov_b32_e32 v6, v7
	v_mad_u64_u32 v[12:13], s[14:15], s18, 3, v[0:1]
	v_mov_b32_e32 v8, v7
	v_mov_b32_e32 v9, v7
	v_mov_b64_e32 v[2:3], v[6:7]
	s_mov_b32 s5, 0x10000
	s_lshl_b32 s17, s18, 2
	v_lshl_add_u32 v10, s18, 1, v0
	v_add_u32_e32 v14, s18, v0
	s_mov_b64 s[14:15], 0
	v_mov_b64_e32 v[16:17], s[2:3]
	v_mov_b64_e32 v[4:5], v[8:9]
	s_branch .LBB61_4
.LBB61_3:                               ;   in Loop: Header=BB61_4 Depth=1
	s_or_b64 exec, exec, s[2:3]
	s_add_u32 s14, s14, s17
	s_addc_u32 s15, s15, 0
	v_cmp_lt_i64_e32 vcc, s[14:15], v[16:17]
	s_cbranch_vccz .LBB61_14
.LBB61_4:                               ; =>This Inner Loop Header: Depth=1
	v_add_u32_e32 v6, s14, v0
	v_cmp_gt_i64_e32 vcc, s[10:11], v[6:7]
	v_cmp_gt_u32_e64 s[2:3], s5, v6
	s_and_b64 s[18:19], s[2:3], vcc
	s_and_saveexec_b64 s[2:3], s[18:19]
	s_cbranch_execz .LBB61_6
; %bb.5:                                ;   in Loop: Header=BB61_4 Depth=1
	v_lshl_add_u64 v[8:9], v[6:7], 2, s[12:13]
	global_load_dword v1, v[8:9], off
	s_waitcnt vmcnt(0)
	v_add_f32_e64 v2, v2, |v1|
.LBB61_6:                               ;   in Loop: Header=BB61_4 Depth=1
	s_or_b64 exec, exec, s[2:3]
	v_add_u32_e32 v6, s14, v14
	v_cmp_gt_i64_e32 vcc, s[10:11], v[6:7]
	v_cmp_gt_u32_e64 s[2:3], s5, v6
	s_and_b64 s[18:19], s[2:3], vcc
	s_and_saveexec_b64 s[2:3], s[18:19]
	s_cbranch_execz .LBB61_8
; %bb.7:                                ;   in Loop: Header=BB61_4 Depth=1
	v_lshl_add_u64 v[8:9], v[6:7], 2, s[12:13]
	global_load_dword v1, v[8:9], off
	s_waitcnt vmcnt(0)
	v_add_f32_e64 v3, v3, |v1|
.LBB61_8:                               ;   in Loop: Header=BB61_4 Depth=1
	s_or_b64 exec, exec, s[2:3]
	v_add_u32_e32 v6, s14, v10
	v_cmp_gt_i64_e32 vcc, s[10:11], v[6:7]
	v_cmp_gt_u32_e64 s[2:3], s5, v6
	s_and_b64 s[18:19], s[2:3], vcc
	s_and_saveexec_b64 s[2:3], s[18:19]
	s_cbranch_execz .LBB61_10
; %bb.9:                                ;   in Loop: Header=BB61_4 Depth=1
	v_lshl_add_u64 v[8:9], v[6:7], 2, s[12:13]
	global_load_dword v1, v[8:9], off
	s_waitcnt vmcnt(0)
	v_add_f32_e64 v4, v4, |v1|
.LBB61_10:                              ;   in Loop: Header=BB61_4 Depth=1
	s_or_b64 exec, exec, s[2:3]
	v_add_u32_e32 v6, s14, v12
	v_cmp_gt_i64_e32 vcc, s[10:11], v[6:7]
	v_cmp_gt_u32_e64 s[2:3], s5, v6
	s_and_b64 s[18:19], s[2:3], vcc
	s_and_saveexec_b64 s[2:3], s[18:19]
	s_cbranch_execz .LBB61_3
; %bb.11:                               ;   in Loop: Header=BB61_4 Depth=1
	v_lshl_add_u64 v[8:9], v[6:7], 2, s[12:13]
	global_load_dword v1, v[8:9], off
	s_waitcnt vmcnt(0)
	v_add_f32_e64 v5, v5, |v1|
	s_branch .LBB61_3
.LBB61_12:
                                        ; implicit-def: $vgpr2_vgpr3_vgpr4_vgpr5
	s_branch .LBB61_15
.LBB61_13:
	v_mov_b32_e32 v2, 0
	v_mov_b32_e32 v3, v2
	;; [unrolled: 1-line block ×4, first 2 shown]
.LBB61_14:
	s_cbranch_execnz .LBB61_20
.LBB61_15:
	v_mov_b64_e32 v[4:5], 0x10000
	v_cmp_lt_i64_e32 vcc, s[10:11], v[4:5]
	v_mov_b32_e32 v2, 0
	s_and_b64 s[2:3], vcc, exec
	s_cselect_b32 s3, s11, 0
	s_cselect_b32 s2, s10, 0x10000
	v_lshlrev_b32_e32 v4, 2, v0
	v_mov_b32_e32 v5, v2
	v_cmp_gt_i64_e32 vcc, s[2:3], v[4:5]
	s_mov_b32 s13, 0
	v_mov_b32_e32 v3, v2
	v_mov_b32_e32 v4, v2
	s_and_saveexec_b64 s[10:11], vcc
	s_cbranch_execz .LBB61_19
; %bb.16:
	s_load_dword s5, s[0:1], 0xd4c
	v_lshlrev_b32_e32 v4, 4, v0
	v_mov_b32_e32 v5, v2
	v_mov_b32_e32 v1, v2
	v_mov_b64_e32 v[8:9], v[0:1]
	s_waitcnt lgkmcnt(0)
	s_and_b32 s12, s5, 0xffff
	s_add_u32 s8, s6, s8
	s_addc_u32 s9, s7, s9
	v_lshl_add_u64 v[4:5], s[8:9], 0, v[4:5]
	s_lshl_b32 s6, s12, 4
	v_lshl_add_u64 v[6:7], v[4:5], 0, 8
	s_mov_b32 s7, s13
	s_mov_b64 s[8:9], 0
	v_mov_b32_e32 v3, v2
	v_mov_b32_e32 v4, v2
	;; [unrolled: 1-line block ×3, first 2 shown]
.LBB61_17:                              ; =>This Inner Loop Header: Depth=1
	global_load_dwordx4 v[10:13], v[6:7], off offset:-8
	v_lshl_add_u64 v[8:9], v[8:9], 0, s[12:13]
	v_lshlrev_b64 v[14:15], 2, v[8:9]
	v_cmp_le_i64_e32 vcc, s[2:3], v[14:15]
	v_lshl_add_u64 v[6:7], v[6:7], 0, s[6:7]
	s_or_b64 s[8:9], vcc, s[8:9]
	s_waitcnt vmcnt(0)
	v_and_b32_e32 v11, 0x7fffffff, v11
	v_and_b32_e32 v10, 0x7fffffff, v10
	;; [unrolled: 1-line block ×4, first 2 shown]
	v_pk_add_f32 v[4:5], v[4:5], v[12:13]
	v_pk_add_f32 v[2:3], v[2:3], v[10:11]
	s_andn2_b64 exec, exec, s[8:9]
	s_cbranch_execnz .LBB61_17
; %bb.18:
	s_or_b64 exec, exec, s[8:9]
.LBB61_19:
	s_or_b64 exec, exec, s[10:11]
.LBB61_20:
	v_add_f32_e32 v1, 0, v2
	v_add_f32_e32 v1, v3, v1
	;; [unrolled: 1-line block ×4, first 2 shown]
	v_mbcnt_lo_u32_b32 v1, -1, 0
	v_mbcnt_hi_u32_b32 v6, -1, v1
	v_mov_b32_e32 v1, 0x80
	v_lshl_or_b32 v1, v6, 2, v1
	ds_bpermute_b32 v3, v1, v2
	v_and_b32_e32 v9, 63, v6
	v_cmp_gt_u32_e32 vcc, 48, v9
	s_waitcnt lgkmcnt(0)
	s_barrier
	v_add_f32_e32 v3, v2, v3
	v_cndmask_b32_e64 v2, 0, 16, vcc
	v_add_lshl_u32 v2, v2, v6, 2
	ds_bpermute_b32 v4, v2, v3
	v_cmp_gt_u32_e32 vcc, 56, v9
	s_waitcnt lgkmcnt(0)
	v_add_f32_e32 v4, v3, v4
	v_cndmask_b32_e64 v3, 0, 8, vcc
	v_add_lshl_u32 v3, v3, v6, 2
	ds_bpermute_b32 v5, v3, v4
	v_cmp_gt_u32_e32 vcc, 60, v9
	s_waitcnt lgkmcnt(0)
	;; [unrolled: 6-line block ×3, first 2 shown]
	v_add_f32_e32 v7, v5, v7
	v_cndmask_b32_e64 v8, 0, 2, vcc
	v_add_lshl_u32 v5, v8, v6, 2
	ds_bpermute_b32 v10, v5, v7
	v_cmp_ne_u32_e32 vcc, 63, v9
	v_and_b32_e32 v8, 63, v0
	s_waitcnt lgkmcnt(0)
	v_add_f32_e32 v7, v7, v10
	v_addc_co_u32_e32 v6, vcc, 0, v6, vcc
	v_lshlrev_b32_e32 v6, 2, v6
	ds_bpermute_b32 v9, v6, v7
	v_cmp_eq_u32_e32 vcc, 0, v8
	s_and_saveexec_b64 s[2:3], vcc
	s_cbranch_execz .LBB61_22
; %bb.21:
	v_lshrrev_b32_e32 v10, 4, v0
	s_waitcnt lgkmcnt(0)
	v_add_f32_e32 v7, v7, v9
	ds_write_b32 v10, v7
.LBB61_22:
	s_or_b64 exec, exec, s[2:3]
	s_waitcnt lgkmcnt(0)
	s_barrier
	s_load_dword s2, s[0:1], 0xd4c
	v_mov_b32_e32 v7, 0
	s_waitcnt lgkmcnt(0)
	s_bfe_u32 s2, s2, 0xa0006
	v_cmp_gt_u32_e32 vcc, s2, v0
	s_and_saveexec_b64 s[2:3], vcc
	s_cbranch_execnz .LBB61_26
; %bb.23:
	s_or_b64 exec, exec, s[2:3]
	v_cmp_gt_u32_e32 vcc, 64, v0
	s_and_saveexec_b64 s[2:3], vcc
	s_cbranch_execnz .LBB61_27
.LBB61_24:
	s_or_b64 exec, exec, s[2:3]
	v_cmp_eq_u32_e32 vcc, 0, v0
	s_and_saveexec_b64 s[2:3], vcc
	s_cbranch_execnz .LBB61_28
.LBB61_25:
	s_endpgm
.LBB61_26:
	v_lshlrev_b32_e32 v7, 2, v8
	ds_read_b32 v7, v7
	s_or_b64 exec, exec, s[2:3]
	v_cmp_gt_u32_e32 vcc, 64, v0
	s_and_saveexec_b64 s[2:3], vcc
	s_cbranch_execz .LBB61_24
.LBB61_27:
	s_waitcnt lgkmcnt(0)
	ds_bpermute_b32 v1, v1, v7
	s_waitcnt lgkmcnt(0)
	v_add_f32_e32 v1, v7, v1
	ds_bpermute_b32 v2, v2, v1
	s_waitcnt lgkmcnt(0)
	v_add_f32_e32 v1, v1, v2
	;; [unrolled: 3-line block ×6, first 2 shown]
	s_or_b64 exec, exec, s[2:3]
	v_cmp_eq_u32_e32 vcc, 0, v0
	s_and_saveexec_b64 s[2:3], vcc
	s_cbranch_execz .LBB61_25
.LBB61_28:
	s_load_dword s5, s[0:1], 0xd20
	s_load_dword s6, s[0:1], 0xd38
	s_load_dwordx2 s[2:3], s[0:1], 0xd30
	v_mov_b32_e32 v0, 0
	s_waitcnt lgkmcnt(0)
	s_add_i32 s0, s5, s16
	s_mul_i32 s0, s0, s6
	s_add_i32 s0, s0, s4
	s_ashr_i32 s1, s0, 31
	s_lshl_b64 s[0:1], s[0:1], 2
	s_add_u32 s0, s2, s0
	s_addc_u32 s1, s3, s1
	global_store_dword v0, v7, s[0:1]
	s_endpgm
	.section	.rodata,"a",@progbits
	.p2align	6, 0x0
	.amdhsa_kernel _ZN2at6native12_GLOBAL__N_125multi_tensor_apply_kernelINS1_18TensorListMetadataILi1EEENS0_13LpNormFunctorIfLNS0_8NormTypeE1EfLi1ELi1ELi0EEEJPfiEEEvT_T0_DpT1_
		.amdhsa_group_segment_fixed_size 2048
		.amdhsa_private_segment_fixed_size 0
		.amdhsa_kernarg_size 3648
		.amdhsa_user_sgpr_count 2
		.amdhsa_user_sgpr_dispatch_ptr 0
		.amdhsa_user_sgpr_queue_ptr 0
		.amdhsa_user_sgpr_kernarg_segment_ptr 1
		.amdhsa_user_sgpr_dispatch_id 0
		.amdhsa_user_sgpr_kernarg_preload_length 0
		.amdhsa_user_sgpr_kernarg_preload_offset 0
		.amdhsa_user_sgpr_private_segment_size 0
		.amdhsa_uses_dynamic_stack 0
		.amdhsa_enable_private_segment 0
		.amdhsa_system_sgpr_workgroup_id_x 1
		.amdhsa_system_sgpr_workgroup_id_y 0
		.amdhsa_system_sgpr_workgroup_id_z 0
		.amdhsa_system_sgpr_workgroup_info 0
		.amdhsa_system_vgpr_workitem_id 0
		.amdhsa_next_free_vgpr 18
		.amdhsa_next_free_sgpr 20
		.amdhsa_accum_offset 20
		.amdhsa_reserve_vcc 1
		.amdhsa_float_round_mode_32 0
		.amdhsa_float_round_mode_16_64 0
		.amdhsa_float_denorm_mode_32 3
		.amdhsa_float_denorm_mode_16_64 3
		.amdhsa_dx10_clamp 1
		.amdhsa_ieee_mode 1
		.amdhsa_fp16_overflow 0
		.amdhsa_tg_split 0
		.amdhsa_exception_fp_ieee_invalid_op 0
		.amdhsa_exception_fp_denorm_src 0
		.amdhsa_exception_fp_ieee_div_zero 0
		.amdhsa_exception_fp_ieee_overflow 0
		.amdhsa_exception_fp_ieee_underflow 0
		.amdhsa_exception_fp_ieee_inexact 0
		.amdhsa_exception_int_div_zero 0
	.end_amdhsa_kernel
	.section	.text._ZN2at6native12_GLOBAL__N_125multi_tensor_apply_kernelINS1_18TensorListMetadataILi1EEENS0_13LpNormFunctorIfLNS0_8NormTypeE1EfLi1ELi1ELi0EEEJPfiEEEvT_T0_DpT1_,"axG",@progbits,_ZN2at6native12_GLOBAL__N_125multi_tensor_apply_kernelINS1_18TensorListMetadataILi1EEENS0_13LpNormFunctorIfLNS0_8NormTypeE1EfLi1ELi1ELi0EEEJPfiEEEvT_T0_DpT1_,comdat
.Lfunc_end61:
	.size	_ZN2at6native12_GLOBAL__N_125multi_tensor_apply_kernelINS1_18TensorListMetadataILi1EEENS0_13LpNormFunctorIfLNS0_8NormTypeE1EfLi1ELi1ELi0EEEJPfiEEEvT_T0_DpT1_, .Lfunc_end61-_ZN2at6native12_GLOBAL__N_125multi_tensor_apply_kernelINS1_18TensorListMetadataILi1EEENS0_13LpNormFunctorIfLNS0_8NormTypeE1EfLi1ELi1ELi0EEEJPfiEEEvT_T0_DpT1_
                                        ; -- End function
	.set _ZN2at6native12_GLOBAL__N_125multi_tensor_apply_kernelINS1_18TensorListMetadataILi1EEENS0_13LpNormFunctorIfLNS0_8NormTypeE1EfLi1ELi1ELi0EEEJPfiEEEvT_T0_DpT1_.num_vgpr, 18
	.set _ZN2at6native12_GLOBAL__N_125multi_tensor_apply_kernelINS1_18TensorListMetadataILi1EEENS0_13LpNormFunctorIfLNS0_8NormTypeE1EfLi1ELi1ELi0EEEJPfiEEEvT_T0_DpT1_.num_agpr, 0
	.set _ZN2at6native12_GLOBAL__N_125multi_tensor_apply_kernelINS1_18TensorListMetadataILi1EEENS0_13LpNormFunctorIfLNS0_8NormTypeE1EfLi1ELi1ELi0EEEJPfiEEEvT_T0_DpT1_.numbered_sgpr, 20
	.set _ZN2at6native12_GLOBAL__N_125multi_tensor_apply_kernelINS1_18TensorListMetadataILi1EEENS0_13LpNormFunctorIfLNS0_8NormTypeE1EfLi1ELi1ELi0EEEJPfiEEEvT_T0_DpT1_.num_named_barrier, 0
	.set _ZN2at6native12_GLOBAL__N_125multi_tensor_apply_kernelINS1_18TensorListMetadataILi1EEENS0_13LpNormFunctorIfLNS0_8NormTypeE1EfLi1ELi1ELi0EEEJPfiEEEvT_T0_DpT1_.private_seg_size, 0
	.set _ZN2at6native12_GLOBAL__N_125multi_tensor_apply_kernelINS1_18TensorListMetadataILi1EEENS0_13LpNormFunctorIfLNS0_8NormTypeE1EfLi1ELi1ELi0EEEJPfiEEEvT_T0_DpT1_.uses_vcc, 1
	.set _ZN2at6native12_GLOBAL__N_125multi_tensor_apply_kernelINS1_18TensorListMetadataILi1EEENS0_13LpNormFunctorIfLNS0_8NormTypeE1EfLi1ELi1ELi0EEEJPfiEEEvT_T0_DpT1_.uses_flat_scratch, 0
	.set _ZN2at6native12_GLOBAL__N_125multi_tensor_apply_kernelINS1_18TensorListMetadataILi1EEENS0_13LpNormFunctorIfLNS0_8NormTypeE1EfLi1ELi1ELi0EEEJPfiEEEvT_T0_DpT1_.has_dyn_sized_stack, 0
	.set _ZN2at6native12_GLOBAL__N_125multi_tensor_apply_kernelINS1_18TensorListMetadataILi1EEENS0_13LpNormFunctorIfLNS0_8NormTypeE1EfLi1ELi1ELi0EEEJPfiEEEvT_T0_DpT1_.has_recursion, 0
	.set _ZN2at6native12_GLOBAL__N_125multi_tensor_apply_kernelINS1_18TensorListMetadataILi1EEENS0_13LpNormFunctorIfLNS0_8NormTypeE1EfLi1ELi1ELi0EEEJPfiEEEvT_T0_DpT1_.has_indirect_call, 0
	.section	.AMDGPU.csdata,"",@progbits
; Kernel info:
; codeLenInByte = 1384
; TotalNumSgprs: 26
; NumVgprs: 18
; NumAgprs: 0
; TotalNumVgprs: 18
; ScratchSize: 0
; MemoryBound: 0
; FloatMode: 240
; IeeeMode: 1
; LDSByteSize: 2048 bytes/workgroup (compile time only)
; SGPRBlocks: 3
; VGPRBlocks: 2
; NumSGPRsForWavesPerEU: 26
; NumVGPRsForWavesPerEU: 18
; AccumOffset: 20
; Occupancy: 8
; WaveLimiterHint : 0
; COMPUTE_PGM_RSRC2:SCRATCH_EN: 0
; COMPUTE_PGM_RSRC2:USER_SGPR: 2
; COMPUTE_PGM_RSRC2:TRAP_HANDLER: 0
; COMPUTE_PGM_RSRC2:TGID_X_EN: 1
; COMPUTE_PGM_RSRC2:TGID_Y_EN: 0
; COMPUTE_PGM_RSRC2:TGID_Z_EN: 0
; COMPUTE_PGM_RSRC2:TIDIG_COMP_CNT: 0
; COMPUTE_PGM_RSRC3_GFX90A:ACCUM_OFFSET: 4
; COMPUTE_PGM_RSRC3_GFX90A:TG_SPLIT: 0
	.section	.text._ZN2at6native12_GLOBAL__N_125multi_tensor_apply_kernelINS1_18TensorListMetadataILi1EEENS0_13LpNormFunctorIfLNS0_8NormTypeE2EfLi1ELi1ELi0EEEJPfiEEEvT_T0_DpT1_,"axG",@progbits,_ZN2at6native12_GLOBAL__N_125multi_tensor_apply_kernelINS1_18TensorListMetadataILi1EEENS0_13LpNormFunctorIfLNS0_8NormTypeE2EfLi1ELi1ELi0EEEJPfiEEEvT_T0_DpT1_,comdat
	.globl	_ZN2at6native12_GLOBAL__N_125multi_tensor_apply_kernelINS1_18TensorListMetadataILi1EEENS0_13LpNormFunctorIfLNS0_8NormTypeE2EfLi1ELi1ELi0EEEJPfiEEEvT_T0_DpT1_ ; -- Begin function _ZN2at6native12_GLOBAL__N_125multi_tensor_apply_kernelINS1_18TensorListMetadataILi1EEENS0_13LpNormFunctorIfLNS0_8NormTypeE2EfLi1ELi1ELi0EEEJPfiEEEvT_T0_DpT1_
	.p2align	8
	.type	_ZN2at6native12_GLOBAL__N_125multi_tensor_apply_kernelINS1_18TensorListMetadataILi1EEENS0_13LpNormFunctorIfLNS0_8NormTypeE2EfLi1ELi1ELi0EEEJPfiEEEvT_T0_DpT1_,@function
_ZN2at6native12_GLOBAL__N_125multi_tensor_apply_kernelINS1_18TensorListMetadataILi1EEENS0_13LpNormFunctorIfLNS0_8NormTypeE2EfLi1ELi1ELi0EEEJPfiEEEvT_T0_DpT1_: ; @_ZN2at6native12_GLOBAL__N_125multi_tensor_apply_kernelINS1_18TensorListMetadataILi1EEENS0_13LpNormFunctorIfLNS0_8NormTypeE2EfLi1ELi1ELi0EEEJPfiEEEvT_T0_DpT1_
; %bb.0:
	v_mov_b32_e32 v1, s2
	global_load_ubyte v1, v1, s[0:1] offset:1760
	s_add_u32 s3, s0, s2
	s_mul_hi_u32 s4, s2, 3
	s_mul_i32 s2, s2, 3
	s_addc_u32 s5, s1, 0
	s_add_u32 s2, s3, s2
	s_addc_u32 s3, s5, s4
	s_load_dword s4, s[2:3], 0x820
	s_mov_b32 s15, 0
	s_waitcnt vmcnt(0)
	v_readfirstlane_b32 s2, v1
	s_and_b32 s16, s2, 0xff
	s_lshl_b32 s5, s16, 3
	s_load_dwordx2 s[2:3], s[0:1], s5 offset:0x370
	s_load_dwordx2 s[6:7], s[0:1], s5 offset:0x0
	s_waitcnt lgkmcnt(0)
	s_ashr_i32 s5, s4, 31
	s_lshl_b64 s[10:11], s[4:5], 16
	s_lshl_b64 s[8:9], s[4:5], 18
	s_add_u32 s12, s6, s8
	s_addc_u32 s13, s7, s9
	s_sub_u32 s10, s2, s10
	s_subb_u32 s11, s3, s11
	s_and_b32 s14, s2, 3
	s_and_b32 s2, s12, 15
	s_mov_b32 s3, s15
	s_or_b64 s[2:3], s[14:15], s[2:3]
	s_cmp_eq_u64 s[2:3], 0
	s_cbranch_scc1 .LBB62_12
; %bb.1:
	v_cmp_lt_i64_e64 s[2:3], s[10:11], 1
	s_and_b64 vcc, exec, s[2:3]
	s_cbranch_vccnz .LBB62_13
; %bb.2:
	s_load_dword s14, s[0:1], 0xd4c
	v_mov_b64_e32 v[2:3], 0x10000
	v_cmp_lt_i64_e32 vcc, s[10:11], v[2:3]
	s_and_b64 s[2:3], vcc, exec
	v_mov_b32_e32 v7, 0
	s_cselect_b32 s3, s11, 0
	s_cselect_b32 s2, s10, 0x10000
	s_waitcnt lgkmcnt(0)
	s_and_b32 s18, s14, 0xffff
	v_mov_b32_e32 v6, v7
	v_mad_u64_u32 v[12:13], s[14:15], s18, 3, v[0:1]
	v_mov_b32_e32 v8, v7
	v_mov_b32_e32 v9, v7
	v_mov_b64_e32 v[2:3], v[6:7]
	s_mov_b32 s5, 0x10000
	s_lshl_b32 s17, s18, 2
	v_lshl_add_u32 v10, s18, 1, v0
	v_add_u32_e32 v14, s18, v0
	s_mov_b64 s[14:15], 0
	v_mov_b64_e32 v[16:17], s[2:3]
	v_mov_b64_e32 v[4:5], v[8:9]
	s_branch .LBB62_4
.LBB62_3:                               ;   in Loop: Header=BB62_4 Depth=1
	s_or_b64 exec, exec, s[2:3]
	s_add_u32 s14, s14, s17
	s_addc_u32 s15, s15, 0
	v_cmp_lt_i64_e32 vcc, s[14:15], v[16:17]
	s_cbranch_vccz .LBB62_14
.LBB62_4:                               ; =>This Inner Loop Header: Depth=1
	v_add_u32_e32 v6, s14, v0
	v_cmp_gt_i64_e32 vcc, s[10:11], v[6:7]
	v_cmp_gt_u32_e64 s[2:3], s5, v6
	s_and_b64 s[18:19], s[2:3], vcc
	s_and_saveexec_b64 s[2:3], s[18:19]
	s_cbranch_execz .LBB62_6
; %bb.5:                                ;   in Loop: Header=BB62_4 Depth=1
	v_lshl_add_u64 v[8:9], v[6:7], 2, s[12:13]
	global_load_dword v1, v[8:9], off
	s_waitcnt vmcnt(0)
	v_fma_f32 v2, v1, v1, v2
.LBB62_6:                               ;   in Loop: Header=BB62_4 Depth=1
	s_or_b64 exec, exec, s[2:3]
	v_add_u32_e32 v6, s14, v14
	v_cmp_gt_i64_e32 vcc, s[10:11], v[6:7]
	v_cmp_gt_u32_e64 s[2:3], s5, v6
	s_and_b64 s[18:19], s[2:3], vcc
	s_and_saveexec_b64 s[2:3], s[18:19]
	s_cbranch_execz .LBB62_8
; %bb.7:                                ;   in Loop: Header=BB62_4 Depth=1
	v_lshl_add_u64 v[8:9], v[6:7], 2, s[12:13]
	global_load_dword v1, v[8:9], off
	s_waitcnt vmcnt(0)
	v_fma_f32 v3, v1, v1, v3
.LBB62_8:                               ;   in Loop: Header=BB62_4 Depth=1
	s_or_b64 exec, exec, s[2:3]
	v_add_u32_e32 v6, s14, v10
	v_cmp_gt_i64_e32 vcc, s[10:11], v[6:7]
	v_cmp_gt_u32_e64 s[2:3], s5, v6
	s_and_b64 s[18:19], s[2:3], vcc
	s_and_saveexec_b64 s[2:3], s[18:19]
	s_cbranch_execz .LBB62_10
; %bb.9:                                ;   in Loop: Header=BB62_4 Depth=1
	v_lshl_add_u64 v[8:9], v[6:7], 2, s[12:13]
	global_load_dword v1, v[8:9], off
	s_waitcnt vmcnt(0)
	v_fma_f32 v4, v1, v1, v4
.LBB62_10:                              ;   in Loop: Header=BB62_4 Depth=1
	s_or_b64 exec, exec, s[2:3]
	v_add_u32_e32 v6, s14, v12
	v_cmp_gt_i64_e32 vcc, s[10:11], v[6:7]
	v_cmp_gt_u32_e64 s[2:3], s5, v6
	s_and_b64 s[18:19], s[2:3], vcc
	s_and_saveexec_b64 s[2:3], s[18:19]
	s_cbranch_execz .LBB62_3
; %bb.11:                               ;   in Loop: Header=BB62_4 Depth=1
	v_lshl_add_u64 v[8:9], v[6:7], 2, s[12:13]
	global_load_dword v1, v[8:9], off
	s_waitcnt vmcnt(0)
	v_fma_f32 v5, v1, v1, v5
	s_branch .LBB62_3
.LBB62_12:
                                        ; implicit-def: $vgpr2_vgpr3_vgpr4_vgpr5
	s_branch .LBB62_15
.LBB62_13:
	v_mov_b32_e32 v2, 0
	v_mov_b32_e32 v3, v2
	;; [unrolled: 1-line block ×4, first 2 shown]
.LBB62_14:
	s_cbranch_execnz .LBB62_20
.LBB62_15:
	v_mov_b64_e32 v[4:5], 0x10000
	v_cmp_lt_i64_e32 vcc, s[10:11], v[4:5]
	v_mov_b32_e32 v2, 0
	s_and_b64 s[2:3], vcc, exec
	s_cselect_b32 s3, s11, 0
	s_cselect_b32 s2, s10, 0x10000
	v_lshlrev_b32_e32 v4, 2, v0
	v_mov_b32_e32 v5, v2
	v_cmp_gt_i64_e32 vcc, s[2:3], v[4:5]
	s_mov_b32 s13, 0
	v_mov_b32_e32 v3, v2
	v_mov_b32_e32 v4, v2
	s_and_saveexec_b64 s[10:11], vcc
	s_cbranch_execz .LBB62_19
; %bb.16:
	s_load_dword s5, s[0:1], 0xd4c
	v_lshlrev_b32_e32 v4, 4, v0
	v_mov_b32_e32 v5, v2
	v_mov_b32_e32 v1, v2
	v_mov_b64_e32 v[8:9], v[0:1]
	s_waitcnt lgkmcnt(0)
	s_and_b32 s12, s5, 0xffff
	s_add_u32 s8, s6, s8
	s_addc_u32 s9, s7, s9
	v_lshl_add_u64 v[4:5], s[8:9], 0, v[4:5]
	s_lshl_b32 s6, s12, 4
	v_lshl_add_u64 v[6:7], v[4:5], 0, 8
	s_mov_b32 s7, s13
	s_mov_b64 s[8:9], 0
	v_mov_b32_e32 v3, v2
	v_mov_b32_e32 v4, v2
	;; [unrolled: 1-line block ×3, first 2 shown]
.LBB62_17:                              ; =>This Inner Loop Header: Depth=1
	global_load_dwordx4 v[10:13], v[6:7], off offset:-8
	v_lshl_add_u64 v[8:9], v[8:9], 0, s[12:13]
	v_lshlrev_b64 v[14:15], 2, v[8:9]
	v_cmp_le_i64_e32 vcc, s[2:3], v[14:15]
	v_lshl_add_u64 v[6:7], v[6:7], 0, s[6:7]
	s_or_b64 s[8:9], vcc, s[8:9]
	s_waitcnt vmcnt(0)
	v_pk_fma_f32 v[4:5], v[12:13], v[12:13], v[4:5]
	v_pk_fma_f32 v[2:3], v[10:11], v[10:11], v[2:3]
	s_andn2_b64 exec, exec, s[8:9]
	s_cbranch_execnz .LBB62_17
; %bb.18:
	s_or_b64 exec, exec, s[8:9]
.LBB62_19:
	s_or_b64 exec, exec, s[10:11]
.LBB62_20:
	v_add_f32_e32 v1, 0, v2
	v_add_f32_e32 v1, v3, v1
	;; [unrolled: 1-line block ×4, first 2 shown]
	v_mbcnt_lo_u32_b32 v1, -1, 0
	v_mbcnt_hi_u32_b32 v6, -1, v1
	v_mov_b32_e32 v1, 0x80
	v_lshl_or_b32 v1, v6, 2, v1
	ds_bpermute_b32 v3, v1, v2
	v_and_b32_e32 v9, 63, v6
	v_cmp_gt_u32_e32 vcc, 48, v9
	s_waitcnt lgkmcnt(0)
	s_barrier
	v_add_f32_e32 v3, v2, v3
	v_cndmask_b32_e64 v2, 0, 16, vcc
	v_add_lshl_u32 v2, v2, v6, 2
	ds_bpermute_b32 v4, v2, v3
	v_cmp_gt_u32_e32 vcc, 56, v9
	s_waitcnt lgkmcnt(0)
	v_add_f32_e32 v4, v3, v4
	v_cndmask_b32_e64 v3, 0, 8, vcc
	v_add_lshl_u32 v3, v3, v6, 2
	ds_bpermute_b32 v5, v3, v4
	v_cmp_gt_u32_e32 vcc, 60, v9
	s_waitcnt lgkmcnt(0)
	;; [unrolled: 6-line block ×3, first 2 shown]
	v_add_f32_e32 v7, v5, v7
	v_cndmask_b32_e64 v8, 0, 2, vcc
	v_add_lshl_u32 v5, v8, v6, 2
	ds_bpermute_b32 v10, v5, v7
	v_cmp_ne_u32_e32 vcc, 63, v9
	v_and_b32_e32 v8, 63, v0
	s_waitcnt lgkmcnt(0)
	v_add_f32_e32 v7, v7, v10
	v_addc_co_u32_e32 v6, vcc, 0, v6, vcc
	v_lshlrev_b32_e32 v6, 2, v6
	ds_bpermute_b32 v9, v6, v7
	v_cmp_eq_u32_e32 vcc, 0, v8
	s_and_saveexec_b64 s[2:3], vcc
	s_cbranch_execz .LBB62_22
; %bb.21:
	v_lshrrev_b32_e32 v10, 4, v0
	s_waitcnt lgkmcnt(0)
	v_add_f32_e32 v7, v7, v9
	ds_write_b32 v10, v7
.LBB62_22:
	s_or_b64 exec, exec, s[2:3]
	s_waitcnt lgkmcnt(0)
	s_barrier
	s_load_dword s2, s[0:1], 0xd4c
	v_mov_b32_e32 v7, 0
	s_waitcnt lgkmcnt(0)
	s_bfe_u32 s2, s2, 0xa0006
	v_cmp_gt_u32_e32 vcc, s2, v0
	s_and_saveexec_b64 s[2:3], vcc
	s_cbranch_execnz .LBB62_26
; %bb.23:
	s_or_b64 exec, exec, s[2:3]
	v_cmp_gt_u32_e32 vcc, 64, v0
	s_and_saveexec_b64 s[2:3], vcc
	s_cbranch_execnz .LBB62_27
.LBB62_24:
	s_or_b64 exec, exec, s[2:3]
	v_cmp_eq_u32_e32 vcc, 0, v0
	s_and_saveexec_b64 s[2:3], vcc
	s_cbranch_execnz .LBB62_28
.LBB62_25:
	s_endpgm
.LBB62_26:
	v_lshlrev_b32_e32 v7, 2, v8
	ds_read_b32 v7, v7
	s_or_b64 exec, exec, s[2:3]
	v_cmp_gt_u32_e32 vcc, 64, v0
	s_and_saveexec_b64 s[2:3], vcc
	s_cbranch_execz .LBB62_24
.LBB62_27:
	s_waitcnt lgkmcnt(0)
	ds_bpermute_b32 v1, v1, v7
	s_waitcnt lgkmcnt(0)
	v_add_f32_e32 v1, v7, v1
	ds_bpermute_b32 v2, v2, v1
	s_waitcnt lgkmcnt(0)
	v_add_f32_e32 v1, v1, v2
	;; [unrolled: 3-line block ×6, first 2 shown]
	s_or_b64 exec, exec, s[2:3]
	v_cmp_eq_u32_e32 vcc, 0, v0
	s_and_saveexec_b64 s[2:3], vcc
	s_cbranch_execz .LBB62_25
.LBB62_28:
	s_load_dword s5, s[0:1], 0xd20
	s_load_dword s6, s[0:1], 0xd38
	s_load_dwordx2 s[2:3], s[0:1], 0xd30
	v_mov_b32_e32 v0, 0
	s_waitcnt lgkmcnt(0)
	s_add_i32 s0, s5, s16
	s_mul_i32 s0, s0, s6
	s_add_i32 s0, s0, s4
	s_ashr_i32 s1, s0, 31
	s_lshl_b64 s[0:1], s[0:1], 2
	s_add_u32 s0, s2, s0
	s_addc_u32 s1, s3, s1
	global_store_dword v0, v7, s[0:1]
	s_endpgm
	.section	.rodata,"a",@progbits
	.p2align	6, 0x0
	.amdhsa_kernel _ZN2at6native12_GLOBAL__N_125multi_tensor_apply_kernelINS1_18TensorListMetadataILi1EEENS0_13LpNormFunctorIfLNS0_8NormTypeE2EfLi1ELi1ELi0EEEJPfiEEEvT_T0_DpT1_
		.amdhsa_group_segment_fixed_size 2048
		.amdhsa_private_segment_fixed_size 0
		.amdhsa_kernarg_size 3648
		.amdhsa_user_sgpr_count 2
		.amdhsa_user_sgpr_dispatch_ptr 0
		.amdhsa_user_sgpr_queue_ptr 0
		.amdhsa_user_sgpr_kernarg_segment_ptr 1
		.amdhsa_user_sgpr_dispatch_id 0
		.amdhsa_user_sgpr_kernarg_preload_length 0
		.amdhsa_user_sgpr_kernarg_preload_offset 0
		.amdhsa_user_sgpr_private_segment_size 0
		.amdhsa_uses_dynamic_stack 0
		.amdhsa_enable_private_segment 0
		.amdhsa_system_sgpr_workgroup_id_x 1
		.amdhsa_system_sgpr_workgroup_id_y 0
		.amdhsa_system_sgpr_workgroup_id_z 0
		.amdhsa_system_sgpr_workgroup_info 0
		.amdhsa_system_vgpr_workitem_id 0
		.amdhsa_next_free_vgpr 18
		.amdhsa_next_free_sgpr 20
		.amdhsa_accum_offset 20
		.amdhsa_reserve_vcc 1
		.amdhsa_float_round_mode_32 0
		.amdhsa_float_round_mode_16_64 0
		.amdhsa_float_denorm_mode_32 3
		.amdhsa_float_denorm_mode_16_64 3
		.amdhsa_dx10_clamp 1
		.amdhsa_ieee_mode 1
		.amdhsa_fp16_overflow 0
		.amdhsa_tg_split 0
		.amdhsa_exception_fp_ieee_invalid_op 0
		.amdhsa_exception_fp_denorm_src 0
		.amdhsa_exception_fp_ieee_div_zero 0
		.amdhsa_exception_fp_ieee_overflow 0
		.amdhsa_exception_fp_ieee_underflow 0
		.amdhsa_exception_fp_ieee_inexact 0
		.amdhsa_exception_int_div_zero 0
	.end_amdhsa_kernel
	.section	.text._ZN2at6native12_GLOBAL__N_125multi_tensor_apply_kernelINS1_18TensorListMetadataILi1EEENS0_13LpNormFunctorIfLNS0_8NormTypeE2EfLi1ELi1ELi0EEEJPfiEEEvT_T0_DpT1_,"axG",@progbits,_ZN2at6native12_GLOBAL__N_125multi_tensor_apply_kernelINS1_18TensorListMetadataILi1EEENS0_13LpNormFunctorIfLNS0_8NormTypeE2EfLi1ELi1ELi0EEEJPfiEEEvT_T0_DpT1_,comdat
.Lfunc_end62:
	.size	_ZN2at6native12_GLOBAL__N_125multi_tensor_apply_kernelINS1_18TensorListMetadataILi1EEENS0_13LpNormFunctorIfLNS0_8NormTypeE2EfLi1ELi1ELi0EEEJPfiEEEvT_T0_DpT1_, .Lfunc_end62-_ZN2at6native12_GLOBAL__N_125multi_tensor_apply_kernelINS1_18TensorListMetadataILi1EEENS0_13LpNormFunctorIfLNS0_8NormTypeE2EfLi1ELi1ELi0EEEJPfiEEEvT_T0_DpT1_
                                        ; -- End function
	.set _ZN2at6native12_GLOBAL__N_125multi_tensor_apply_kernelINS1_18TensorListMetadataILi1EEENS0_13LpNormFunctorIfLNS0_8NormTypeE2EfLi1ELi1ELi0EEEJPfiEEEvT_T0_DpT1_.num_vgpr, 18
	.set _ZN2at6native12_GLOBAL__N_125multi_tensor_apply_kernelINS1_18TensorListMetadataILi1EEENS0_13LpNormFunctorIfLNS0_8NormTypeE2EfLi1ELi1ELi0EEEJPfiEEEvT_T0_DpT1_.num_agpr, 0
	.set _ZN2at6native12_GLOBAL__N_125multi_tensor_apply_kernelINS1_18TensorListMetadataILi1EEENS0_13LpNormFunctorIfLNS0_8NormTypeE2EfLi1ELi1ELi0EEEJPfiEEEvT_T0_DpT1_.numbered_sgpr, 20
	.set _ZN2at6native12_GLOBAL__N_125multi_tensor_apply_kernelINS1_18TensorListMetadataILi1EEENS0_13LpNormFunctorIfLNS0_8NormTypeE2EfLi1ELi1ELi0EEEJPfiEEEvT_T0_DpT1_.num_named_barrier, 0
	.set _ZN2at6native12_GLOBAL__N_125multi_tensor_apply_kernelINS1_18TensorListMetadataILi1EEENS0_13LpNormFunctorIfLNS0_8NormTypeE2EfLi1ELi1ELi0EEEJPfiEEEvT_T0_DpT1_.private_seg_size, 0
	.set _ZN2at6native12_GLOBAL__N_125multi_tensor_apply_kernelINS1_18TensorListMetadataILi1EEENS0_13LpNormFunctorIfLNS0_8NormTypeE2EfLi1ELi1ELi0EEEJPfiEEEvT_T0_DpT1_.uses_vcc, 1
	.set _ZN2at6native12_GLOBAL__N_125multi_tensor_apply_kernelINS1_18TensorListMetadataILi1EEENS0_13LpNormFunctorIfLNS0_8NormTypeE2EfLi1ELi1ELi0EEEJPfiEEEvT_T0_DpT1_.uses_flat_scratch, 0
	.set _ZN2at6native12_GLOBAL__N_125multi_tensor_apply_kernelINS1_18TensorListMetadataILi1EEENS0_13LpNormFunctorIfLNS0_8NormTypeE2EfLi1ELi1ELi0EEEJPfiEEEvT_T0_DpT1_.has_dyn_sized_stack, 0
	.set _ZN2at6native12_GLOBAL__N_125multi_tensor_apply_kernelINS1_18TensorListMetadataILi1EEENS0_13LpNormFunctorIfLNS0_8NormTypeE2EfLi1ELi1ELi0EEEJPfiEEEvT_T0_DpT1_.has_recursion, 0
	.set _ZN2at6native12_GLOBAL__N_125multi_tensor_apply_kernelINS1_18TensorListMetadataILi1EEENS0_13LpNormFunctorIfLNS0_8NormTypeE2EfLi1ELi1ELi0EEEJPfiEEEvT_T0_DpT1_.has_indirect_call, 0
	.section	.AMDGPU.csdata,"",@progbits
; Kernel info:
; codeLenInByte = 1352
; TotalNumSgprs: 26
; NumVgprs: 18
; NumAgprs: 0
; TotalNumVgprs: 18
; ScratchSize: 0
; MemoryBound: 0
; FloatMode: 240
; IeeeMode: 1
; LDSByteSize: 2048 bytes/workgroup (compile time only)
; SGPRBlocks: 3
; VGPRBlocks: 2
; NumSGPRsForWavesPerEU: 26
; NumVGPRsForWavesPerEU: 18
; AccumOffset: 20
; Occupancy: 8
; WaveLimiterHint : 0
; COMPUTE_PGM_RSRC2:SCRATCH_EN: 0
; COMPUTE_PGM_RSRC2:USER_SGPR: 2
; COMPUTE_PGM_RSRC2:TRAP_HANDLER: 0
; COMPUTE_PGM_RSRC2:TGID_X_EN: 1
; COMPUTE_PGM_RSRC2:TGID_Y_EN: 0
; COMPUTE_PGM_RSRC2:TGID_Z_EN: 0
; COMPUTE_PGM_RSRC2:TIDIG_COMP_CNT: 0
; COMPUTE_PGM_RSRC3_GFX90A:ACCUM_OFFSET: 4
; COMPUTE_PGM_RSRC3_GFX90A:TG_SPLIT: 0
	.section	.text._ZN2at6native12_GLOBAL__N_125multi_tensor_apply_kernelINS1_18TensorListMetadataILi1EEENS0_13LpNormFunctorIfLNS0_8NormTypeE3EfLi1ELi1ELi0EEEJPfiEEEvT_T0_DpT1_,"axG",@progbits,_ZN2at6native12_GLOBAL__N_125multi_tensor_apply_kernelINS1_18TensorListMetadataILi1EEENS0_13LpNormFunctorIfLNS0_8NormTypeE3EfLi1ELi1ELi0EEEJPfiEEEvT_T0_DpT1_,comdat
	.globl	_ZN2at6native12_GLOBAL__N_125multi_tensor_apply_kernelINS1_18TensorListMetadataILi1EEENS0_13LpNormFunctorIfLNS0_8NormTypeE3EfLi1ELi1ELi0EEEJPfiEEEvT_T0_DpT1_ ; -- Begin function _ZN2at6native12_GLOBAL__N_125multi_tensor_apply_kernelINS1_18TensorListMetadataILi1EEENS0_13LpNormFunctorIfLNS0_8NormTypeE3EfLi1ELi1ELi0EEEJPfiEEEvT_T0_DpT1_
	.p2align	8
	.type	_ZN2at6native12_GLOBAL__N_125multi_tensor_apply_kernelINS1_18TensorListMetadataILi1EEENS0_13LpNormFunctorIfLNS0_8NormTypeE3EfLi1ELi1ELi0EEEJPfiEEEvT_T0_DpT1_,@function
_ZN2at6native12_GLOBAL__N_125multi_tensor_apply_kernelINS1_18TensorListMetadataILi1EEENS0_13LpNormFunctorIfLNS0_8NormTypeE3EfLi1ELi1ELi0EEEJPfiEEEvT_T0_DpT1_: ; @_ZN2at6native12_GLOBAL__N_125multi_tensor_apply_kernelINS1_18TensorListMetadataILi1EEENS0_13LpNormFunctorIfLNS0_8NormTypeE3EfLi1ELi1ELi0EEEJPfiEEEvT_T0_DpT1_
; %bb.0:
	v_mov_b32_e32 v1, s2
	global_load_ubyte v1, v1, s[0:1] offset:1760
	s_add_u32 s3, s0, s2
	s_mul_hi_u32 s4, s2, 3
	s_mul_i32 s2, s2, 3
	s_addc_u32 s5, s1, 0
	s_add_u32 s2, s3, s2
	s_addc_u32 s3, s5, s4
	s_load_dword s10, s[2:3], 0x820
	s_mov_b32 s15, 0
	s_waitcnt lgkmcnt(0)
	s_ashr_i32 s11, s10, 31
	s_lshl_b64 s[8:9], s[10:11], 16
	s_waitcnt vmcnt(0)
	v_readfirstlane_b32 s2, v1
	s_and_b32 s22, s2, 0xff
	s_lshl_b32 s6, s22, 3
	s_load_dwordx2 s[2:3], s[0:1], s6 offset:0x370
	s_load_dwordx2 s[4:5], s[0:1], s6 offset:0x0
	s_lshl_b64 s[6:7], s[10:11], 18
	s_waitcnt lgkmcnt(0)
	s_add_u32 s12, s4, s6
	s_addc_u32 s13, s5, s7
	s_sub_u32 s8, s2, s8
	s_subb_u32 s9, s3, s9
	s_and_b32 s14, s2, 3
	s_and_b32 s2, s12, 15
	s_mov_b32 s3, s15
	s_or_b64 s[2:3], s[14:15], s[2:3]
	s_cmp_eq_u64 s[2:3], 0
	s_cbranch_scc1 .LBB63_12
; %bb.1:
	v_cmp_lt_i64_e64 s[2:3], s[8:9], 1
	s_and_b64 vcc, exec, s[2:3]
	s_cbranch_vccnz .LBB63_13
; %bb.2:
	s_load_dword s14, s[0:1], 0xd4c
	v_mov_b64_e32 v[2:3], 0x10000
	v_cmp_lt_i64_e32 vcc, s[8:9], v[2:3]
	s_and_b64 s[2:3], vcc, exec
	v_mov_b32_e32 v7, 0
	s_cselect_b32 s3, s9, 0
	s_cselect_b32 s2, s8, 0x10000
	s_waitcnt lgkmcnt(0)
	s_and_b32 s17, s14, 0xffff
	v_mov_b32_e32 v6, v7
	v_mad_u64_u32 v[12:13], s[14:15], s17, 3, v[0:1]
	v_mov_b32_e32 v8, v7
	v_mov_b32_e32 v9, v7
	v_mov_b64_e32 v[2:3], v[6:7]
	s_mov_b32 s11, 0x10000
	s_lshl_b32 s16, s17, 2
	v_lshl_add_u32 v10, s17, 1, v0
	v_add_u32_e32 v14, s17, v0
	s_mov_b64 s[14:15], 0
	v_mov_b64_e32 v[16:17], s[2:3]
	v_mov_b64_e32 v[4:5], v[8:9]
	s_branch .LBB63_4
.LBB63_3:                               ;   in Loop: Header=BB63_4 Depth=1
	s_or_b64 exec, exec, s[2:3]
	s_add_u32 s14, s14, s16
	s_addc_u32 s15, s15, 0
	v_cmp_lt_i64_e32 vcc, s[14:15], v[16:17]
	s_cbranch_vccz .LBB63_14
.LBB63_4:                               ; =>This Inner Loop Header: Depth=1
	v_add_u32_e32 v6, s14, v0
	v_cmp_gt_i64_e32 vcc, s[8:9], v[6:7]
	v_cmp_gt_u32_e64 s[2:3], s11, v6
	s_and_b64 s[18:19], s[2:3], vcc
	s_and_saveexec_b64 s[2:3], s[18:19]
	s_cbranch_execz .LBB63_6
; %bb.5:                                ;   in Loop: Header=BB63_4 Depth=1
	v_lshl_add_u64 v[8:9], v[6:7], 2, s[12:13]
	global_load_dword v1, v[8:9], off
	s_waitcnt vmcnt(0)
	v_cmp_u_f32_e32 vcc, v1, v1
	v_cmp_lt_f32_e64 s[18:19], v2, |v1|
	s_or_b64 s[18:19], vcc, s[18:19]
	s_nop 0
	v_cndmask_b32_e64 v2, v2, |v1|, s[18:19]
.LBB63_6:                               ;   in Loop: Header=BB63_4 Depth=1
	s_or_b64 exec, exec, s[2:3]
	v_add_u32_e32 v6, s14, v14
	v_cmp_gt_i64_e32 vcc, s[8:9], v[6:7]
	v_cmp_gt_u32_e64 s[2:3], s11, v6
	s_and_b64 s[18:19], s[2:3], vcc
	s_and_saveexec_b64 s[2:3], s[18:19]
	s_cbranch_execz .LBB63_8
; %bb.7:                                ;   in Loop: Header=BB63_4 Depth=1
	v_lshl_add_u64 v[8:9], v[6:7], 2, s[12:13]
	global_load_dword v1, v[8:9], off
	s_waitcnt vmcnt(0)
	v_cmp_u_f32_e32 vcc, v1, v1
	v_cmp_lt_f32_e64 s[18:19], v3, |v1|
	s_or_b64 s[18:19], vcc, s[18:19]
	s_nop 0
	v_cndmask_b32_e64 v3, v3, |v1|, s[18:19]
.LBB63_8:                               ;   in Loop: Header=BB63_4 Depth=1
	s_or_b64 exec, exec, s[2:3]
	v_add_u32_e32 v6, s14, v10
	v_cmp_gt_i64_e32 vcc, s[8:9], v[6:7]
	v_cmp_gt_u32_e64 s[2:3], s11, v6
	s_and_b64 s[18:19], s[2:3], vcc
	s_and_saveexec_b64 s[2:3], s[18:19]
	s_cbranch_execz .LBB63_10
; %bb.9:                                ;   in Loop: Header=BB63_4 Depth=1
	v_lshl_add_u64 v[8:9], v[6:7], 2, s[12:13]
	global_load_dword v1, v[8:9], off
	s_waitcnt vmcnt(0)
	v_cmp_u_f32_e32 vcc, v1, v1
	v_cmp_lt_f32_e64 s[18:19], v4, |v1|
	s_or_b64 s[18:19], vcc, s[18:19]
	s_nop 0
	v_cndmask_b32_e64 v4, v4, |v1|, s[18:19]
.LBB63_10:                              ;   in Loop: Header=BB63_4 Depth=1
	s_or_b64 exec, exec, s[2:3]
	v_add_u32_e32 v6, s14, v12
	v_cmp_gt_i64_e32 vcc, s[8:9], v[6:7]
	v_cmp_gt_u32_e64 s[2:3], s11, v6
	s_and_b64 s[18:19], s[2:3], vcc
	s_and_saveexec_b64 s[2:3], s[18:19]
	s_cbranch_execz .LBB63_3
; %bb.11:                               ;   in Loop: Header=BB63_4 Depth=1
	v_lshl_add_u64 v[8:9], v[6:7], 2, s[12:13]
	global_load_dword v1, v[8:9], off
	s_waitcnt vmcnt(0)
	v_cmp_u_f32_e32 vcc, v1, v1
	v_cmp_lt_f32_e64 s[18:19], v5, |v1|
	s_or_b64 s[18:19], vcc, s[18:19]
	s_nop 0
	v_cndmask_b32_e64 v5, v5, |v1|, s[18:19]
	s_branch .LBB63_3
.LBB63_12:
                                        ; implicit-def: $vgpr2_vgpr3_vgpr4_vgpr5
	s_branch .LBB63_15
.LBB63_13:
	v_mov_b32_e32 v2, 0
	v_mov_b32_e32 v3, v2
	;; [unrolled: 1-line block ×4, first 2 shown]
.LBB63_14:
	s_cbranch_execnz .LBB63_20
.LBB63_15:
	v_mov_b64_e32 v[4:5], 0x10000
	v_cmp_lt_i64_e32 vcc, s[8:9], v[4:5]
	s_and_b64 s[2:3], vcc, exec
	v_mov_b32_e32 v3, 0
	s_cselect_b32 s13, s9, 0
	s_cselect_b32 s12, s8, 0x10000
	v_lshlrev_b32_e32 v2, 2, v0
	v_cmp_gt_i64_e32 vcc, s[12:13], v[2:3]
	s_mov_b32 s17, 0
	v_mov_b32_e32 v2, v3
	v_mov_b32_e32 v4, v3
	;; [unrolled: 1-line block ×3, first 2 shown]
	s_and_saveexec_b64 s[14:15], vcc
	s_cbranch_execz .LBB63_19
; %bb.16:
	s_load_dword s2, s[0:1], 0xd4c
	v_lshlrev_b32_e32 v2, 4, v0
	v_mov_b32_e32 v1, v3
	s_mov_b32 s19, s17
	s_mov_b64 s[20:21], 0
	s_waitcnt lgkmcnt(0)
	s_and_b32 s16, s2, 0xffff
	s_add_u32 s2, s4, s6
	s_addc_u32 s3, s5, s7
	v_lshl_add_u64 v[4:5], s[2:3], 0, v[2:3]
	s_lshl_b32 s18, s16, 4
	v_lshl_add_u64 v[8:9], v[4:5], 0, 8
	v_mov_b64_e32 v[10:11], v[0:1]
	v_mov_b32_e32 v5, 0
	v_mov_b32_e32 v6, 0
	;; [unrolled: 1-line block ×3, first 2 shown]
.LBB63_17:                              ; =>This Inner Loop Header: Depth=1
	global_load_dwordx4 v[12:15], v[8:9], off offset:-8
	v_lshl_add_u64 v[10:11], v[10:11], 0, s[16:17]
	v_lshlrev_b64 v[16:17], 2, v[10:11]
	v_cmp_le_i64_e32 vcc, s[12:13], v[16:17]
	v_lshl_add_u64 v[8:9], v[8:9], 0, s[18:19]
	s_waitcnt vmcnt(0)
	v_cmp_u_f32_e64 s[2:3], v15, v15
	v_cmp_lt_f32_e64 s[24:25], v7, |v15|
	v_cmp_u_f32_e64 s[4:5], v14, v14
	v_cmp_lt_f32_e64 s[26:27], v6, |v14|
	s_or_b64 s[2:3], s[2:3], s[24:25]
	v_cmp_u_f32_e64 s[6:7], v13, v13
	v_cmp_u_f32_e64 s[8:9], v12, v12
	v_cmp_lt_f32_e64 s[28:29], v5, |v13|
	v_cmp_lt_f32_e64 s[30:31], v3, |v12|
	v_cndmask_b32_e64 v7, v7, |v15|, s[2:3]
	s_or_b64 s[2:3], s[4:5], s[26:27]
	s_or_b64 s[8:9], s[8:9], s[30:31]
	v_cndmask_b32_e64 v6, v6, |v14|, s[2:3]
	s_or_b64 s[2:3], s[6:7], s[28:29]
	v_cndmask_b32_e64 v5, v5, |v13|, s[2:3]
	s_or_b64 s[20:21], vcc, s[20:21]
	v_cndmask_b32_e64 v3, v3, |v12|, s[8:9]
	s_andn2_b64 exec, exec, s[20:21]
	s_cbranch_execnz .LBB63_17
; %bb.18:
	s_or_b64 exec, exec, s[20:21]
	v_mov_b32_e32 v4, v3
	v_mov_b64_e32 v[2:3], v[4:5]
	v_mov_b64_e32 v[4:5], v[6:7]
.LBB63_19:
	s_or_b64 exec, exec, s[14:15]
.LBB63_20:
	v_cmp_nge_f32_e32 vcc, 0, v2
	v_and_b32_e32 v8, 63, v0
	s_nop 0
	v_cndmask_b32_e32 v1, 0, v2, vcc
	v_cmp_u_f32_e32 vcc, v3, v3
	v_cmp_lt_f32_e64 s[2:3], v1, v3
	s_or_b64 vcc, vcc, s[2:3]
	v_cndmask_b32_e32 v1, v1, v3, vcc
	v_cmp_u_f32_e32 vcc, v4, v4
	v_cmp_lt_f32_e64 s[2:3], v1, v4
	s_or_b64 vcc, vcc, s[2:3]
	;; [unrolled: 4-line block ×3, first 2 shown]
	v_cndmask_b32_e32 v2, v1, v5, vcc
	v_mbcnt_lo_u32_b32 v1, -1, 0
	v_mbcnt_hi_u32_b32 v6, -1, v1
	v_mov_b32_e32 v1, 0x80
	v_lshl_or_b32 v1, v6, 2, v1
	ds_bpermute_b32 v3, v1, v2
	v_and_b32_e32 v9, 63, v6
	s_barrier
	s_waitcnt lgkmcnt(0)
	v_cmp_u_f32_e32 vcc, v3, v3
	v_cmp_lt_f32_e64 s[2:3], v2, v3
	s_or_b64 vcc, vcc, s[2:3]
	v_cndmask_b32_e32 v3, v2, v3, vcc
	v_cmp_gt_u32_e32 vcc, 48, v9
	s_nop 1
	v_cndmask_b32_e64 v2, 0, 16, vcc
	v_add_lshl_u32 v2, v2, v6, 2
	ds_bpermute_b32 v4, v2, v3
	s_waitcnt lgkmcnt(0)
	v_cmp_u_f32_e32 vcc, v4, v4
	v_cmp_lt_f32_e64 s[2:3], v3, v4
	s_or_b64 vcc, vcc, s[2:3]
	v_cndmask_b32_e32 v4, v3, v4, vcc
	v_cmp_gt_u32_e32 vcc, 56, v9
	s_nop 1
	v_cndmask_b32_e64 v3, 0, 8, vcc
	v_add_lshl_u32 v3, v3, v6, 2
	ds_bpermute_b32 v5, v3, v4
	;; [unrolled: 10-line block ×4, first 2 shown]
	s_waitcnt lgkmcnt(0)
	v_cmp_u_f32_e32 vcc, v10, v10
	v_cmp_lt_f32_e64 s[2:3], v7, v10
	s_or_b64 vcc, vcc, s[2:3]
	v_cndmask_b32_e32 v7, v7, v10, vcc
	v_cmp_ne_u32_e32 vcc, 63, v9
	s_nop 1
	v_addc_co_u32_e32 v6, vcc, 0, v6, vcc
	v_lshlrev_b32_e32 v6, 2, v6
	ds_bpermute_b32 v9, v6, v7
	v_cmp_eq_u32_e32 vcc, 0, v8
	s_and_saveexec_b64 s[4:5], vcc
	s_cbranch_execz .LBB63_22
; %bb.21:
	s_waitcnt lgkmcnt(0)
	v_cmp_u_f32_e32 vcc, v9, v9
	v_cmp_lt_f32_e64 s[2:3], v7, v9
	s_or_b64 vcc, vcc, s[2:3]
	v_lshrrev_b32_e32 v10, 4, v0
	v_cndmask_b32_e32 v7, v7, v9, vcc
	ds_write_b32 v10, v7
.LBB63_22:
	s_or_b64 exec, exec, s[4:5]
	s_waitcnt lgkmcnt(0)
	s_barrier
	s_load_dword s2, s[0:1], 0xd4c
	v_mov_b32_e32 v7, 0xff7fffff
	s_waitcnt lgkmcnt(0)
	s_bfe_u32 s2, s2, 0xa0006
	v_cmp_gt_u32_e32 vcc, s2, v0
	s_and_saveexec_b64 s[2:3], vcc
	s_cbranch_execnz .LBB63_26
; %bb.23:
	s_or_b64 exec, exec, s[2:3]
	v_cmp_gt_u32_e32 vcc, 64, v0
	s_and_saveexec_b64 s[4:5], vcc
	s_cbranch_execnz .LBB63_27
.LBB63_24:
	s_or_b64 exec, exec, s[4:5]
	v_cmp_eq_u32_e32 vcc, 0, v0
	s_and_saveexec_b64 s[2:3], vcc
	s_cbranch_execnz .LBB63_28
.LBB63_25:
	s_endpgm
.LBB63_26:
	v_lshlrev_b32_e32 v7, 2, v8
	ds_read_b32 v7, v7
	s_or_b64 exec, exec, s[2:3]
	v_cmp_gt_u32_e32 vcc, 64, v0
	s_and_saveexec_b64 s[4:5], vcc
	s_cbranch_execz .LBB63_24
.LBB63_27:
	s_waitcnt lgkmcnt(0)
	ds_bpermute_b32 v1, v1, v7
	s_waitcnt lgkmcnt(0)
	v_cmp_u_f32_e32 vcc, v1, v1
	v_cmp_lt_f32_e64 s[2:3], v7, v1
	s_or_b64 vcc, vcc, s[2:3]
	v_cndmask_b32_e32 v1, v7, v1, vcc
	ds_bpermute_b32 v2, v2, v1
	s_waitcnt lgkmcnt(0)
	v_cmp_u_f32_e32 vcc, v2, v2
	v_cmp_lt_f32_e64 s[2:3], v1, v2
	s_or_b64 vcc, vcc, s[2:3]
	v_cndmask_b32_e32 v1, v1, v2, vcc
	;; [unrolled: 6-line block ×6, first 2 shown]
	s_or_b64 exec, exec, s[4:5]
	v_cmp_eq_u32_e32 vcc, 0, v0
	s_and_saveexec_b64 s[2:3], vcc
	s_cbranch_execz .LBB63_25
.LBB63_28:
	s_load_dword s4, s[0:1], 0xd20
	s_load_dword s5, s[0:1], 0xd38
	s_load_dwordx2 s[2:3], s[0:1], 0xd30
	v_mov_b32_e32 v0, 0
	s_waitcnt lgkmcnt(0)
	s_add_i32 s0, s4, s22
	s_mul_i32 s0, s0, s5
	s_add_i32 s0, s0, s10
	s_ashr_i32 s1, s0, 31
	s_lshl_b64 s[0:1], s[0:1], 2
	s_add_u32 s0, s2, s0
	s_addc_u32 s1, s3, s1
	global_store_dword v0, v7, s[0:1]
	s_endpgm
	.section	.rodata,"a",@progbits
	.p2align	6, 0x0
	.amdhsa_kernel _ZN2at6native12_GLOBAL__N_125multi_tensor_apply_kernelINS1_18TensorListMetadataILi1EEENS0_13LpNormFunctorIfLNS0_8NormTypeE3EfLi1ELi1ELi0EEEJPfiEEEvT_T0_DpT1_
		.amdhsa_group_segment_fixed_size 2048
		.amdhsa_private_segment_fixed_size 0
		.amdhsa_kernarg_size 3648
		.amdhsa_user_sgpr_count 2
		.amdhsa_user_sgpr_dispatch_ptr 0
		.amdhsa_user_sgpr_queue_ptr 0
		.amdhsa_user_sgpr_kernarg_segment_ptr 1
		.amdhsa_user_sgpr_dispatch_id 0
		.amdhsa_user_sgpr_kernarg_preload_length 0
		.amdhsa_user_sgpr_kernarg_preload_offset 0
		.amdhsa_user_sgpr_private_segment_size 0
		.amdhsa_uses_dynamic_stack 0
		.amdhsa_enable_private_segment 0
		.amdhsa_system_sgpr_workgroup_id_x 1
		.amdhsa_system_sgpr_workgroup_id_y 0
		.amdhsa_system_sgpr_workgroup_id_z 0
		.amdhsa_system_sgpr_workgroup_info 0
		.amdhsa_system_vgpr_workitem_id 0
		.amdhsa_next_free_vgpr 18
		.amdhsa_next_free_sgpr 32
		.amdhsa_accum_offset 20
		.amdhsa_reserve_vcc 1
		.amdhsa_float_round_mode_32 0
		.amdhsa_float_round_mode_16_64 0
		.amdhsa_float_denorm_mode_32 3
		.amdhsa_float_denorm_mode_16_64 3
		.amdhsa_dx10_clamp 1
		.amdhsa_ieee_mode 1
		.amdhsa_fp16_overflow 0
		.amdhsa_tg_split 0
		.amdhsa_exception_fp_ieee_invalid_op 0
		.amdhsa_exception_fp_denorm_src 0
		.amdhsa_exception_fp_ieee_div_zero 0
		.amdhsa_exception_fp_ieee_overflow 0
		.amdhsa_exception_fp_ieee_underflow 0
		.amdhsa_exception_fp_ieee_inexact 0
		.amdhsa_exception_int_div_zero 0
	.end_amdhsa_kernel
	.section	.text._ZN2at6native12_GLOBAL__N_125multi_tensor_apply_kernelINS1_18TensorListMetadataILi1EEENS0_13LpNormFunctorIfLNS0_8NormTypeE3EfLi1ELi1ELi0EEEJPfiEEEvT_T0_DpT1_,"axG",@progbits,_ZN2at6native12_GLOBAL__N_125multi_tensor_apply_kernelINS1_18TensorListMetadataILi1EEENS0_13LpNormFunctorIfLNS0_8NormTypeE3EfLi1ELi1ELi0EEEJPfiEEEvT_T0_DpT1_,comdat
.Lfunc_end63:
	.size	_ZN2at6native12_GLOBAL__N_125multi_tensor_apply_kernelINS1_18TensorListMetadataILi1EEENS0_13LpNormFunctorIfLNS0_8NormTypeE3EfLi1ELi1ELi0EEEJPfiEEEvT_T0_DpT1_, .Lfunc_end63-_ZN2at6native12_GLOBAL__N_125multi_tensor_apply_kernelINS1_18TensorListMetadataILi1EEENS0_13LpNormFunctorIfLNS0_8NormTypeE3EfLi1ELi1ELi0EEEJPfiEEEvT_T0_DpT1_
                                        ; -- End function
	.set _ZN2at6native12_GLOBAL__N_125multi_tensor_apply_kernelINS1_18TensorListMetadataILi1EEENS0_13LpNormFunctorIfLNS0_8NormTypeE3EfLi1ELi1ELi0EEEJPfiEEEvT_T0_DpT1_.num_vgpr, 18
	.set _ZN2at6native12_GLOBAL__N_125multi_tensor_apply_kernelINS1_18TensorListMetadataILi1EEENS0_13LpNormFunctorIfLNS0_8NormTypeE3EfLi1ELi1ELi0EEEJPfiEEEvT_T0_DpT1_.num_agpr, 0
	.set _ZN2at6native12_GLOBAL__N_125multi_tensor_apply_kernelINS1_18TensorListMetadataILi1EEENS0_13LpNormFunctorIfLNS0_8NormTypeE3EfLi1ELi1ELi0EEEJPfiEEEvT_T0_DpT1_.numbered_sgpr, 32
	.set _ZN2at6native12_GLOBAL__N_125multi_tensor_apply_kernelINS1_18TensorListMetadataILi1EEENS0_13LpNormFunctorIfLNS0_8NormTypeE3EfLi1ELi1ELi0EEEJPfiEEEvT_T0_DpT1_.num_named_barrier, 0
	.set _ZN2at6native12_GLOBAL__N_125multi_tensor_apply_kernelINS1_18TensorListMetadataILi1EEENS0_13LpNormFunctorIfLNS0_8NormTypeE3EfLi1ELi1ELi0EEEJPfiEEEvT_T0_DpT1_.private_seg_size, 0
	.set _ZN2at6native12_GLOBAL__N_125multi_tensor_apply_kernelINS1_18TensorListMetadataILi1EEENS0_13LpNormFunctorIfLNS0_8NormTypeE3EfLi1ELi1ELi0EEEJPfiEEEvT_T0_DpT1_.uses_vcc, 1
	.set _ZN2at6native12_GLOBAL__N_125multi_tensor_apply_kernelINS1_18TensorListMetadataILi1EEENS0_13LpNormFunctorIfLNS0_8NormTypeE3EfLi1ELi1ELi0EEEJPfiEEEvT_T0_DpT1_.uses_flat_scratch, 0
	.set _ZN2at6native12_GLOBAL__N_125multi_tensor_apply_kernelINS1_18TensorListMetadataILi1EEENS0_13LpNormFunctorIfLNS0_8NormTypeE3EfLi1ELi1ELi0EEEJPfiEEEvT_T0_DpT1_.has_dyn_sized_stack, 0
	.set _ZN2at6native12_GLOBAL__N_125multi_tensor_apply_kernelINS1_18TensorListMetadataILi1EEENS0_13LpNormFunctorIfLNS0_8NormTypeE3EfLi1ELi1ELi0EEEJPfiEEEvT_T0_DpT1_.has_recursion, 0
	.set _ZN2at6native12_GLOBAL__N_125multi_tensor_apply_kernelINS1_18TensorListMetadataILi1EEENS0_13LpNormFunctorIfLNS0_8NormTypeE3EfLi1ELi1ELi0EEEJPfiEEEvT_T0_DpT1_.has_indirect_call, 0
	.section	.AMDGPU.csdata,"",@progbits
; Kernel info:
; codeLenInByte = 1812
; TotalNumSgprs: 38
; NumVgprs: 18
; NumAgprs: 0
; TotalNumVgprs: 18
; ScratchSize: 0
; MemoryBound: 0
; FloatMode: 240
; IeeeMode: 1
; LDSByteSize: 2048 bytes/workgroup (compile time only)
; SGPRBlocks: 4
; VGPRBlocks: 2
; NumSGPRsForWavesPerEU: 38
; NumVGPRsForWavesPerEU: 18
; AccumOffset: 20
; Occupancy: 8
; WaveLimiterHint : 0
; COMPUTE_PGM_RSRC2:SCRATCH_EN: 0
; COMPUTE_PGM_RSRC2:USER_SGPR: 2
; COMPUTE_PGM_RSRC2:TRAP_HANDLER: 0
; COMPUTE_PGM_RSRC2:TGID_X_EN: 1
; COMPUTE_PGM_RSRC2:TGID_Y_EN: 0
; COMPUTE_PGM_RSRC2:TGID_Z_EN: 0
; COMPUTE_PGM_RSRC2:TIDIG_COMP_CNT: 0
; COMPUTE_PGM_RSRC3_GFX90A:ACCUM_OFFSET: 4
; COMPUTE_PGM_RSRC3_GFX90A:TG_SPLIT: 0
	.section	.text._ZN2at6native14lpnorm_cleanupIfLNS0_8NormTypeE0EfLb1EfEEvPKT3_NS0_19TensorListAddressesEi,"axG",@progbits,_ZN2at6native14lpnorm_cleanupIfLNS0_8NormTypeE0EfLb1EfEEvPKT3_NS0_19TensorListAddressesEi,comdat
	.protected	_ZN2at6native14lpnorm_cleanupIfLNS0_8NormTypeE0EfLb1EfEEvPKT3_NS0_19TensorListAddressesEi ; -- Begin function _ZN2at6native14lpnorm_cleanupIfLNS0_8NormTypeE0EfLb1EfEEvPKT3_NS0_19TensorListAddressesEi
	.globl	_ZN2at6native14lpnorm_cleanupIfLNS0_8NormTypeE0EfLb1EfEEvPKT3_NS0_19TensorListAddressesEi
	.p2align	8
	.type	_ZN2at6native14lpnorm_cleanupIfLNS0_8NormTypeE0EfLb1EfEEvPKT3_NS0_19TensorListAddressesEi,@function
_ZN2at6native14lpnorm_cleanupIfLNS0_8NormTypeE0EfLb1EfEEvPKT3_NS0_19TensorListAddressesEi: ; @_ZN2at6native14lpnorm_cleanupIfLNS0_8NormTypeE0EfLb1EfEEvPKT3_NS0_19TensorListAddressesEi
; %bb.0:
	s_load_dword s6, s[0:1], 0xc88
	v_mov_b32_e32 v1, 0
	s_waitcnt lgkmcnt(0)
	v_cmp_gt_u32_e32 vcc, s6, v0
	s_and_saveexec_b64 s[4:5], vcc
	s_cbranch_execz .LBB64_4
; %bb.1:
	s_load_dwordx2 s[12:13], s[0:1], 0x0
	s_load_dword s3, s[0:1], 0xc9c
	s_mul_i32 s8, s6, s2
	s_mov_b32 s9, 0
	s_ashr_i32 s7, s6, 31
	s_lshl_b64 s[14:15], s[8:9], 2
	s_waitcnt lgkmcnt(0)
	s_and_b32 s10, s3, 0xffff
	v_mov_b32_e32 v1, 0
	s_add_u32 s12, s12, s14
	v_lshlrev_b32_e32 v2, 2, v0
	v_mov_b32_e32 v3, v1
	s_addc_u32 s13, s13, s15
	s_mov_b32 s11, s9
	v_lshl_add_u64 v[2:3], s[12:13], 0, v[2:3]
	s_lshl_b32 s8, s10, 2
	s_mov_b64 s[12:13], 0
	v_mov_b64_e32 v[4:5], v[0:1]
.LBB64_2:                               ; =>This Inner Loop Header: Depth=1
	global_load_dword v6, v[2:3], off
	v_lshl_add_u64 v[4:5], v[4:5], 0, s[10:11]
	v_cmp_le_u64_e32 vcc, s[6:7], v[4:5]
	v_lshl_add_u64 v[2:3], v[2:3], 0, s[8:9]
	s_or_b64 s[12:13], vcc, s[12:13]
	s_waitcnt vmcnt(0)
	v_add_f32_e32 v1, v1, v6
	s_andn2_b64 exec, exec, s[12:13]
	s_cbranch_execnz .LBB64_2
; %bb.3:
	s_or_b64 exec, exec, s[12:13]
.LBB64_4:
	s_or_b64 exec, exec, s[4:5]
	v_mbcnt_lo_u32_b32 v2, -1, 0
	v_mbcnt_hi_u32_b32 v6, -1, v2
	v_mov_b32_e32 v2, 0x80
	v_lshl_or_b32 v2, v6, 2, v2
	ds_bpermute_b32 v3, v2, v1
	v_and_b32_e32 v7, 63, v6
	v_cmp_gt_u32_e32 vcc, 48, v7
	s_waitcnt lgkmcnt(0)
	s_barrier
	v_cndmask_b32_e64 v4, 0, 16, vcc
	v_add_f32_e32 v5, v1, v3
	v_add_lshl_u32 v1, v4, v6, 2
	ds_bpermute_b32 v4, v1, v5
	v_cmp_gt_u32_e32 vcc, 56, v7
	s_waitcnt lgkmcnt(0)
	v_add_f32_e32 v5, v5, v4
	v_cndmask_b32_e64 v3, 0, 8, vcc
	v_add_lshl_u32 v3, v3, v6, 2
	ds_bpermute_b32 v8, v3, v5
	v_cmp_gt_u32_e32 vcc, 60, v7
	s_waitcnt lgkmcnt(0)
	v_add_f32_e32 v8, v5, v8
	v_cndmask_b32_e64 v4, 0, 4, vcc
	;; [unrolled: 6-line block ×3, first 2 shown]
	v_add_lshl_u32 v5, v5, v6, 2
	ds_bpermute_b32 v10, v5, v9
	v_cmp_ne_u32_e32 vcc, 63, v7
	v_and_b32_e32 v8, 63, v0
	s_waitcnt lgkmcnt(0)
	v_add_f32_e32 v7, v9, v10
	v_addc_co_u32_e32 v6, vcc, 0, v6, vcc
	v_lshlrev_b32_e32 v6, 2, v6
	ds_bpermute_b32 v9, v6, v7
	v_cmp_eq_u32_e32 vcc, 0, v8
	s_and_saveexec_b64 s[4:5], vcc
	s_cbranch_execz .LBB64_6
; %bb.5:
	s_waitcnt lgkmcnt(0)
	v_add_f32_e32 v7, v7, v9
	v_lshrrev_b32_e32 v9, 4, v0
	ds_write_b32 v9, v7
.LBB64_6:
	s_or_b64 exec, exec, s[4:5]
	s_waitcnt lgkmcnt(0)
	s_barrier
	s_load_dword s3, s[0:1], 0xc9c
	v_mov_b32_e32 v7, 0
	s_waitcnt lgkmcnt(0)
	s_bfe_u32 s3, s3, 0xa0006
	v_cmp_gt_u32_e32 vcc, s3, v0
	s_and_saveexec_b64 s[4:5], vcc
; %bb.7:
	v_lshlrev_b32_e32 v7, 2, v8
	ds_read_b32 v7, v7
; %bb.8:
	s_or_b64 exec, exec, s[4:5]
	v_cmp_gt_u32_e32 vcc, 64, v0
	s_and_saveexec_b64 s[4:5], vcc
	s_cbranch_execz .LBB64_10
; %bb.9:
	s_waitcnt lgkmcnt(0)
	ds_bpermute_b32 v2, v2, v7
	s_waitcnt lgkmcnt(0)
	v_add_f32_e32 v2, v7, v2
	ds_bpermute_b32 v1, v1, v2
	s_waitcnt lgkmcnt(0)
	v_add_f32_e32 v1, v2, v1
	;; [unrolled: 3-line block ×6, first 2 shown]
.LBB64_10:
	s_or_b64 exec, exec, s[4:5]
	s_mov_b32 s3, 0
	v_cmp_eq_u32_e32 vcc, 0, v0
	s_and_saveexec_b64 s[4:5], vcc
	s_cbranch_execz .LBB64_12
; %bb.11:
	s_lshl_b64 s[2:3], s[2:3], 3
	s_add_u32 s0, s0, s2
	s_addc_u32 s1, s1, s3
	s_load_dwordx2 s[0:1], s[0:1], 0x8
	v_mov_b32_e32 v0, 0
	s_waitcnt lgkmcnt(0)
	global_store_dword v0, v7, s[0:1]
.LBB64_12:
	s_endpgm
	.section	.rodata,"a",@progbits
	.p2align	6, 0x0
	.amdhsa_kernel _ZN2at6native14lpnorm_cleanupIfLNS0_8NormTypeE0EfLb1EfEEvPKT3_NS0_19TensorListAddressesEi
		.amdhsa_group_segment_fixed_size 2048
		.amdhsa_private_segment_fixed_size 0
		.amdhsa_kernarg_size 3472
		.amdhsa_user_sgpr_count 2
		.amdhsa_user_sgpr_dispatch_ptr 0
		.amdhsa_user_sgpr_queue_ptr 0
		.amdhsa_user_sgpr_kernarg_segment_ptr 1
		.amdhsa_user_sgpr_dispatch_id 0
		.amdhsa_user_sgpr_kernarg_preload_length 0
		.amdhsa_user_sgpr_kernarg_preload_offset 0
		.amdhsa_user_sgpr_private_segment_size 0
		.amdhsa_uses_dynamic_stack 0
		.amdhsa_enable_private_segment 0
		.amdhsa_system_sgpr_workgroup_id_x 1
		.amdhsa_system_sgpr_workgroup_id_y 0
		.amdhsa_system_sgpr_workgroup_id_z 0
		.amdhsa_system_sgpr_workgroup_info 0
		.amdhsa_system_vgpr_workitem_id 0
		.amdhsa_next_free_vgpr 11
		.amdhsa_next_free_sgpr 16
		.amdhsa_accum_offset 12
		.amdhsa_reserve_vcc 1
		.amdhsa_float_round_mode_32 0
		.amdhsa_float_round_mode_16_64 0
		.amdhsa_float_denorm_mode_32 3
		.amdhsa_float_denorm_mode_16_64 3
		.amdhsa_dx10_clamp 1
		.amdhsa_ieee_mode 1
		.amdhsa_fp16_overflow 0
		.amdhsa_tg_split 0
		.amdhsa_exception_fp_ieee_invalid_op 0
		.amdhsa_exception_fp_denorm_src 0
		.amdhsa_exception_fp_ieee_div_zero 0
		.amdhsa_exception_fp_ieee_overflow 0
		.amdhsa_exception_fp_ieee_underflow 0
		.amdhsa_exception_fp_ieee_inexact 0
		.amdhsa_exception_int_div_zero 0
	.end_amdhsa_kernel
	.section	.text._ZN2at6native14lpnorm_cleanupIfLNS0_8NormTypeE0EfLb1EfEEvPKT3_NS0_19TensorListAddressesEi,"axG",@progbits,_ZN2at6native14lpnorm_cleanupIfLNS0_8NormTypeE0EfLb1EfEEvPKT3_NS0_19TensorListAddressesEi,comdat
.Lfunc_end64:
	.size	_ZN2at6native14lpnorm_cleanupIfLNS0_8NormTypeE0EfLb1EfEEvPKT3_NS0_19TensorListAddressesEi, .Lfunc_end64-_ZN2at6native14lpnorm_cleanupIfLNS0_8NormTypeE0EfLb1EfEEvPKT3_NS0_19TensorListAddressesEi
                                        ; -- End function
	.set _ZN2at6native14lpnorm_cleanupIfLNS0_8NormTypeE0EfLb1EfEEvPKT3_NS0_19TensorListAddressesEi.num_vgpr, 11
	.set _ZN2at6native14lpnorm_cleanupIfLNS0_8NormTypeE0EfLb1EfEEvPKT3_NS0_19TensorListAddressesEi.num_agpr, 0
	.set _ZN2at6native14lpnorm_cleanupIfLNS0_8NormTypeE0EfLb1EfEEvPKT3_NS0_19TensorListAddressesEi.numbered_sgpr, 16
	.set _ZN2at6native14lpnorm_cleanupIfLNS0_8NormTypeE0EfLb1EfEEvPKT3_NS0_19TensorListAddressesEi.num_named_barrier, 0
	.set _ZN2at6native14lpnorm_cleanupIfLNS0_8NormTypeE0EfLb1EfEEvPKT3_NS0_19TensorListAddressesEi.private_seg_size, 0
	.set _ZN2at6native14lpnorm_cleanupIfLNS0_8NormTypeE0EfLb1EfEEvPKT3_NS0_19TensorListAddressesEi.uses_vcc, 1
	.set _ZN2at6native14lpnorm_cleanupIfLNS0_8NormTypeE0EfLb1EfEEvPKT3_NS0_19TensorListAddressesEi.uses_flat_scratch, 0
	.set _ZN2at6native14lpnorm_cleanupIfLNS0_8NormTypeE0EfLb1EfEEvPKT3_NS0_19TensorListAddressesEi.has_dyn_sized_stack, 0
	.set _ZN2at6native14lpnorm_cleanupIfLNS0_8NormTypeE0EfLb1EfEEvPKT3_NS0_19TensorListAddressesEi.has_recursion, 0
	.set _ZN2at6native14lpnorm_cleanupIfLNS0_8NormTypeE0EfLb1EfEEvPKT3_NS0_19TensorListAddressesEi.has_indirect_call, 0
	.section	.AMDGPU.csdata,"",@progbits
; Kernel info:
; codeLenInByte = 660
; TotalNumSgprs: 22
; NumVgprs: 11
; NumAgprs: 0
; TotalNumVgprs: 11
; ScratchSize: 0
; MemoryBound: 0
; FloatMode: 240
; IeeeMode: 1
; LDSByteSize: 2048 bytes/workgroup (compile time only)
; SGPRBlocks: 2
; VGPRBlocks: 1
; NumSGPRsForWavesPerEU: 22
; NumVGPRsForWavesPerEU: 11
; AccumOffset: 12
; Occupancy: 8
; WaveLimiterHint : 0
; COMPUTE_PGM_RSRC2:SCRATCH_EN: 0
; COMPUTE_PGM_RSRC2:USER_SGPR: 2
; COMPUTE_PGM_RSRC2:TRAP_HANDLER: 0
; COMPUTE_PGM_RSRC2:TGID_X_EN: 1
; COMPUTE_PGM_RSRC2:TGID_Y_EN: 0
; COMPUTE_PGM_RSRC2:TGID_Z_EN: 0
; COMPUTE_PGM_RSRC2:TIDIG_COMP_CNT: 0
; COMPUTE_PGM_RSRC3_GFX90A:ACCUM_OFFSET: 2
; COMPUTE_PGM_RSRC3_GFX90A:TG_SPLIT: 0
	.section	.text._ZN2at6native14lpnorm_cleanupIfLNS0_8NormTypeE1EfLb1EfEEvPKT3_NS0_19TensorListAddressesEi,"axG",@progbits,_ZN2at6native14lpnorm_cleanupIfLNS0_8NormTypeE1EfLb1EfEEvPKT3_NS0_19TensorListAddressesEi,comdat
	.protected	_ZN2at6native14lpnorm_cleanupIfLNS0_8NormTypeE1EfLb1EfEEvPKT3_NS0_19TensorListAddressesEi ; -- Begin function _ZN2at6native14lpnorm_cleanupIfLNS0_8NormTypeE1EfLb1EfEEvPKT3_NS0_19TensorListAddressesEi
	.globl	_ZN2at6native14lpnorm_cleanupIfLNS0_8NormTypeE1EfLb1EfEEvPKT3_NS0_19TensorListAddressesEi
	.p2align	8
	.type	_ZN2at6native14lpnorm_cleanupIfLNS0_8NormTypeE1EfLb1EfEEvPKT3_NS0_19TensorListAddressesEi,@function
_ZN2at6native14lpnorm_cleanupIfLNS0_8NormTypeE1EfLb1EfEEvPKT3_NS0_19TensorListAddressesEi: ; @_ZN2at6native14lpnorm_cleanupIfLNS0_8NormTypeE1EfLb1EfEEvPKT3_NS0_19TensorListAddressesEi
; %bb.0:
	s_load_dword s6, s[0:1], 0xc88
	v_mov_b32_e32 v1, 0
	s_waitcnt lgkmcnt(0)
	v_cmp_gt_u32_e32 vcc, s6, v0
	s_and_saveexec_b64 s[4:5], vcc
	s_cbranch_execz .LBB65_4
; %bb.1:
	s_load_dwordx2 s[12:13], s[0:1], 0x0
	s_load_dword s3, s[0:1], 0xc9c
	s_mul_i32 s8, s6, s2
	s_mov_b32 s9, 0
	s_ashr_i32 s7, s6, 31
	s_lshl_b64 s[14:15], s[8:9], 2
	s_waitcnt lgkmcnt(0)
	s_and_b32 s10, s3, 0xffff
	v_mov_b32_e32 v1, 0
	s_add_u32 s12, s12, s14
	v_lshlrev_b32_e32 v2, 2, v0
	v_mov_b32_e32 v3, v1
	s_addc_u32 s13, s13, s15
	s_mov_b32 s11, s9
	v_lshl_add_u64 v[2:3], s[12:13], 0, v[2:3]
	s_lshl_b32 s8, s10, 2
	s_mov_b64 s[12:13], 0
	v_mov_b64_e32 v[4:5], v[0:1]
.LBB65_2:                               ; =>This Inner Loop Header: Depth=1
	global_load_dword v6, v[2:3], off
	v_lshl_add_u64 v[4:5], v[4:5], 0, s[10:11]
	v_cmp_le_u64_e32 vcc, s[6:7], v[4:5]
	v_lshl_add_u64 v[2:3], v[2:3], 0, s[8:9]
	s_or_b64 s[12:13], vcc, s[12:13]
	s_waitcnt vmcnt(0)
	v_add_f32_e32 v1, v1, v6
	s_andn2_b64 exec, exec, s[12:13]
	s_cbranch_execnz .LBB65_2
; %bb.3:
	s_or_b64 exec, exec, s[12:13]
.LBB65_4:
	s_or_b64 exec, exec, s[4:5]
	v_mbcnt_lo_u32_b32 v2, -1, 0
	v_mbcnt_hi_u32_b32 v6, -1, v2
	v_mov_b32_e32 v2, 0x80
	v_lshl_or_b32 v2, v6, 2, v2
	ds_bpermute_b32 v3, v2, v1
	v_and_b32_e32 v7, 63, v6
	v_cmp_gt_u32_e32 vcc, 48, v7
	s_waitcnt lgkmcnt(0)
	s_barrier
	v_cndmask_b32_e64 v4, 0, 16, vcc
	v_add_f32_e32 v5, v1, v3
	v_add_lshl_u32 v1, v4, v6, 2
	ds_bpermute_b32 v4, v1, v5
	v_cmp_gt_u32_e32 vcc, 56, v7
	s_waitcnt lgkmcnt(0)
	v_add_f32_e32 v5, v5, v4
	v_cndmask_b32_e64 v3, 0, 8, vcc
	v_add_lshl_u32 v3, v3, v6, 2
	ds_bpermute_b32 v8, v3, v5
	v_cmp_gt_u32_e32 vcc, 60, v7
	s_waitcnt lgkmcnt(0)
	v_add_f32_e32 v8, v5, v8
	v_cndmask_b32_e64 v4, 0, 4, vcc
	v_add_lshl_u32 v4, v4, v6, 2
	ds_bpermute_b32 v9, v4, v8
	v_cmp_gt_u32_e32 vcc, 62, v7
	s_waitcnt lgkmcnt(0)
	v_add_f32_e32 v9, v8, v9
	v_cndmask_b32_e64 v5, 0, 2, vcc
	v_add_lshl_u32 v5, v5, v6, 2
	ds_bpermute_b32 v10, v5, v9
	v_cmp_ne_u32_e32 vcc, 63, v7
	v_and_b32_e32 v8, 63, v0
	s_waitcnt lgkmcnt(0)
	v_add_f32_e32 v7, v9, v10
	v_addc_co_u32_e32 v6, vcc, 0, v6, vcc
	v_lshlrev_b32_e32 v6, 2, v6
	ds_bpermute_b32 v9, v6, v7
	v_cmp_eq_u32_e32 vcc, 0, v8
	s_and_saveexec_b64 s[4:5], vcc
	s_cbranch_execz .LBB65_6
; %bb.5:
	s_waitcnt lgkmcnt(0)
	v_add_f32_e32 v7, v7, v9
	v_lshrrev_b32_e32 v9, 4, v0
	ds_write_b32 v9, v7
.LBB65_6:
	s_or_b64 exec, exec, s[4:5]
	s_waitcnt lgkmcnt(0)
	s_barrier
	s_load_dword s3, s[0:1], 0xc9c
	v_mov_b32_e32 v7, 0
	s_waitcnt lgkmcnt(0)
	s_bfe_u32 s3, s3, 0xa0006
	v_cmp_gt_u32_e32 vcc, s3, v0
	s_and_saveexec_b64 s[4:5], vcc
; %bb.7:
	v_lshlrev_b32_e32 v7, 2, v8
	ds_read_b32 v7, v7
; %bb.8:
	s_or_b64 exec, exec, s[4:5]
	v_cmp_gt_u32_e32 vcc, 64, v0
	s_and_saveexec_b64 s[4:5], vcc
	s_cbranch_execz .LBB65_10
; %bb.9:
	s_waitcnt lgkmcnt(0)
	ds_bpermute_b32 v2, v2, v7
	s_waitcnt lgkmcnt(0)
	v_add_f32_e32 v2, v7, v2
	ds_bpermute_b32 v1, v1, v2
	s_waitcnt lgkmcnt(0)
	v_add_f32_e32 v1, v2, v1
	;; [unrolled: 3-line block ×6, first 2 shown]
.LBB65_10:
	s_or_b64 exec, exec, s[4:5]
	s_mov_b32 s3, 0
	v_cmp_eq_u32_e32 vcc, 0, v0
	s_and_saveexec_b64 s[4:5], vcc
	s_cbranch_execz .LBB65_12
; %bb.11:
	s_lshl_b64 s[2:3], s[2:3], 3
	s_add_u32 s0, s0, s2
	s_addc_u32 s1, s1, s3
	s_load_dwordx2 s[0:1], s[0:1], 0x8
	v_mov_b32_e32 v0, 0
	s_waitcnt lgkmcnt(0)
	global_store_dword v0, v7, s[0:1]
.LBB65_12:
	s_endpgm
	.section	.rodata,"a",@progbits
	.p2align	6, 0x0
	.amdhsa_kernel _ZN2at6native14lpnorm_cleanupIfLNS0_8NormTypeE1EfLb1EfEEvPKT3_NS0_19TensorListAddressesEi
		.amdhsa_group_segment_fixed_size 2048
		.amdhsa_private_segment_fixed_size 0
		.amdhsa_kernarg_size 3472
		.amdhsa_user_sgpr_count 2
		.amdhsa_user_sgpr_dispatch_ptr 0
		.amdhsa_user_sgpr_queue_ptr 0
		.amdhsa_user_sgpr_kernarg_segment_ptr 1
		.amdhsa_user_sgpr_dispatch_id 0
		.amdhsa_user_sgpr_kernarg_preload_length 0
		.amdhsa_user_sgpr_kernarg_preload_offset 0
		.amdhsa_user_sgpr_private_segment_size 0
		.amdhsa_uses_dynamic_stack 0
		.amdhsa_enable_private_segment 0
		.amdhsa_system_sgpr_workgroup_id_x 1
		.amdhsa_system_sgpr_workgroup_id_y 0
		.amdhsa_system_sgpr_workgroup_id_z 0
		.amdhsa_system_sgpr_workgroup_info 0
		.amdhsa_system_vgpr_workitem_id 0
		.amdhsa_next_free_vgpr 11
		.amdhsa_next_free_sgpr 16
		.amdhsa_accum_offset 12
		.amdhsa_reserve_vcc 1
		.amdhsa_float_round_mode_32 0
		.amdhsa_float_round_mode_16_64 0
		.amdhsa_float_denorm_mode_32 3
		.amdhsa_float_denorm_mode_16_64 3
		.amdhsa_dx10_clamp 1
		.amdhsa_ieee_mode 1
		.amdhsa_fp16_overflow 0
		.amdhsa_tg_split 0
		.amdhsa_exception_fp_ieee_invalid_op 0
		.amdhsa_exception_fp_denorm_src 0
		.amdhsa_exception_fp_ieee_div_zero 0
		.amdhsa_exception_fp_ieee_overflow 0
		.amdhsa_exception_fp_ieee_underflow 0
		.amdhsa_exception_fp_ieee_inexact 0
		.amdhsa_exception_int_div_zero 0
	.end_amdhsa_kernel
	.section	.text._ZN2at6native14lpnorm_cleanupIfLNS0_8NormTypeE1EfLb1EfEEvPKT3_NS0_19TensorListAddressesEi,"axG",@progbits,_ZN2at6native14lpnorm_cleanupIfLNS0_8NormTypeE1EfLb1EfEEvPKT3_NS0_19TensorListAddressesEi,comdat
.Lfunc_end65:
	.size	_ZN2at6native14lpnorm_cleanupIfLNS0_8NormTypeE1EfLb1EfEEvPKT3_NS0_19TensorListAddressesEi, .Lfunc_end65-_ZN2at6native14lpnorm_cleanupIfLNS0_8NormTypeE1EfLb1EfEEvPKT3_NS0_19TensorListAddressesEi
                                        ; -- End function
	.set _ZN2at6native14lpnorm_cleanupIfLNS0_8NormTypeE1EfLb1EfEEvPKT3_NS0_19TensorListAddressesEi.num_vgpr, 11
	.set _ZN2at6native14lpnorm_cleanupIfLNS0_8NormTypeE1EfLb1EfEEvPKT3_NS0_19TensorListAddressesEi.num_agpr, 0
	.set _ZN2at6native14lpnorm_cleanupIfLNS0_8NormTypeE1EfLb1EfEEvPKT3_NS0_19TensorListAddressesEi.numbered_sgpr, 16
	.set _ZN2at6native14lpnorm_cleanupIfLNS0_8NormTypeE1EfLb1EfEEvPKT3_NS0_19TensorListAddressesEi.num_named_barrier, 0
	.set _ZN2at6native14lpnorm_cleanupIfLNS0_8NormTypeE1EfLb1EfEEvPKT3_NS0_19TensorListAddressesEi.private_seg_size, 0
	.set _ZN2at6native14lpnorm_cleanupIfLNS0_8NormTypeE1EfLb1EfEEvPKT3_NS0_19TensorListAddressesEi.uses_vcc, 1
	.set _ZN2at6native14lpnorm_cleanupIfLNS0_8NormTypeE1EfLb1EfEEvPKT3_NS0_19TensorListAddressesEi.uses_flat_scratch, 0
	.set _ZN2at6native14lpnorm_cleanupIfLNS0_8NormTypeE1EfLb1EfEEvPKT3_NS0_19TensorListAddressesEi.has_dyn_sized_stack, 0
	.set _ZN2at6native14lpnorm_cleanupIfLNS0_8NormTypeE1EfLb1EfEEvPKT3_NS0_19TensorListAddressesEi.has_recursion, 0
	.set _ZN2at6native14lpnorm_cleanupIfLNS0_8NormTypeE1EfLb1EfEEvPKT3_NS0_19TensorListAddressesEi.has_indirect_call, 0
	.section	.AMDGPU.csdata,"",@progbits
; Kernel info:
; codeLenInByte = 660
; TotalNumSgprs: 22
; NumVgprs: 11
; NumAgprs: 0
; TotalNumVgprs: 11
; ScratchSize: 0
; MemoryBound: 0
; FloatMode: 240
; IeeeMode: 1
; LDSByteSize: 2048 bytes/workgroup (compile time only)
; SGPRBlocks: 2
; VGPRBlocks: 1
; NumSGPRsForWavesPerEU: 22
; NumVGPRsForWavesPerEU: 11
; AccumOffset: 12
; Occupancy: 8
; WaveLimiterHint : 0
; COMPUTE_PGM_RSRC2:SCRATCH_EN: 0
; COMPUTE_PGM_RSRC2:USER_SGPR: 2
; COMPUTE_PGM_RSRC2:TRAP_HANDLER: 0
; COMPUTE_PGM_RSRC2:TGID_X_EN: 1
; COMPUTE_PGM_RSRC2:TGID_Y_EN: 0
; COMPUTE_PGM_RSRC2:TGID_Z_EN: 0
; COMPUTE_PGM_RSRC2:TIDIG_COMP_CNT: 0
; COMPUTE_PGM_RSRC3_GFX90A:ACCUM_OFFSET: 2
; COMPUTE_PGM_RSRC3_GFX90A:TG_SPLIT: 0
	.section	.text._ZN2at6native14lpnorm_cleanupIfLNS0_8NormTypeE2EfLb1EfEEvPKT3_NS0_19TensorListAddressesEi,"axG",@progbits,_ZN2at6native14lpnorm_cleanupIfLNS0_8NormTypeE2EfLb1EfEEvPKT3_NS0_19TensorListAddressesEi,comdat
	.protected	_ZN2at6native14lpnorm_cleanupIfLNS0_8NormTypeE2EfLb1EfEEvPKT3_NS0_19TensorListAddressesEi ; -- Begin function _ZN2at6native14lpnorm_cleanupIfLNS0_8NormTypeE2EfLb1EfEEvPKT3_NS0_19TensorListAddressesEi
	.globl	_ZN2at6native14lpnorm_cleanupIfLNS0_8NormTypeE2EfLb1EfEEvPKT3_NS0_19TensorListAddressesEi
	.p2align	8
	.type	_ZN2at6native14lpnorm_cleanupIfLNS0_8NormTypeE2EfLb1EfEEvPKT3_NS0_19TensorListAddressesEi,@function
_ZN2at6native14lpnorm_cleanupIfLNS0_8NormTypeE2EfLb1EfEEvPKT3_NS0_19TensorListAddressesEi: ; @_ZN2at6native14lpnorm_cleanupIfLNS0_8NormTypeE2EfLb1EfEEvPKT3_NS0_19TensorListAddressesEi
; %bb.0:
	s_load_dword s6, s[0:1], 0xc88
	v_mov_b32_e32 v1, 0
	s_waitcnt lgkmcnt(0)
	v_cmp_gt_u32_e32 vcc, s6, v0
	s_and_saveexec_b64 s[4:5], vcc
	s_cbranch_execz .LBB66_4
; %bb.1:
	s_load_dwordx2 s[12:13], s[0:1], 0x0
	s_load_dword s3, s[0:1], 0xc9c
	s_mul_i32 s8, s6, s2
	s_mov_b32 s9, 0
	s_ashr_i32 s7, s6, 31
	s_lshl_b64 s[14:15], s[8:9], 2
	s_waitcnt lgkmcnt(0)
	s_and_b32 s10, s3, 0xffff
	v_mov_b32_e32 v1, 0
	s_add_u32 s12, s12, s14
	v_lshlrev_b32_e32 v2, 2, v0
	v_mov_b32_e32 v3, v1
	s_addc_u32 s13, s13, s15
	s_mov_b32 s11, s9
	v_lshl_add_u64 v[2:3], s[12:13], 0, v[2:3]
	s_lshl_b32 s8, s10, 2
	s_mov_b64 s[12:13], 0
	v_mov_b64_e32 v[4:5], v[0:1]
.LBB66_2:                               ; =>This Inner Loop Header: Depth=1
	global_load_dword v6, v[2:3], off
	v_lshl_add_u64 v[4:5], v[4:5], 0, s[10:11]
	v_cmp_le_u64_e32 vcc, s[6:7], v[4:5]
	v_lshl_add_u64 v[2:3], v[2:3], 0, s[8:9]
	s_or_b64 s[12:13], vcc, s[12:13]
	s_waitcnt vmcnt(0)
	v_add_f32_e32 v1, v1, v6
	s_andn2_b64 exec, exec, s[12:13]
	s_cbranch_execnz .LBB66_2
; %bb.3:
	s_or_b64 exec, exec, s[12:13]
.LBB66_4:
	s_or_b64 exec, exec, s[4:5]
	v_mbcnt_lo_u32_b32 v2, -1, 0
	v_mbcnt_hi_u32_b32 v6, -1, v2
	v_mov_b32_e32 v2, 0x80
	v_lshl_or_b32 v2, v6, 2, v2
	ds_bpermute_b32 v3, v2, v1
	v_and_b32_e32 v7, 63, v6
	v_cmp_gt_u32_e32 vcc, 48, v7
	s_waitcnt lgkmcnt(0)
	s_barrier
	v_cndmask_b32_e64 v4, 0, 16, vcc
	v_add_f32_e32 v5, v1, v3
	v_add_lshl_u32 v1, v4, v6, 2
	ds_bpermute_b32 v4, v1, v5
	v_cmp_gt_u32_e32 vcc, 56, v7
	s_waitcnt lgkmcnt(0)
	v_add_f32_e32 v5, v5, v4
	v_cndmask_b32_e64 v3, 0, 8, vcc
	v_add_lshl_u32 v3, v3, v6, 2
	ds_bpermute_b32 v8, v3, v5
	v_cmp_gt_u32_e32 vcc, 60, v7
	s_waitcnt lgkmcnt(0)
	v_add_f32_e32 v8, v5, v8
	v_cndmask_b32_e64 v4, 0, 4, vcc
	;; [unrolled: 6-line block ×3, first 2 shown]
	v_add_lshl_u32 v5, v5, v6, 2
	ds_bpermute_b32 v10, v5, v9
	v_cmp_ne_u32_e32 vcc, 63, v7
	v_and_b32_e32 v8, 63, v0
	s_waitcnt lgkmcnt(0)
	v_add_f32_e32 v7, v9, v10
	v_addc_co_u32_e32 v6, vcc, 0, v6, vcc
	v_lshlrev_b32_e32 v6, 2, v6
	ds_bpermute_b32 v9, v6, v7
	v_cmp_eq_u32_e32 vcc, 0, v8
	s_and_saveexec_b64 s[4:5], vcc
	s_cbranch_execz .LBB66_6
; %bb.5:
	s_waitcnt lgkmcnt(0)
	v_add_f32_e32 v7, v7, v9
	v_lshrrev_b32_e32 v9, 4, v0
	ds_write_b32 v9, v7
.LBB66_6:
	s_or_b64 exec, exec, s[4:5]
	s_waitcnt lgkmcnt(0)
	s_barrier
	s_load_dword s3, s[0:1], 0xc9c
	v_mov_b32_e32 v7, 0
	s_waitcnt lgkmcnt(0)
	s_bfe_u32 s3, s3, 0xa0006
	v_cmp_gt_u32_e32 vcc, s3, v0
	s_and_saveexec_b64 s[4:5], vcc
; %bb.7:
	v_lshlrev_b32_e32 v7, 2, v8
	ds_read_b32 v7, v7
; %bb.8:
	s_or_b64 exec, exec, s[4:5]
	v_cmp_gt_u32_e32 vcc, 64, v0
	s_and_saveexec_b64 s[4:5], vcc
	s_cbranch_execz .LBB66_10
; %bb.9:
	s_waitcnt lgkmcnt(0)
	ds_bpermute_b32 v2, v2, v7
	s_waitcnt lgkmcnt(0)
	v_add_f32_e32 v2, v7, v2
	ds_bpermute_b32 v1, v1, v2
	s_waitcnt lgkmcnt(0)
	v_add_f32_e32 v1, v2, v1
	;; [unrolled: 3-line block ×6, first 2 shown]
.LBB66_10:
	s_or_b64 exec, exec, s[4:5]
	s_mov_b32 s3, 0
	v_cmp_eq_u32_e32 vcc, 0, v0
	s_and_saveexec_b64 s[4:5], vcc
	s_cbranch_execz .LBB66_12
; %bb.11:
	s_mov_b32 s4, 0xf800000
	s_waitcnt lgkmcnt(0)
	v_mul_f32_e32 v0, 0x4f800000, v7
	v_cmp_gt_f32_e32 vcc, s4, v7
	s_lshl_b64 s[2:3], s[2:3], 3
	s_add_u32 s2, s0, s2
	v_cndmask_b32_e32 v0, v7, v0, vcc
	v_sqrt_f32_e32 v1, v0
	s_addc_u32 s3, s1, s3
	v_add_u32_e32 v2, -1, v1
	v_fma_f32 v3, -v2, v1, v0
	v_cmp_ge_f32_e64 s[0:1], 0, v3
	v_add_u32_e32 v3, 1, v1
	s_nop 0
	v_cndmask_b32_e64 v2, v1, v2, s[0:1]
	v_fma_f32 v1, -v3, v1, v0
	v_cmp_lt_f32_e64 s[0:1], 0, v1
	s_nop 1
	v_cndmask_b32_e64 v1, v2, v3, s[0:1]
	s_load_dwordx2 s[0:1], s[2:3], 0x8
	v_mul_f32_e32 v2, 0x37800000, v1
	v_cndmask_b32_e32 v1, v1, v2, vcc
	v_mov_b32_e32 v2, 0x260
	v_cmp_class_f32_e32 vcc, v0, v2
	s_nop 1
	v_cndmask_b32_e32 v0, v1, v0, vcc
	v_mov_b32_e32 v1, 0
	s_waitcnt lgkmcnt(0)
	global_store_dword v1, v0, s[0:1]
.LBB66_12:
	s_endpgm
	.section	.rodata,"a",@progbits
	.p2align	6, 0x0
	.amdhsa_kernel _ZN2at6native14lpnorm_cleanupIfLNS0_8NormTypeE2EfLb1EfEEvPKT3_NS0_19TensorListAddressesEi
		.amdhsa_group_segment_fixed_size 2048
		.amdhsa_private_segment_fixed_size 0
		.amdhsa_kernarg_size 3472
		.amdhsa_user_sgpr_count 2
		.amdhsa_user_sgpr_dispatch_ptr 0
		.amdhsa_user_sgpr_queue_ptr 0
		.amdhsa_user_sgpr_kernarg_segment_ptr 1
		.amdhsa_user_sgpr_dispatch_id 0
		.amdhsa_user_sgpr_kernarg_preload_length 0
		.amdhsa_user_sgpr_kernarg_preload_offset 0
		.amdhsa_user_sgpr_private_segment_size 0
		.amdhsa_uses_dynamic_stack 0
		.amdhsa_enable_private_segment 0
		.amdhsa_system_sgpr_workgroup_id_x 1
		.amdhsa_system_sgpr_workgroup_id_y 0
		.amdhsa_system_sgpr_workgroup_id_z 0
		.amdhsa_system_sgpr_workgroup_info 0
		.amdhsa_system_vgpr_workitem_id 0
		.amdhsa_next_free_vgpr 11
		.amdhsa_next_free_sgpr 16
		.amdhsa_accum_offset 12
		.amdhsa_reserve_vcc 1
		.amdhsa_float_round_mode_32 0
		.amdhsa_float_round_mode_16_64 0
		.amdhsa_float_denorm_mode_32 3
		.amdhsa_float_denorm_mode_16_64 3
		.amdhsa_dx10_clamp 1
		.amdhsa_ieee_mode 1
		.amdhsa_fp16_overflow 0
		.amdhsa_tg_split 0
		.amdhsa_exception_fp_ieee_invalid_op 0
		.amdhsa_exception_fp_denorm_src 0
		.amdhsa_exception_fp_ieee_div_zero 0
		.amdhsa_exception_fp_ieee_overflow 0
		.amdhsa_exception_fp_ieee_underflow 0
		.amdhsa_exception_fp_ieee_inexact 0
		.amdhsa_exception_int_div_zero 0
	.end_amdhsa_kernel
	.section	.text._ZN2at6native14lpnorm_cleanupIfLNS0_8NormTypeE2EfLb1EfEEvPKT3_NS0_19TensorListAddressesEi,"axG",@progbits,_ZN2at6native14lpnorm_cleanupIfLNS0_8NormTypeE2EfLb1EfEEvPKT3_NS0_19TensorListAddressesEi,comdat
.Lfunc_end66:
	.size	_ZN2at6native14lpnorm_cleanupIfLNS0_8NormTypeE2EfLb1EfEEvPKT3_NS0_19TensorListAddressesEi, .Lfunc_end66-_ZN2at6native14lpnorm_cleanupIfLNS0_8NormTypeE2EfLb1EfEEvPKT3_NS0_19TensorListAddressesEi
                                        ; -- End function
	.set _ZN2at6native14lpnorm_cleanupIfLNS0_8NormTypeE2EfLb1EfEEvPKT3_NS0_19TensorListAddressesEi.num_vgpr, 11
	.set _ZN2at6native14lpnorm_cleanupIfLNS0_8NormTypeE2EfLb1EfEEvPKT3_NS0_19TensorListAddressesEi.num_agpr, 0
	.set _ZN2at6native14lpnorm_cleanupIfLNS0_8NormTypeE2EfLb1EfEEvPKT3_NS0_19TensorListAddressesEi.numbered_sgpr, 16
	.set _ZN2at6native14lpnorm_cleanupIfLNS0_8NormTypeE2EfLb1EfEEvPKT3_NS0_19TensorListAddressesEi.num_named_barrier, 0
	.set _ZN2at6native14lpnorm_cleanupIfLNS0_8NormTypeE2EfLb1EfEEvPKT3_NS0_19TensorListAddressesEi.private_seg_size, 0
	.set _ZN2at6native14lpnorm_cleanupIfLNS0_8NormTypeE2EfLb1EfEEvPKT3_NS0_19TensorListAddressesEi.uses_vcc, 1
	.set _ZN2at6native14lpnorm_cleanupIfLNS0_8NormTypeE2EfLb1EfEEvPKT3_NS0_19TensorListAddressesEi.uses_flat_scratch, 0
	.set _ZN2at6native14lpnorm_cleanupIfLNS0_8NormTypeE2EfLb1EfEEvPKT3_NS0_19TensorListAddressesEi.has_dyn_sized_stack, 0
	.set _ZN2at6native14lpnorm_cleanupIfLNS0_8NormTypeE2EfLb1EfEEvPKT3_NS0_19TensorListAddressesEi.has_recursion, 0
	.set _ZN2at6native14lpnorm_cleanupIfLNS0_8NormTypeE2EfLb1EfEEvPKT3_NS0_19TensorListAddressesEi.has_indirect_call, 0
	.section	.AMDGPU.csdata,"",@progbits
; Kernel info:
; codeLenInByte = 788
; TotalNumSgprs: 22
; NumVgprs: 11
; NumAgprs: 0
; TotalNumVgprs: 11
; ScratchSize: 0
; MemoryBound: 0
; FloatMode: 240
; IeeeMode: 1
; LDSByteSize: 2048 bytes/workgroup (compile time only)
; SGPRBlocks: 2
; VGPRBlocks: 1
; NumSGPRsForWavesPerEU: 22
; NumVGPRsForWavesPerEU: 11
; AccumOffset: 12
; Occupancy: 8
; WaveLimiterHint : 0
; COMPUTE_PGM_RSRC2:SCRATCH_EN: 0
; COMPUTE_PGM_RSRC2:USER_SGPR: 2
; COMPUTE_PGM_RSRC2:TRAP_HANDLER: 0
; COMPUTE_PGM_RSRC2:TGID_X_EN: 1
; COMPUTE_PGM_RSRC2:TGID_Y_EN: 0
; COMPUTE_PGM_RSRC2:TGID_Z_EN: 0
; COMPUTE_PGM_RSRC2:TIDIG_COMP_CNT: 0
; COMPUTE_PGM_RSRC3_GFX90A:ACCUM_OFFSET: 2
; COMPUTE_PGM_RSRC3_GFX90A:TG_SPLIT: 0
	.section	.text._ZN2at6native14lpnorm_cleanupIfLNS0_8NormTypeE3EfLb1EfEEvPKT3_NS0_19TensorListAddressesEi,"axG",@progbits,_ZN2at6native14lpnorm_cleanupIfLNS0_8NormTypeE3EfLb1EfEEvPKT3_NS0_19TensorListAddressesEi,comdat
	.protected	_ZN2at6native14lpnorm_cleanupIfLNS0_8NormTypeE3EfLb1EfEEvPKT3_NS0_19TensorListAddressesEi ; -- Begin function _ZN2at6native14lpnorm_cleanupIfLNS0_8NormTypeE3EfLb1EfEEvPKT3_NS0_19TensorListAddressesEi
	.globl	_ZN2at6native14lpnorm_cleanupIfLNS0_8NormTypeE3EfLb1EfEEvPKT3_NS0_19TensorListAddressesEi
	.p2align	8
	.type	_ZN2at6native14lpnorm_cleanupIfLNS0_8NormTypeE3EfLb1EfEEvPKT3_NS0_19TensorListAddressesEi,@function
_ZN2at6native14lpnorm_cleanupIfLNS0_8NormTypeE3EfLb1EfEEvPKT3_NS0_19TensorListAddressesEi: ; @_ZN2at6native14lpnorm_cleanupIfLNS0_8NormTypeE3EfLb1EfEEvPKT3_NS0_19TensorListAddressesEi
; %bb.0:
	s_load_dword s10, s[0:1], 0xc88
	v_mov_b32_e32 v1, 0
	s_waitcnt lgkmcnt(0)
	v_cmp_gt_u32_e32 vcc, s10, v0
	s_and_saveexec_b64 s[8:9], vcc
	s_cbranch_execz .LBB67_4
; %bb.1:
	s_load_dwordx2 s[4:5], s[0:1], 0x0
	s_load_dword s3, s[0:1], 0xc9c
	s_mul_i32 s12, s10, s2
	s_mov_b32 s13, 0
	s_ashr_i32 s11, s10, 31
	s_lshl_b64 s[6:7], s[12:13], 2
	s_waitcnt lgkmcnt(0)
	s_and_b32 s14, s3, 0xffff
	v_mov_b32_e32 v1, 0
	s_add_u32 s4, s4, s6
	v_lshlrev_b32_e32 v2, 2, v0
	v_mov_b32_e32 v3, v1
	s_addc_u32 s5, s5, s7
	s_mov_b32 s15, s13
	v_lshl_add_u64 v[2:3], s[4:5], 0, v[2:3]
	s_lshl_b32 s12, s14, 2
	s_mov_b64 s[16:17], 0
	v_mov_b64_e32 v[4:5], v[0:1]
.LBB67_2:                               ; =>This Inner Loop Header: Depth=1
	global_load_dword v6, v[2:3], off
	v_lshl_add_u64 v[4:5], v[4:5], 0, s[14:15]
	v_cmp_le_u64_e32 vcc, s[10:11], v[4:5]
	v_lshl_add_u64 v[2:3], v[2:3], 0, s[12:13]
	s_waitcnt vmcnt(0)
	v_cmp_u_f32_e64 s[4:5], v6, v6
	v_cmp_lt_f32_e64 s[6:7], v1, v6
	s_or_b64 s[4:5], s[4:5], s[6:7]
	s_or_b64 s[16:17], vcc, s[16:17]
	v_cndmask_b32_e64 v1, v1, v6, s[4:5]
	s_andn2_b64 exec, exec, s[16:17]
	s_cbranch_execnz .LBB67_2
; %bb.3:
	s_or_b64 exec, exec, s[16:17]
.LBB67_4:
	s_or_b64 exec, exec, s[8:9]
	v_mbcnt_lo_u32_b32 v2, -1, 0
	v_mbcnt_hi_u32_b32 v6, -1, v2
	v_mov_b32_e32 v2, 0x80
	v_lshl_or_b32 v2, v6, 2, v2
	ds_bpermute_b32 v3, v2, v1
	v_and_b32_e32 v9, 63, v6
	v_and_b32_e32 v8, 63, v0
	s_waitcnt lgkmcnt(0)
	s_barrier
	v_cmp_u_f32_e32 vcc, v3, v3
	v_cmp_lt_f32_e64 s[4:5], v1, v3
	s_or_b64 vcc, vcc, s[4:5]
	v_cndmask_b32_e32 v3, v1, v3, vcc
	v_cmp_gt_u32_e32 vcc, 48, v9
	s_nop 1
	v_cndmask_b32_e64 v1, 0, 16, vcc
	v_add_lshl_u32 v1, v1, v6, 2
	ds_bpermute_b32 v4, v1, v3
	s_waitcnt lgkmcnt(0)
	v_cmp_u_f32_e32 vcc, v4, v4
	v_cmp_lt_f32_e64 s[4:5], v3, v4
	s_or_b64 vcc, vcc, s[4:5]
	v_cndmask_b32_e32 v4, v3, v4, vcc
	v_cmp_gt_u32_e32 vcc, 56, v9
	s_nop 1
	v_cndmask_b32_e64 v3, 0, 8, vcc
	v_add_lshl_u32 v3, v3, v6, 2
	ds_bpermute_b32 v5, v3, v4
	s_waitcnt lgkmcnt(0)
	;; [unrolled: 10-line block ×4, first 2 shown]
	v_cmp_u_f32_e32 vcc, v10, v10
	v_cmp_lt_f32_e64 s[4:5], v7, v10
	s_or_b64 vcc, vcc, s[4:5]
	v_cndmask_b32_e32 v7, v7, v10, vcc
	v_cmp_ne_u32_e32 vcc, 63, v9
	s_nop 1
	v_addc_co_u32_e32 v6, vcc, 0, v6, vcc
	v_lshlrev_b32_e32 v6, 2, v6
	ds_bpermute_b32 v9, v6, v7
	v_cmp_eq_u32_e32 vcc, 0, v8
	s_and_saveexec_b64 s[6:7], vcc
	s_cbranch_execz .LBB67_6
; %bb.5:
	s_waitcnt lgkmcnt(0)
	v_cmp_u_f32_e32 vcc, v9, v9
	v_cmp_lt_f32_e64 s[4:5], v7, v9
	s_or_b64 vcc, vcc, s[4:5]
	v_cndmask_b32_e32 v7, v7, v9, vcc
	v_lshrrev_b32_e32 v9, 4, v0
	ds_write_b32 v9, v7
.LBB67_6:
	s_or_b64 exec, exec, s[6:7]
	s_waitcnt lgkmcnt(0)
	s_barrier
	s_load_dword s3, s[0:1], 0xc9c
	v_mov_b32_e32 v7, 0xff7fffff
	s_waitcnt lgkmcnt(0)
	s_bfe_u32 s3, s3, 0xa0006
	v_cmp_gt_u32_e32 vcc, s3, v0
	s_and_saveexec_b64 s[4:5], vcc
; %bb.7:
	v_lshlrev_b32_e32 v7, 2, v8
	ds_read_b32 v7, v7
; %bb.8:
	s_or_b64 exec, exec, s[4:5]
	v_cmp_gt_u32_e32 vcc, 64, v0
	s_and_saveexec_b64 s[6:7], vcc
	s_cbranch_execz .LBB67_10
; %bb.9:
	s_waitcnt lgkmcnt(0)
	ds_bpermute_b32 v2, v2, v7
	s_waitcnt lgkmcnt(0)
	v_cmp_u_f32_e32 vcc, v2, v2
	v_cmp_lt_f32_e64 s[4:5], v7, v2
	s_or_b64 vcc, vcc, s[4:5]
	v_cndmask_b32_e32 v2, v7, v2, vcc
	ds_bpermute_b32 v1, v1, v2
	s_waitcnt lgkmcnt(0)
	v_cmp_u_f32_e32 vcc, v1, v1
	v_cmp_lt_f32_e64 s[4:5], v2, v1
	s_or_b64 vcc, vcc, s[4:5]
	v_cndmask_b32_e32 v1, v2, v1, vcc
	;; [unrolled: 6-line block ×6, first 2 shown]
.LBB67_10:
	s_or_b64 exec, exec, s[6:7]
	s_mov_b32 s3, 0
	v_cmp_eq_u32_e32 vcc, 0, v0
	s_and_saveexec_b64 s[4:5], vcc
	s_cbranch_execz .LBB67_12
; %bb.11:
	s_lshl_b64 s[2:3], s[2:3], 3
	s_add_u32 s0, s0, s2
	s_addc_u32 s1, s1, s3
	s_load_dwordx2 s[0:1], s[0:1], 0x8
	v_mov_b32_e32 v0, 0
	s_waitcnt lgkmcnt(0)
	global_store_dword v0, v7, s[0:1]
.LBB67_12:
	s_endpgm
	.section	.rodata,"a",@progbits
	.p2align	6, 0x0
	.amdhsa_kernel _ZN2at6native14lpnorm_cleanupIfLNS0_8NormTypeE3EfLb1EfEEvPKT3_NS0_19TensorListAddressesEi
		.amdhsa_group_segment_fixed_size 2048
		.amdhsa_private_segment_fixed_size 0
		.amdhsa_kernarg_size 3472
		.amdhsa_user_sgpr_count 2
		.amdhsa_user_sgpr_dispatch_ptr 0
		.amdhsa_user_sgpr_queue_ptr 0
		.amdhsa_user_sgpr_kernarg_segment_ptr 1
		.amdhsa_user_sgpr_dispatch_id 0
		.amdhsa_user_sgpr_kernarg_preload_length 0
		.amdhsa_user_sgpr_kernarg_preload_offset 0
		.amdhsa_user_sgpr_private_segment_size 0
		.amdhsa_uses_dynamic_stack 0
		.amdhsa_enable_private_segment 0
		.amdhsa_system_sgpr_workgroup_id_x 1
		.amdhsa_system_sgpr_workgroup_id_y 0
		.amdhsa_system_sgpr_workgroup_id_z 0
		.amdhsa_system_sgpr_workgroup_info 0
		.amdhsa_system_vgpr_workitem_id 0
		.amdhsa_next_free_vgpr 11
		.amdhsa_next_free_sgpr 18
		.amdhsa_accum_offset 12
		.amdhsa_reserve_vcc 1
		.amdhsa_float_round_mode_32 0
		.amdhsa_float_round_mode_16_64 0
		.amdhsa_float_denorm_mode_32 3
		.amdhsa_float_denorm_mode_16_64 3
		.amdhsa_dx10_clamp 1
		.amdhsa_ieee_mode 1
		.amdhsa_fp16_overflow 0
		.amdhsa_tg_split 0
		.amdhsa_exception_fp_ieee_invalid_op 0
		.amdhsa_exception_fp_denorm_src 0
		.amdhsa_exception_fp_ieee_div_zero 0
		.amdhsa_exception_fp_ieee_overflow 0
		.amdhsa_exception_fp_ieee_underflow 0
		.amdhsa_exception_fp_ieee_inexact 0
		.amdhsa_exception_int_div_zero 0
	.end_amdhsa_kernel
	.section	.text._ZN2at6native14lpnorm_cleanupIfLNS0_8NormTypeE3EfLb1EfEEvPKT3_NS0_19TensorListAddressesEi,"axG",@progbits,_ZN2at6native14lpnorm_cleanupIfLNS0_8NormTypeE3EfLb1EfEEvPKT3_NS0_19TensorListAddressesEi,comdat
.Lfunc_end67:
	.size	_ZN2at6native14lpnorm_cleanupIfLNS0_8NormTypeE3EfLb1EfEEvPKT3_NS0_19TensorListAddressesEi, .Lfunc_end67-_ZN2at6native14lpnorm_cleanupIfLNS0_8NormTypeE3EfLb1EfEEvPKT3_NS0_19TensorListAddressesEi
                                        ; -- End function
	.set _ZN2at6native14lpnorm_cleanupIfLNS0_8NormTypeE3EfLb1EfEEvPKT3_NS0_19TensorListAddressesEi.num_vgpr, 11
	.set _ZN2at6native14lpnorm_cleanupIfLNS0_8NormTypeE3EfLb1EfEEvPKT3_NS0_19TensorListAddressesEi.num_agpr, 0
	.set _ZN2at6native14lpnorm_cleanupIfLNS0_8NormTypeE3EfLb1EfEEvPKT3_NS0_19TensorListAddressesEi.numbered_sgpr, 18
	.set _ZN2at6native14lpnorm_cleanupIfLNS0_8NormTypeE3EfLb1EfEEvPKT3_NS0_19TensorListAddressesEi.num_named_barrier, 0
	.set _ZN2at6native14lpnorm_cleanupIfLNS0_8NormTypeE3EfLb1EfEEvPKT3_NS0_19TensorListAddressesEi.private_seg_size, 0
	.set _ZN2at6native14lpnorm_cleanupIfLNS0_8NormTypeE3EfLb1EfEEvPKT3_NS0_19TensorListAddressesEi.uses_vcc, 1
	.set _ZN2at6native14lpnorm_cleanupIfLNS0_8NormTypeE3EfLb1EfEEvPKT3_NS0_19TensorListAddressesEi.uses_flat_scratch, 0
	.set _ZN2at6native14lpnorm_cleanupIfLNS0_8NormTypeE3EfLb1EfEEvPKT3_NS0_19TensorListAddressesEi.has_dyn_sized_stack, 0
	.set _ZN2at6native14lpnorm_cleanupIfLNS0_8NormTypeE3EfLb1EfEEvPKT3_NS0_19TensorListAddressesEi.has_recursion, 0
	.set _ZN2at6native14lpnorm_cleanupIfLNS0_8NormTypeE3EfLb1EfEEvPKT3_NS0_19TensorListAddressesEi.has_indirect_call, 0
	.section	.AMDGPU.csdata,"",@progbits
; Kernel info:
; codeLenInByte = 900
; TotalNumSgprs: 24
; NumVgprs: 11
; NumAgprs: 0
; TotalNumVgprs: 11
; ScratchSize: 0
; MemoryBound: 0
; FloatMode: 240
; IeeeMode: 1
; LDSByteSize: 2048 bytes/workgroup (compile time only)
; SGPRBlocks: 2
; VGPRBlocks: 1
; NumSGPRsForWavesPerEU: 24
; NumVGPRsForWavesPerEU: 11
; AccumOffset: 12
; Occupancy: 8
; WaveLimiterHint : 0
; COMPUTE_PGM_RSRC2:SCRATCH_EN: 0
; COMPUTE_PGM_RSRC2:USER_SGPR: 2
; COMPUTE_PGM_RSRC2:TRAP_HANDLER: 0
; COMPUTE_PGM_RSRC2:TGID_X_EN: 1
; COMPUTE_PGM_RSRC2:TGID_Y_EN: 0
; COMPUTE_PGM_RSRC2:TGID_Z_EN: 0
; COMPUTE_PGM_RSRC2:TIDIG_COMP_CNT: 0
; COMPUTE_PGM_RSRC3_GFX90A:ACCUM_OFFSET: 2
; COMPUTE_PGM_RSRC3_GFX90A:TG_SPLIT: 0
	.section	.text._ZN2at6native12_GLOBAL__N_125multi_tensor_apply_kernelINS1_18TensorListMetadataILi1EEENS0_13LpNormFunctorIfLNS0_8NormTypeE0EN3c104HalfELi1ELi1ELi0EEEJPfiEEEvT_T0_DpT1_,"axG",@progbits,_ZN2at6native12_GLOBAL__N_125multi_tensor_apply_kernelINS1_18TensorListMetadataILi1EEENS0_13LpNormFunctorIfLNS0_8NormTypeE0EN3c104HalfELi1ELi1ELi0EEEJPfiEEEvT_T0_DpT1_,comdat
	.globl	_ZN2at6native12_GLOBAL__N_125multi_tensor_apply_kernelINS1_18TensorListMetadataILi1EEENS0_13LpNormFunctorIfLNS0_8NormTypeE0EN3c104HalfELi1ELi1ELi0EEEJPfiEEEvT_T0_DpT1_ ; -- Begin function _ZN2at6native12_GLOBAL__N_125multi_tensor_apply_kernelINS1_18TensorListMetadataILi1EEENS0_13LpNormFunctorIfLNS0_8NormTypeE0EN3c104HalfELi1ELi1ELi0EEEJPfiEEEvT_T0_DpT1_
	.p2align	8
	.type	_ZN2at6native12_GLOBAL__N_125multi_tensor_apply_kernelINS1_18TensorListMetadataILi1EEENS0_13LpNormFunctorIfLNS0_8NormTypeE0EN3c104HalfELi1ELi1ELi0EEEJPfiEEEvT_T0_DpT1_,@function
_ZN2at6native12_GLOBAL__N_125multi_tensor_apply_kernelINS1_18TensorListMetadataILi1EEENS0_13LpNormFunctorIfLNS0_8NormTypeE0EN3c104HalfELi1ELi1ELi0EEEJPfiEEEvT_T0_DpT1_: ; @_ZN2at6native12_GLOBAL__N_125multi_tensor_apply_kernelINS1_18TensorListMetadataILi1EEENS0_13LpNormFunctorIfLNS0_8NormTypeE0EN3c104HalfELi1ELi1ELi0EEEJPfiEEEvT_T0_DpT1_
; %bb.0:
	v_mov_b32_e32 v1, s2
	global_load_ubyte v1, v1, s[0:1] offset:1760
	s_add_u32 s3, s0, s2
	s_mul_hi_u32 s4, s2, 3
	s_mul_i32 s2, s2, 3
	s_addc_u32 s5, s1, 0
	s_add_u32 s2, s3, s2
	s_addc_u32 s3, s5, s4
	s_load_dword s4, s[2:3], 0x820
	s_mov_b32 s15, 0
	s_waitcnt vmcnt(0)
	v_readfirstlane_b32 s2, v1
	s_and_b32 s16, s2, 0xff
	s_lshl_b32 s5, s16, 3
	s_load_dwordx2 s[2:3], s[0:1], s5 offset:0x370
	s_load_dwordx2 s[6:7], s[0:1], s5 offset:0x0
	s_waitcnt lgkmcnt(0)
	s_ashr_i32 s5, s4, 31
	s_lshl_b64 s[10:11], s[4:5], 16
	s_lshl_b64 s[8:9], s[4:5], 18
	s_add_u32 s12, s6, s8
	s_addc_u32 s13, s7, s9
	s_sub_u32 s10, s2, s10
	s_subb_u32 s11, s3, s11
	s_and_b32 s14, s2, 3
	s_and_b32 s2, s12, 15
	s_mov_b32 s3, s15
	s_or_b64 s[2:3], s[14:15], s[2:3]
	s_cmp_eq_u64 s[2:3], 0
	s_cbranch_scc1 .LBB68_12
; %bb.1:
	v_cmp_lt_i64_e64 s[2:3], s[10:11], 1
	s_and_b64 vcc, exec, s[2:3]
	s_cbranch_vccnz .LBB68_13
; %bb.2:
	s_load_dword s14, s[0:1], 0xd4c
	v_mov_b64_e32 v[2:3], 0x10000
	v_cmp_lt_i64_e32 vcc, s[10:11], v[2:3]
	s_and_b64 s[2:3], vcc, exec
	v_mov_b32_e32 v7, 0
	s_cselect_b32 s3, s11, 0
	s_cselect_b32 s2, s10, 0x10000
	s_waitcnt lgkmcnt(0)
	s_and_b32 s18, s14, 0xffff
	v_mov_b32_e32 v6, v7
	v_mad_u64_u32 v[12:13], s[14:15], s18, 3, v[0:1]
	v_mov_b32_e32 v8, v7
	v_mov_b32_e32 v9, v7
	v_mov_b64_e32 v[2:3], v[6:7]
	s_mov_b32 s5, 0x10000
	s_lshl_b32 s17, s18, 2
	v_lshl_add_u32 v10, s18, 1, v0
	v_add_u32_e32 v14, s18, v0
	s_mov_b64 s[14:15], 0
	v_mov_b64_e32 v[16:17], s[2:3]
	v_mov_b64_e32 v[4:5], v[8:9]
	s_branch .LBB68_4
.LBB68_3:                               ;   in Loop: Header=BB68_4 Depth=1
	s_or_b64 exec, exec, s[2:3]
	s_add_u32 s14, s14, s17
	s_addc_u32 s15, s15, 0
	v_cmp_lt_i64_e32 vcc, s[14:15], v[16:17]
	s_cbranch_vccz .LBB68_14
.LBB68_4:                               ; =>This Inner Loop Header: Depth=1
	v_add_u32_e32 v6, s14, v0
	v_cmp_gt_i64_e32 vcc, s[10:11], v[6:7]
	v_cmp_gt_u32_e64 s[2:3], s5, v6
	s_and_b64 s[18:19], s[2:3], vcc
	s_and_saveexec_b64 s[2:3], s[18:19]
	s_cbranch_execz .LBB68_6
; %bb.5:                                ;   in Loop: Header=BB68_4 Depth=1
	v_lshl_add_u64 v[8:9], v[6:7], 2, s[12:13]
	global_load_dword v1, v[8:9], off
	s_waitcnt vmcnt(0)
	v_cmp_neq_f32_e32 vcc, 0, v1
	s_nop 1
	v_cndmask_b32_e64 v1, 0, 1.0, vcc
	v_add_f32_e32 v2, v2, v1
.LBB68_6:                               ;   in Loop: Header=BB68_4 Depth=1
	s_or_b64 exec, exec, s[2:3]
	v_add_u32_e32 v6, s14, v14
	v_cmp_gt_i64_e32 vcc, s[10:11], v[6:7]
	v_cmp_gt_u32_e64 s[2:3], s5, v6
	s_and_b64 s[18:19], s[2:3], vcc
	s_and_saveexec_b64 s[2:3], s[18:19]
	s_cbranch_execz .LBB68_8
; %bb.7:                                ;   in Loop: Header=BB68_4 Depth=1
	v_lshl_add_u64 v[8:9], v[6:7], 2, s[12:13]
	global_load_dword v1, v[8:9], off
	s_waitcnt vmcnt(0)
	v_cmp_neq_f32_e32 vcc, 0, v1
	s_nop 1
	v_cndmask_b32_e64 v1, 0, 1.0, vcc
	v_add_f32_e32 v3, v3, v1
.LBB68_8:                               ;   in Loop: Header=BB68_4 Depth=1
	s_or_b64 exec, exec, s[2:3]
	v_add_u32_e32 v6, s14, v10
	v_cmp_gt_i64_e32 vcc, s[10:11], v[6:7]
	v_cmp_gt_u32_e64 s[2:3], s5, v6
	s_and_b64 s[18:19], s[2:3], vcc
	s_and_saveexec_b64 s[2:3], s[18:19]
	s_cbranch_execz .LBB68_10
; %bb.9:                                ;   in Loop: Header=BB68_4 Depth=1
	v_lshl_add_u64 v[8:9], v[6:7], 2, s[12:13]
	global_load_dword v1, v[8:9], off
	s_waitcnt vmcnt(0)
	v_cmp_neq_f32_e32 vcc, 0, v1
	s_nop 1
	v_cndmask_b32_e64 v1, 0, 1.0, vcc
	v_add_f32_e32 v4, v4, v1
.LBB68_10:                              ;   in Loop: Header=BB68_4 Depth=1
	s_or_b64 exec, exec, s[2:3]
	v_add_u32_e32 v6, s14, v12
	v_cmp_gt_i64_e32 vcc, s[10:11], v[6:7]
	v_cmp_gt_u32_e64 s[2:3], s5, v6
	s_and_b64 s[18:19], s[2:3], vcc
	s_and_saveexec_b64 s[2:3], s[18:19]
	s_cbranch_execz .LBB68_3
; %bb.11:                               ;   in Loop: Header=BB68_4 Depth=1
	v_lshl_add_u64 v[8:9], v[6:7], 2, s[12:13]
	global_load_dword v1, v[8:9], off
	s_waitcnt vmcnt(0)
	v_cmp_neq_f32_e32 vcc, 0, v1
	s_nop 1
	v_cndmask_b32_e64 v1, 0, 1.0, vcc
	v_add_f32_e32 v5, v5, v1
	s_branch .LBB68_3
.LBB68_12:
                                        ; implicit-def: $vgpr2_vgpr3_vgpr4_vgpr5
	s_branch .LBB68_15
.LBB68_13:
	v_mov_b32_e32 v2, 0
	v_mov_b32_e32 v3, v2
	;; [unrolled: 1-line block ×4, first 2 shown]
.LBB68_14:
	s_cbranch_execnz .LBB68_20
.LBB68_15:
	v_mov_b64_e32 v[4:5], 0x10000
	v_cmp_lt_i64_e32 vcc, s[10:11], v[4:5]
	v_mov_b32_e32 v2, 0
	s_and_b64 s[2:3], vcc, exec
	s_cselect_b32 s3, s11, 0
	s_cselect_b32 s2, s10, 0x10000
	v_lshlrev_b32_e32 v4, 2, v0
	v_mov_b32_e32 v5, v2
	v_cmp_gt_i64_e32 vcc, s[2:3], v[4:5]
	s_mov_b32 s13, 0
	v_mov_b32_e32 v3, v2
	v_mov_b32_e32 v4, v2
	s_and_saveexec_b64 s[10:11], vcc
	s_cbranch_execz .LBB68_19
; %bb.16:
	s_load_dword s5, s[0:1], 0xd4c
	v_lshlrev_b32_e32 v4, 4, v0
	v_mov_b32_e32 v5, v2
	v_mov_b32_e32 v1, v2
	v_mov_b64_e32 v[8:9], v[0:1]
	s_waitcnt lgkmcnt(0)
	s_and_b32 s12, s5, 0xffff
	s_add_u32 s8, s6, s8
	s_addc_u32 s9, s7, s9
	v_lshl_add_u64 v[4:5], s[8:9], 0, v[4:5]
	s_lshl_b32 s6, s12, 4
	v_lshl_add_u64 v[6:7], v[4:5], 0, 8
	s_mov_b32 s7, s13
	s_mov_b64 s[8:9], 0
	v_mov_b32_e32 v3, v2
	v_mov_b32_e32 v4, v2
	;; [unrolled: 1-line block ×3, first 2 shown]
.LBB68_17:                              ; =>This Inner Loop Header: Depth=1
	global_load_dwordx4 v[10:13], v[6:7], off offset:-8
	v_lshl_add_u64 v[8:9], v[8:9], 0, s[12:13]
	v_lshlrev_b64 v[14:15], 2, v[8:9]
	v_cmp_le_i64_e32 vcc, s[2:3], v[14:15]
	s_or_b64 s[8:9], vcc, s[8:9]
	v_lshl_add_u64 v[6:7], v[6:7], 0, s[6:7]
	s_waitcnt vmcnt(0)
	v_cmp_eq_f32_e32 vcc, 0, v11
	s_nop 1
	v_cndmask_b32_e64 v11, 1.0, 0, vcc
	v_cmp_eq_f32_e32 vcc, 0, v10
	s_nop 1
	v_cndmask_b32_e64 v10, 1.0, 0, vcc
	v_cmp_eq_f32_e32 vcc, 0, v13
	v_pk_add_f32 v[2:3], v[2:3], v[10:11]
	s_nop 0
	v_cndmask_b32_e64 v13, 1.0, 0, vcc
	v_cmp_eq_f32_e32 vcc, 0, v12
	s_nop 1
	v_cndmask_b32_e64 v12, 1.0, 0, vcc
	v_pk_add_f32 v[4:5], v[4:5], v[12:13]
	s_andn2_b64 exec, exec, s[8:9]
	s_cbranch_execnz .LBB68_17
; %bb.18:
	s_or_b64 exec, exec, s[8:9]
.LBB68_19:
	s_or_b64 exec, exec, s[10:11]
.LBB68_20:
	v_add_f32_e32 v1, 0, v2
	v_add_f32_e32 v1, v3, v1
	;; [unrolled: 1-line block ×4, first 2 shown]
	v_mbcnt_lo_u32_b32 v1, -1, 0
	v_mbcnt_hi_u32_b32 v6, -1, v1
	v_mov_b32_e32 v1, 0x80
	v_lshl_or_b32 v1, v6, 2, v1
	ds_bpermute_b32 v3, v1, v2
	v_and_b32_e32 v9, 63, v6
	v_cmp_gt_u32_e32 vcc, 48, v9
	s_waitcnt lgkmcnt(0)
	s_barrier
	v_add_f32_e32 v3, v2, v3
	v_cndmask_b32_e64 v2, 0, 16, vcc
	v_add_lshl_u32 v2, v2, v6, 2
	ds_bpermute_b32 v4, v2, v3
	v_cmp_gt_u32_e32 vcc, 56, v9
	s_waitcnt lgkmcnt(0)
	v_add_f32_e32 v4, v3, v4
	v_cndmask_b32_e64 v3, 0, 8, vcc
	v_add_lshl_u32 v3, v3, v6, 2
	ds_bpermute_b32 v5, v3, v4
	v_cmp_gt_u32_e32 vcc, 60, v9
	s_waitcnt lgkmcnt(0)
	;; [unrolled: 6-line block ×3, first 2 shown]
	v_add_f32_e32 v7, v5, v7
	v_cndmask_b32_e64 v8, 0, 2, vcc
	v_add_lshl_u32 v5, v8, v6, 2
	ds_bpermute_b32 v10, v5, v7
	v_cmp_ne_u32_e32 vcc, 63, v9
	v_and_b32_e32 v8, 63, v0
	s_waitcnt lgkmcnt(0)
	v_add_f32_e32 v7, v7, v10
	v_addc_co_u32_e32 v6, vcc, 0, v6, vcc
	v_lshlrev_b32_e32 v6, 2, v6
	ds_bpermute_b32 v9, v6, v7
	v_cmp_eq_u32_e32 vcc, 0, v8
	s_and_saveexec_b64 s[2:3], vcc
	s_cbranch_execz .LBB68_22
; %bb.21:
	v_lshrrev_b32_e32 v10, 4, v0
	s_waitcnt lgkmcnt(0)
	v_add_f32_e32 v7, v7, v9
	ds_write_b32 v10, v7
.LBB68_22:
	s_or_b64 exec, exec, s[2:3]
	s_waitcnt lgkmcnt(0)
	s_barrier
	s_load_dword s2, s[0:1], 0xd4c
	v_mov_b32_e32 v7, 0
	s_waitcnt lgkmcnt(0)
	s_bfe_u32 s2, s2, 0xa0006
	v_cmp_gt_u32_e32 vcc, s2, v0
	s_and_saveexec_b64 s[2:3], vcc
	s_cbranch_execnz .LBB68_26
; %bb.23:
	s_or_b64 exec, exec, s[2:3]
	v_cmp_gt_u32_e32 vcc, 64, v0
	s_and_saveexec_b64 s[2:3], vcc
	s_cbranch_execnz .LBB68_27
.LBB68_24:
	s_or_b64 exec, exec, s[2:3]
	v_cmp_eq_u32_e32 vcc, 0, v0
	s_and_saveexec_b64 s[2:3], vcc
	s_cbranch_execnz .LBB68_28
.LBB68_25:
	s_endpgm
.LBB68_26:
	v_lshlrev_b32_e32 v7, 2, v8
	ds_read_b32 v7, v7
	s_or_b64 exec, exec, s[2:3]
	v_cmp_gt_u32_e32 vcc, 64, v0
	s_and_saveexec_b64 s[2:3], vcc
	s_cbranch_execz .LBB68_24
.LBB68_27:
	s_waitcnt lgkmcnt(0)
	ds_bpermute_b32 v1, v1, v7
	s_waitcnt lgkmcnt(0)
	v_add_f32_e32 v1, v7, v1
	ds_bpermute_b32 v2, v2, v1
	s_waitcnt lgkmcnt(0)
	v_add_f32_e32 v1, v1, v2
	;; [unrolled: 3-line block ×6, first 2 shown]
	s_or_b64 exec, exec, s[2:3]
	v_cmp_eq_u32_e32 vcc, 0, v0
	s_and_saveexec_b64 s[2:3], vcc
	s_cbranch_execz .LBB68_25
.LBB68_28:
	s_load_dword s5, s[0:1], 0xd20
	s_load_dword s6, s[0:1], 0xd38
	s_load_dwordx2 s[2:3], s[0:1], 0xd30
	v_mov_b32_e32 v0, 0
	s_waitcnt lgkmcnt(0)
	s_add_i32 s0, s5, s16
	s_mul_i32 s0, s0, s6
	s_add_i32 s0, s0, s4
	s_ashr_i32 s1, s0, 31
	s_lshl_b64 s[0:1], s[0:1], 2
	s_add_u32 s0, s2, s0
	s_addc_u32 s1, s3, s1
	global_store_dword v0, v7, s[0:1]
	s_endpgm
	.section	.rodata,"a",@progbits
	.p2align	6, 0x0
	.amdhsa_kernel _ZN2at6native12_GLOBAL__N_125multi_tensor_apply_kernelINS1_18TensorListMetadataILi1EEENS0_13LpNormFunctorIfLNS0_8NormTypeE0EN3c104HalfELi1ELi1ELi0EEEJPfiEEEvT_T0_DpT1_
		.amdhsa_group_segment_fixed_size 2048
		.amdhsa_private_segment_fixed_size 0
		.amdhsa_kernarg_size 3648
		.amdhsa_user_sgpr_count 2
		.amdhsa_user_sgpr_dispatch_ptr 0
		.amdhsa_user_sgpr_queue_ptr 0
		.amdhsa_user_sgpr_kernarg_segment_ptr 1
		.amdhsa_user_sgpr_dispatch_id 0
		.amdhsa_user_sgpr_kernarg_preload_length 0
		.amdhsa_user_sgpr_kernarg_preload_offset 0
		.amdhsa_user_sgpr_private_segment_size 0
		.amdhsa_uses_dynamic_stack 0
		.amdhsa_enable_private_segment 0
		.amdhsa_system_sgpr_workgroup_id_x 1
		.amdhsa_system_sgpr_workgroup_id_y 0
		.amdhsa_system_sgpr_workgroup_id_z 0
		.amdhsa_system_sgpr_workgroup_info 0
		.amdhsa_system_vgpr_workitem_id 0
		.amdhsa_next_free_vgpr 18
		.amdhsa_next_free_sgpr 20
		.amdhsa_accum_offset 20
		.amdhsa_reserve_vcc 1
		.amdhsa_float_round_mode_32 0
		.amdhsa_float_round_mode_16_64 0
		.amdhsa_float_denorm_mode_32 3
		.amdhsa_float_denorm_mode_16_64 3
		.amdhsa_dx10_clamp 1
		.amdhsa_ieee_mode 1
		.amdhsa_fp16_overflow 0
		.amdhsa_tg_split 0
		.amdhsa_exception_fp_ieee_invalid_op 0
		.amdhsa_exception_fp_denorm_src 0
		.amdhsa_exception_fp_ieee_div_zero 0
		.amdhsa_exception_fp_ieee_overflow 0
		.amdhsa_exception_fp_ieee_underflow 0
		.amdhsa_exception_fp_ieee_inexact 0
		.amdhsa_exception_int_div_zero 0
	.end_amdhsa_kernel
	.section	.text._ZN2at6native12_GLOBAL__N_125multi_tensor_apply_kernelINS1_18TensorListMetadataILi1EEENS0_13LpNormFunctorIfLNS0_8NormTypeE0EN3c104HalfELi1ELi1ELi0EEEJPfiEEEvT_T0_DpT1_,"axG",@progbits,_ZN2at6native12_GLOBAL__N_125multi_tensor_apply_kernelINS1_18TensorListMetadataILi1EEENS0_13LpNormFunctorIfLNS0_8NormTypeE0EN3c104HalfELi1ELi1ELi0EEEJPfiEEEvT_T0_DpT1_,comdat
.Lfunc_end68:
	.size	_ZN2at6native12_GLOBAL__N_125multi_tensor_apply_kernelINS1_18TensorListMetadataILi1EEENS0_13LpNormFunctorIfLNS0_8NormTypeE0EN3c104HalfELi1ELi1ELi0EEEJPfiEEEvT_T0_DpT1_, .Lfunc_end68-_ZN2at6native12_GLOBAL__N_125multi_tensor_apply_kernelINS1_18TensorListMetadataILi1EEENS0_13LpNormFunctorIfLNS0_8NormTypeE0EN3c104HalfELi1ELi1ELi0EEEJPfiEEEvT_T0_DpT1_
                                        ; -- End function
	.set _ZN2at6native12_GLOBAL__N_125multi_tensor_apply_kernelINS1_18TensorListMetadataILi1EEENS0_13LpNormFunctorIfLNS0_8NormTypeE0EN3c104HalfELi1ELi1ELi0EEEJPfiEEEvT_T0_DpT1_.num_vgpr, 18
	.set _ZN2at6native12_GLOBAL__N_125multi_tensor_apply_kernelINS1_18TensorListMetadataILi1EEENS0_13LpNormFunctorIfLNS0_8NormTypeE0EN3c104HalfELi1ELi1ELi0EEEJPfiEEEvT_T0_DpT1_.num_agpr, 0
	.set _ZN2at6native12_GLOBAL__N_125multi_tensor_apply_kernelINS1_18TensorListMetadataILi1EEENS0_13LpNormFunctorIfLNS0_8NormTypeE0EN3c104HalfELi1ELi1ELi0EEEJPfiEEEvT_T0_DpT1_.numbered_sgpr, 20
	.set _ZN2at6native12_GLOBAL__N_125multi_tensor_apply_kernelINS1_18TensorListMetadataILi1EEENS0_13LpNormFunctorIfLNS0_8NormTypeE0EN3c104HalfELi1ELi1ELi0EEEJPfiEEEvT_T0_DpT1_.num_named_barrier, 0
	.set _ZN2at6native12_GLOBAL__N_125multi_tensor_apply_kernelINS1_18TensorListMetadataILi1EEENS0_13LpNormFunctorIfLNS0_8NormTypeE0EN3c104HalfELi1ELi1ELi0EEEJPfiEEEvT_T0_DpT1_.private_seg_size, 0
	.set _ZN2at6native12_GLOBAL__N_125multi_tensor_apply_kernelINS1_18TensorListMetadataILi1EEENS0_13LpNormFunctorIfLNS0_8NormTypeE0EN3c104HalfELi1ELi1ELi0EEEJPfiEEEvT_T0_DpT1_.uses_vcc, 1
	.set _ZN2at6native12_GLOBAL__N_125multi_tensor_apply_kernelINS1_18TensorListMetadataILi1EEENS0_13LpNormFunctorIfLNS0_8NormTypeE0EN3c104HalfELi1ELi1ELi0EEEJPfiEEEvT_T0_DpT1_.uses_flat_scratch, 0
	.set _ZN2at6native12_GLOBAL__N_125multi_tensor_apply_kernelINS1_18TensorListMetadataILi1EEENS0_13LpNormFunctorIfLNS0_8NormTypeE0EN3c104HalfELi1ELi1ELi0EEEJPfiEEEvT_T0_DpT1_.has_dyn_sized_stack, 0
	.set _ZN2at6native12_GLOBAL__N_125multi_tensor_apply_kernelINS1_18TensorListMetadataILi1EEENS0_13LpNormFunctorIfLNS0_8NormTypeE0EN3c104HalfELi1ELi1ELi0EEEJPfiEEEvT_T0_DpT1_.has_recursion, 0
	.set _ZN2at6native12_GLOBAL__N_125multi_tensor_apply_kernelINS1_18TensorListMetadataILi1EEENS0_13LpNormFunctorIfLNS0_8NormTypeE0EN3c104HalfELi1ELi1ELi0EEEJPfiEEEvT_T0_DpT1_.has_indirect_call, 0
	.section	.AMDGPU.csdata,"",@progbits
; Kernel info:
; codeLenInByte = 1464
; TotalNumSgprs: 26
; NumVgprs: 18
; NumAgprs: 0
; TotalNumVgprs: 18
; ScratchSize: 0
; MemoryBound: 0
; FloatMode: 240
; IeeeMode: 1
; LDSByteSize: 2048 bytes/workgroup (compile time only)
; SGPRBlocks: 3
; VGPRBlocks: 2
; NumSGPRsForWavesPerEU: 26
; NumVGPRsForWavesPerEU: 18
; AccumOffset: 20
; Occupancy: 8
; WaveLimiterHint : 0
; COMPUTE_PGM_RSRC2:SCRATCH_EN: 0
; COMPUTE_PGM_RSRC2:USER_SGPR: 2
; COMPUTE_PGM_RSRC2:TRAP_HANDLER: 0
; COMPUTE_PGM_RSRC2:TGID_X_EN: 1
; COMPUTE_PGM_RSRC2:TGID_Y_EN: 0
; COMPUTE_PGM_RSRC2:TGID_Z_EN: 0
; COMPUTE_PGM_RSRC2:TIDIG_COMP_CNT: 0
; COMPUTE_PGM_RSRC3_GFX90A:ACCUM_OFFSET: 4
; COMPUTE_PGM_RSRC3_GFX90A:TG_SPLIT: 0
	.section	.text._ZN2at6native12_GLOBAL__N_125multi_tensor_apply_kernelINS1_18TensorListMetadataILi1EEENS0_13LpNormFunctorIfLNS0_8NormTypeE1EN3c104HalfELi1ELi1ELi0EEEJPfiEEEvT_T0_DpT1_,"axG",@progbits,_ZN2at6native12_GLOBAL__N_125multi_tensor_apply_kernelINS1_18TensorListMetadataILi1EEENS0_13LpNormFunctorIfLNS0_8NormTypeE1EN3c104HalfELi1ELi1ELi0EEEJPfiEEEvT_T0_DpT1_,comdat
	.globl	_ZN2at6native12_GLOBAL__N_125multi_tensor_apply_kernelINS1_18TensorListMetadataILi1EEENS0_13LpNormFunctorIfLNS0_8NormTypeE1EN3c104HalfELi1ELi1ELi0EEEJPfiEEEvT_T0_DpT1_ ; -- Begin function _ZN2at6native12_GLOBAL__N_125multi_tensor_apply_kernelINS1_18TensorListMetadataILi1EEENS0_13LpNormFunctorIfLNS0_8NormTypeE1EN3c104HalfELi1ELi1ELi0EEEJPfiEEEvT_T0_DpT1_
	.p2align	8
	.type	_ZN2at6native12_GLOBAL__N_125multi_tensor_apply_kernelINS1_18TensorListMetadataILi1EEENS0_13LpNormFunctorIfLNS0_8NormTypeE1EN3c104HalfELi1ELi1ELi0EEEJPfiEEEvT_T0_DpT1_,@function
_ZN2at6native12_GLOBAL__N_125multi_tensor_apply_kernelINS1_18TensorListMetadataILi1EEENS0_13LpNormFunctorIfLNS0_8NormTypeE1EN3c104HalfELi1ELi1ELi0EEEJPfiEEEvT_T0_DpT1_: ; @_ZN2at6native12_GLOBAL__N_125multi_tensor_apply_kernelINS1_18TensorListMetadataILi1EEENS0_13LpNormFunctorIfLNS0_8NormTypeE1EN3c104HalfELi1ELi1ELi0EEEJPfiEEEvT_T0_DpT1_
; %bb.0:
	v_mov_b32_e32 v1, s2
	global_load_ubyte v1, v1, s[0:1] offset:1760
	s_add_u32 s3, s0, s2
	s_mul_hi_u32 s4, s2, 3
	s_mul_i32 s2, s2, 3
	s_addc_u32 s5, s1, 0
	s_add_u32 s2, s3, s2
	s_addc_u32 s3, s5, s4
	s_load_dword s4, s[2:3], 0x820
	s_mov_b32 s15, 0
	s_waitcnt vmcnt(0)
	v_readfirstlane_b32 s2, v1
	s_and_b32 s16, s2, 0xff
	s_lshl_b32 s5, s16, 3
	s_load_dwordx2 s[2:3], s[0:1], s5 offset:0x370
	s_load_dwordx2 s[6:7], s[0:1], s5 offset:0x0
	s_waitcnt lgkmcnt(0)
	s_ashr_i32 s5, s4, 31
	s_lshl_b64 s[10:11], s[4:5], 16
	s_lshl_b64 s[8:9], s[4:5], 18
	s_add_u32 s12, s6, s8
	s_addc_u32 s13, s7, s9
	s_sub_u32 s10, s2, s10
	s_subb_u32 s11, s3, s11
	s_and_b32 s14, s2, 3
	s_and_b32 s2, s12, 15
	s_mov_b32 s3, s15
	s_or_b64 s[2:3], s[14:15], s[2:3]
	s_cmp_eq_u64 s[2:3], 0
	s_cbranch_scc1 .LBB69_12
; %bb.1:
	v_cmp_lt_i64_e64 s[2:3], s[10:11], 1
	s_and_b64 vcc, exec, s[2:3]
	s_cbranch_vccnz .LBB69_13
; %bb.2:
	s_load_dword s14, s[0:1], 0xd4c
	v_mov_b64_e32 v[2:3], 0x10000
	v_cmp_lt_i64_e32 vcc, s[10:11], v[2:3]
	s_and_b64 s[2:3], vcc, exec
	v_mov_b32_e32 v7, 0
	s_cselect_b32 s3, s11, 0
	s_cselect_b32 s2, s10, 0x10000
	s_waitcnt lgkmcnt(0)
	s_and_b32 s18, s14, 0xffff
	v_mov_b32_e32 v6, v7
	v_mad_u64_u32 v[12:13], s[14:15], s18, 3, v[0:1]
	v_mov_b32_e32 v8, v7
	v_mov_b32_e32 v9, v7
	v_mov_b64_e32 v[2:3], v[6:7]
	s_mov_b32 s5, 0x10000
	s_lshl_b32 s17, s18, 2
	v_lshl_add_u32 v10, s18, 1, v0
	v_add_u32_e32 v14, s18, v0
	s_mov_b64 s[14:15], 0
	v_mov_b64_e32 v[16:17], s[2:3]
	v_mov_b64_e32 v[4:5], v[8:9]
	s_branch .LBB69_4
.LBB69_3:                               ;   in Loop: Header=BB69_4 Depth=1
	s_or_b64 exec, exec, s[2:3]
	s_add_u32 s14, s14, s17
	s_addc_u32 s15, s15, 0
	v_cmp_lt_i64_e32 vcc, s[14:15], v[16:17]
	s_cbranch_vccz .LBB69_14
.LBB69_4:                               ; =>This Inner Loop Header: Depth=1
	v_add_u32_e32 v6, s14, v0
	v_cmp_gt_i64_e32 vcc, s[10:11], v[6:7]
	v_cmp_gt_u32_e64 s[2:3], s5, v6
	s_and_b64 s[18:19], s[2:3], vcc
	s_and_saveexec_b64 s[2:3], s[18:19]
	s_cbranch_execz .LBB69_6
; %bb.5:                                ;   in Loop: Header=BB69_4 Depth=1
	v_lshl_add_u64 v[8:9], v[6:7], 2, s[12:13]
	global_load_dword v1, v[8:9], off
	s_waitcnt vmcnt(0)
	v_add_f32_e64 v2, v2, |v1|
.LBB69_6:                               ;   in Loop: Header=BB69_4 Depth=1
	s_or_b64 exec, exec, s[2:3]
	v_add_u32_e32 v6, s14, v14
	v_cmp_gt_i64_e32 vcc, s[10:11], v[6:7]
	v_cmp_gt_u32_e64 s[2:3], s5, v6
	s_and_b64 s[18:19], s[2:3], vcc
	s_and_saveexec_b64 s[2:3], s[18:19]
	s_cbranch_execz .LBB69_8
; %bb.7:                                ;   in Loop: Header=BB69_4 Depth=1
	v_lshl_add_u64 v[8:9], v[6:7], 2, s[12:13]
	global_load_dword v1, v[8:9], off
	s_waitcnt vmcnt(0)
	v_add_f32_e64 v3, v3, |v1|
.LBB69_8:                               ;   in Loop: Header=BB69_4 Depth=1
	s_or_b64 exec, exec, s[2:3]
	v_add_u32_e32 v6, s14, v10
	v_cmp_gt_i64_e32 vcc, s[10:11], v[6:7]
	v_cmp_gt_u32_e64 s[2:3], s5, v6
	s_and_b64 s[18:19], s[2:3], vcc
	s_and_saveexec_b64 s[2:3], s[18:19]
	s_cbranch_execz .LBB69_10
; %bb.9:                                ;   in Loop: Header=BB69_4 Depth=1
	v_lshl_add_u64 v[8:9], v[6:7], 2, s[12:13]
	global_load_dword v1, v[8:9], off
	s_waitcnt vmcnt(0)
	v_add_f32_e64 v4, v4, |v1|
.LBB69_10:                              ;   in Loop: Header=BB69_4 Depth=1
	s_or_b64 exec, exec, s[2:3]
	v_add_u32_e32 v6, s14, v12
	v_cmp_gt_i64_e32 vcc, s[10:11], v[6:7]
	v_cmp_gt_u32_e64 s[2:3], s5, v6
	s_and_b64 s[18:19], s[2:3], vcc
	s_and_saveexec_b64 s[2:3], s[18:19]
	s_cbranch_execz .LBB69_3
; %bb.11:                               ;   in Loop: Header=BB69_4 Depth=1
	v_lshl_add_u64 v[8:9], v[6:7], 2, s[12:13]
	global_load_dword v1, v[8:9], off
	s_waitcnt vmcnt(0)
	v_add_f32_e64 v5, v5, |v1|
	s_branch .LBB69_3
.LBB69_12:
                                        ; implicit-def: $vgpr2_vgpr3_vgpr4_vgpr5
	s_branch .LBB69_15
.LBB69_13:
	v_mov_b32_e32 v2, 0
	v_mov_b32_e32 v3, v2
	;; [unrolled: 1-line block ×4, first 2 shown]
.LBB69_14:
	s_cbranch_execnz .LBB69_20
.LBB69_15:
	v_mov_b64_e32 v[4:5], 0x10000
	v_cmp_lt_i64_e32 vcc, s[10:11], v[4:5]
	v_mov_b32_e32 v2, 0
	s_and_b64 s[2:3], vcc, exec
	s_cselect_b32 s3, s11, 0
	s_cselect_b32 s2, s10, 0x10000
	v_lshlrev_b32_e32 v4, 2, v0
	v_mov_b32_e32 v5, v2
	v_cmp_gt_i64_e32 vcc, s[2:3], v[4:5]
	s_mov_b32 s13, 0
	v_mov_b32_e32 v3, v2
	v_mov_b32_e32 v4, v2
	s_and_saveexec_b64 s[10:11], vcc
	s_cbranch_execz .LBB69_19
; %bb.16:
	s_load_dword s5, s[0:1], 0xd4c
	v_lshlrev_b32_e32 v4, 4, v0
	v_mov_b32_e32 v5, v2
	v_mov_b32_e32 v1, v2
	v_mov_b64_e32 v[8:9], v[0:1]
	s_waitcnt lgkmcnt(0)
	s_and_b32 s12, s5, 0xffff
	s_add_u32 s8, s6, s8
	s_addc_u32 s9, s7, s9
	v_lshl_add_u64 v[4:5], s[8:9], 0, v[4:5]
	s_lshl_b32 s6, s12, 4
	v_lshl_add_u64 v[6:7], v[4:5], 0, 8
	s_mov_b32 s7, s13
	s_mov_b64 s[8:9], 0
	v_mov_b32_e32 v3, v2
	v_mov_b32_e32 v4, v2
	v_mov_b32_e32 v5, v2
.LBB69_17:                              ; =>This Inner Loop Header: Depth=1
	global_load_dwordx4 v[10:13], v[6:7], off offset:-8
	v_lshl_add_u64 v[8:9], v[8:9], 0, s[12:13]
	v_lshlrev_b64 v[14:15], 2, v[8:9]
	v_cmp_le_i64_e32 vcc, s[2:3], v[14:15]
	v_lshl_add_u64 v[6:7], v[6:7], 0, s[6:7]
	s_or_b64 s[8:9], vcc, s[8:9]
	s_waitcnt vmcnt(0)
	v_and_b32_e32 v11, 0x7fffffff, v11
	v_and_b32_e32 v10, 0x7fffffff, v10
	;; [unrolled: 1-line block ×4, first 2 shown]
	v_pk_add_f32 v[4:5], v[4:5], v[12:13]
	v_pk_add_f32 v[2:3], v[2:3], v[10:11]
	s_andn2_b64 exec, exec, s[8:9]
	s_cbranch_execnz .LBB69_17
; %bb.18:
	s_or_b64 exec, exec, s[8:9]
.LBB69_19:
	s_or_b64 exec, exec, s[10:11]
.LBB69_20:
	v_add_f32_e32 v1, 0, v2
	v_add_f32_e32 v1, v3, v1
	;; [unrolled: 1-line block ×4, first 2 shown]
	v_mbcnt_lo_u32_b32 v1, -1, 0
	v_mbcnt_hi_u32_b32 v6, -1, v1
	v_mov_b32_e32 v1, 0x80
	v_lshl_or_b32 v1, v6, 2, v1
	ds_bpermute_b32 v3, v1, v2
	v_and_b32_e32 v9, 63, v6
	v_cmp_gt_u32_e32 vcc, 48, v9
	s_waitcnt lgkmcnt(0)
	s_barrier
	v_add_f32_e32 v3, v2, v3
	v_cndmask_b32_e64 v2, 0, 16, vcc
	v_add_lshl_u32 v2, v2, v6, 2
	ds_bpermute_b32 v4, v2, v3
	v_cmp_gt_u32_e32 vcc, 56, v9
	s_waitcnt lgkmcnt(0)
	v_add_f32_e32 v4, v3, v4
	v_cndmask_b32_e64 v3, 0, 8, vcc
	v_add_lshl_u32 v3, v3, v6, 2
	ds_bpermute_b32 v5, v3, v4
	v_cmp_gt_u32_e32 vcc, 60, v9
	s_waitcnt lgkmcnt(0)
	v_add_f32_e32 v5, v4, v5
	v_cndmask_b32_e64 v4, 0, 4, vcc
	v_add_lshl_u32 v4, v4, v6, 2
	ds_bpermute_b32 v7, v4, v5
	v_cmp_gt_u32_e32 vcc, 62, v9
	s_waitcnt lgkmcnt(0)
	v_add_f32_e32 v7, v5, v7
	v_cndmask_b32_e64 v8, 0, 2, vcc
	v_add_lshl_u32 v5, v8, v6, 2
	ds_bpermute_b32 v10, v5, v7
	v_cmp_ne_u32_e32 vcc, 63, v9
	v_and_b32_e32 v8, 63, v0
	s_waitcnt lgkmcnt(0)
	v_add_f32_e32 v7, v7, v10
	v_addc_co_u32_e32 v6, vcc, 0, v6, vcc
	v_lshlrev_b32_e32 v6, 2, v6
	ds_bpermute_b32 v9, v6, v7
	v_cmp_eq_u32_e32 vcc, 0, v8
	s_and_saveexec_b64 s[2:3], vcc
	s_cbranch_execz .LBB69_22
; %bb.21:
	v_lshrrev_b32_e32 v10, 4, v0
	s_waitcnt lgkmcnt(0)
	v_add_f32_e32 v7, v7, v9
	ds_write_b32 v10, v7
.LBB69_22:
	s_or_b64 exec, exec, s[2:3]
	s_waitcnt lgkmcnt(0)
	s_barrier
	s_load_dword s2, s[0:1], 0xd4c
	v_mov_b32_e32 v7, 0
	s_waitcnt lgkmcnt(0)
	s_bfe_u32 s2, s2, 0xa0006
	v_cmp_gt_u32_e32 vcc, s2, v0
	s_and_saveexec_b64 s[2:3], vcc
	s_cbranch_execnz .LBB69_26
; %bb.23:
	s_or_b64 exec, exec, s[2:3]
	v_cmp_gt_u32_e32 vcc, 64, v0
	s_and_saveexec_b64 s[2:3], vcc
	s_cbranch_execnz .LBB69_27
.LBB69_24:
	s_or_b64 exec, exec, s[2:3]
	v_cmp_eq_u32_e32 vcc, 0, v0
	s_and_saveexec_b64 s[2:3], vcc
	s_cbranch_execnz .LBB69_28
.LBB69_25:
	s_endpgm
.LBB69_26:
	v_lshlrev_b32_e32 v7, 2, v8
	ds_read_b32 v7, v7
	s_or_b64 exec, exec, s[2:3]
	v_cmp_gt_u32_e32 vcc, 64, v0
	s_and_saveexec_b64 s[2:3], vcc
	s_cbranch_execz .LBB69_24
.LBB69_27:
	s_waitcnt lgkmcnt(0)
	ds_bpermute_b32 v1, v1, v7
	s_waitcnt lgkmcnt(0)
	v_add_f32_e32 v1, v7, v1
	ds_bpermute_b32 v2, v2, v1
	s_waitcnt lgkmcnt(0)
	v_add_f32_e32 v1, v1, v2
	ds_bpermute_b32 v2, v3, v1
	s_waitcnt lgkmcnt(0)
	v_add_f32_e32 v1, v1, v2
	ds_bpermute_b32 v2, v4, v1
	s_waitcnt lgkmcnt(0)
	v_add_f32_e32 v1, v1, v2
	ds_bpermute_b32 v2, v5, v1
	s_waitcnt lgkmcnt(0)
	v_add_f32_e32 v1, v1, v2
	ds_bpermute_b32 v2, v6, v1
	s_waitcnt lgkmcnt(0)
	v_add_f32_e32 v7, v1, v2
	s_or_b64 exec, exec, s[2:3]
	v_cmp_eq_u32_e32 vcc, 0, v0
	s_and_saveexec_b64 s[2:3], vcc
	s_cbranch_execz .LBB69_25
.LBB69_28:
	s_load_dword s5, s[0:1], 0xd20
	s_load_dword s6, s[0:1], 0xd38
	s_load_dwordx2 s[2:3], s[0:1], 0xd30
	v_mov_b32_e32 v0, 0
	s_waitcnt lgkmcnt(0)
	s_add_i32 s0, s5, s16
	s_mul_i32 s0, s0, s6
	s_add_i32 s0, s0, s4
	s_ashr_i32 s1, s0, 31
	s_lshl_b64 s[0:1], s[0:1], 2
	s_add_u32 s0, s2, s0
	s_addc_u32 s1, s3, s1
	global_store_dword v0, v7, s[0:1]
	s_endpgm
	.section	.rodata,"a",@progbits
	.p2align	6, 0x0
	.amdhsa_kernel _ZN2at6native12_GLOBAL__N_125multi_tensor_apply_kernelINS1_18TensorListMetadataILi1EEENS0_13LpNormFunctorIfLNS0_8NormTypeE1EN3c104HalfELi1ELi1ELi0EEEJPfiEEEvT_T0_DpT1_
		.amdhsa_group_segment_fixed_size 2048
		.amdhsa_private_segment_fixed_size 0
		.amdhsa_kernarg_size 3648
		.amdhsa_user_sgpr_count 2
		.amdhsa_user_sgpr_dispatch_ptr 0
		.amdhsa_user_sgpr_queue_ptr 0
		.amdhsa_user_sgpr_kernarg_segment_ptr 1
		.amdhsa_user_sgpr_dispatch_id 0
		.amdhsa_user_sgpr_kernarg_preload_length 0
		.amdhsa_user_sgpr_kernarg_preload_offset 0
		.amdhsa_user_sgpr_private_segment_size 0
		.amdhsa_uses_dynamic_stack 0
		.amdhsa_enable_private_segment 0
		.amdhsa_system_sgpr_workgroup_id_x 1
		.amdhsa_system_sgpr_workgroup_id_y 0
		.amdhsa_system_sgpr_workgroup_id_z 0
		.amdhsa_system_sgpr_workgroup_info 0
		.amdhsa_system_vgpr_workitem_id 0
		.amdhsa_next_free_vgpr 18
		.amdhsa_next_free_sgpr 20
		.amdhsa_accum_offset 20
		.amdhsa_reserve_vcc 1
		.amdhsa_float_round_mode_32 0
		.amdhsa_float_round_mode_16_64 0
		.amdhsa_float_denorm_mode_32 3
		.amdhsa_float_denorm_mode_16_64 3
		.amdhsa_dx10_clamp 1
		.amdhsa_ieee_mode 1
		.amdhsa_fp16_overflow 0
		.amdhsa_tg_split 0
		.amdhsa_exception_fp_ieee_invalid_op 0
		.amdhsa_exception_fp_denorm_src 0
		.amdhsa_exception_fp_ieee_div_zero 0
		.amdhsa_exception_fp_ieee_overflow 0
		.amdhsa_exception_fp_ieee_underflow 0
		.amdhsa_exception_fp_ieee_inexact 0
		.amdhsa_exception_int_div_zero 0
	.end_amdhsa_kernel
	.section	.text._ZN2at6native12_GLOBAL__N_125multi_tensor_apply_kernelINS1_18TensorListMetadataILi1EEENS0_13LpNormFunctorIfLNS0_8NormTypeE1EN3c104HalfELi1ELi1ELi0EEEJPfiEEEvT_T0_DpT1_,"axG",@progbits,_ZN2at6native12_GLOBAL__N_125multi_tensor_apply_kernelINS1_18TensorListMetadataILi1EEENS0_13LpNormFunctorIfLNS0_8NormTypeE1EN3c104HalfELi1ELi1ELi0EEEJPfiEEEvT_T0_DpT1_,comdat
.Lfunc_end69:
	.size	_ZN2at6native12_GLOBAL__N_125multi_tensor_apply_kernelINS1_18TensorListMetadataILi1EEENS0_13LpNormFunctorIfLNS0_8NormTypeE1EN3c104HalfELi1ELi1ELi0EEEJPfiEEEvT_T0_DpT1_, .Lfunc_end69-_ZN2at6native12_GLOBAL__N_125multi_tensor_apply_kernelINS1_18TensorListMetadataILi1EEENS0_13LpNormFunctorIfLNS0_8NormTypeE1EN3c104HalfELi1ELi1ELi0EEEJPfiEEEvT_T0_DpT1_
                                        ; -- End function
	.set _ZN2at6native12_GLOBAL__N_125multi_tensor_apply_kernelINS1_18TensorListMetadataILi1EEENS0_13LpNormFunctorIfLNS0_8NormTypeE1EN3c104HalfELi1ELi1ELi0EEEJPfiEEEvT_T0_DpT1_.num_vgpr, 18
	.set _ZN2at6native12_GLOBAL__N_125multi_tensor_apply_kernelINS1_18TensorListMetadataILi1EEENS0_13LpNormFunctorIfLNS0_8NormTypeE1EN3c104HalfELi1ELi1ELi0EEEJPfiEEEvT_T0_DpT1_.num_agpr, 0
	.set _ZN2at6native12_GLOBAL__N_125multi_tensor_apply_kernelINS1_18TensorListMetadataILi1EEENS0_13LpNormFunctorIfLNS0_8NormTypeE1EN3c104HalfELi1ELi1ELi0EEEJPfiEEEvT_T0_DpT1_.numbered_sgpr, 20
	.set _ZN2at6native12_GLOBAL__N_125multi_tensor_apply_kernelINS1_18TensorListMetadataILi1EEENS0_13LpNormFunctorIfLNS0_8NormTypeE1EN3c104HalfELi1ELi1ELi0EEEJPfiEEEvT_T0_DpT1_.num_named_barrier, 0
	.set _ZN2at6native12_GLOBAL__N_125multi_tensor_apply_kernelINS1_18TensorListMetadataILi1EEENS0_13LpNormFunctorIfLNS0_8NormTypeE1EN3c104HalfELi1ELi1ELi0EEEJPfiEEEvT_T0_DpT1_.private_seg_size, 0
	.set _ZN2at6native12_GLOBAL__N_125multi_tensor_apply_kernelINS1_18TensorListMetadataILi1EEENS0_13LpNormFunctorIfLNS0_8NormTypeE1EN3c104HalfELi1ELi1ELi0EEEJPfiEEEvT_T0_DpT1_.uses_vcc, 1
	.set _ZN2at6native12_GLOBAL__N_125multi_tensor_apply_kernelINS1_18TensorListMetadataILi1EEENS0_13LpNormFunctorIfLNS0_8NormTypeE1EN3c104HalfELi1ELi1ELi0EEEJPfiEEEvT_T0_DpT1_.uses_flat_scratch, 0
	.set _ZN2at6native12_GLOBAL__N_125multi_tensor_apply_kernelINS1_18TensorListMetadataILi1EEENS0_13LpNormFunctorIfLNS0_8NormTypeE1EN3c104HalfELi1ELi1ELi0EEEJPfiEEEvT_T0_DpT1_.has_dyn_sized_stack, 0
	.set _ZN2at6native12_GLOBAL__N_125multi_tensor_apply_kernelINS1_18TensorListMetadataILi1EEENS0_13LpNormFunctorIfLNS0_8NormTypeE1EN3c104HalfELi1ELi1ELi0EEEJPfiEEEvT_T0_DpT1_.has_recursion, 0
	.set _ZN2at6native12_GLOBAL__N_125multi_tensor_apply_kernelINS1_18TensorListMetadataILi1EEENS0_13LpNormFunctorIfLNS0_8NormTypeE1EN3c104HalfELi1ELi1ELi0EEEJPfiEEEvT_T0_DpT1_.has_indirect_call, 0
	.section	.AMDGPU.csdata,"",@progbits
; Kernel info:
; codeLenInByte = 1384
; TotalNumSgprs: 26
; NumVgprs: 18
; NumAgprs: 0
; TotalNumVgprs: 18
; ScratchSize: 0
; MemoryBound: 0
; FloatMode: 240
; IeeeMode: 1
; LDSByteSize: 2048 bytes/workgroup (compile time only)
; SGPRBlocks: 3
; VGPRBlocks: 2
; NumSGPRsForWavesPerEU: 26
; NumVGPRsForWavesPerEU: 18
; AccumOffset: 20
; Occupancy: 8
; WaveLimiterHint : 0
; COMPUTE_PGM_RSRC2:SCRATCH_EN: 0
; COMPUTE_PGM_RSRC2:USER_SGPR: 2
; COMPUTE_PGM_RSRC2:TRAP_HANDLER: 0
; COMPUTE_PGM_RSRC2:TGID_X_EN: 1
; COMPUTE_PGM_RSRC2:TGID_Y_EN: 0
; COMPUTE_PGM_RSRC2:TGID_Z_EN: 0
; COMPUTE_PGM_RSRC2:TIDIG_COMP_CNT: 0
; COMPUTE_PGM_RSRC3_GFX90A:ACCUM_OFFSET: 4
; COMPUTE_PGM_RSRC3_GFX90A:TG_SPLIT: 0
	.section	.text._ZN2at6native12_GLOBAL__N_125multi_tensor_apply_kernelINS1_18TensorListMetadataILi1EEENS0_13LpNormFunctorIfLNS0_8NormTypeE2EN3c104HalfELi1ELi1ELi0EEEJPfiEEEvT_T0_DpT1_,"axG",@progbits,_ZN2at6native12_GLOBAL__N_125multi_tensor_apply_kernelINS1_18TensorListMetadataILi1EEENS0_13LpNormFunctorIfLNS0_8NormTypeE2EN3c104HalfELi1ELi1ELi0EEEJPfiEEEvT_T0_DpT1_,comdat
	.globl	_ZN2at6native12_GLOBAL__N_125multi_tensor_apply_kernelINS1_18TensorListMetadataILi1EEENS0_13LpNormFunctorIfLNS0_8NormTypeE2EN3c104HalfELi1ELi1ELi0EEEJPfiEEEvT_T0_DpT1_ ; -- Begin function _ZN2at6native12_GLOBAL__N_125multi_tensor_apply_kernelINS1_18TensorListMetadataILi1EEENS0_13LpNormFunctorIfLNS0_8NormTypeE2EN3c104HalfELi1ELi1ELi0EEEJPfiEEEvT_T0_DpT1_
	.p2align	8
	.type	_ZN2at6native12_GLOBAL__N_125multi_tensor_apply_kernelINS1_18TensorListMetadataILi1EEENS0_13LpNormFunctorIfLNS0_8NormTypeE2EN3c104HalfELi1ELi1ELi0EEEJPfiEEEvT_T0_DpT1_,@function
_ZN2at6native12_GLOBAL__N_125multi_tensor_apply_kernelINS1_18TensorListMetadataILi1EEENS0_13LpNormFunctorIfLNS0_8NormTypeE2EN3c104HalfELi1ELi1ELi0EEEJPfiEEEvT_T0_DpT1_: ; @_ZN2at6native12_GLOBAL__N_125multi_tensor_apply_kernelINS1_18TensorListMetadataILi1EEENS0_13LpNormFunctorIfLNS0_8NormTypeE2EN3c104HalfELi1ELi1ELi0EEEJPfiEEEvT_T0_DpT1_
; %bb.0:
	v_mov_b32_e32 v1, s2
	global_load_ubyte v1, v1, s[0:1] offset:1760
	s_add_u32 s3, s0, s2
	s_mul_hi_u32 s4, s2, 3
	s_mul_i32 s2, s2, 3
	s_addc_u32 s5, s1, 0
	s_add_u32 s2, s3, s2
	s_addc_u32 s3, s5, s4
	s_load_dword s4, s[2:3], 0x820
	s_mov_b32 s15, 0
	s_waitcnt vmcnt(0)
	v_readfirstlane_b32 s2, v1
	s_and_b32 s16, s2, 0xff
	s_lshl_b32 s5, s16, 3
	s_load_dwordx2 s[2:3], s[0:1], s5 offset:0x370
	s_load_dwordx2 s[6:7], s[0:1], s5 offset:0x0
	s_waitcnt lgkmcnt(0)
	s_ashr_i32 s5, s4, 31
	s_lshl_b64 s[10:11], s[4:5], 16
	s_lshl_b64 s[8:9], s[4:5], 18
	s_add_u32 s12, s6, s8
	s_addc_u32 s13, s7, s9
	s_sub_u32 s10, s2, s10
	s_subb_u32 s11, s3, s11
	s_and_b32 s14, s2, 3
	s_and_b32 s2, s12, 15
	s_mov_b32 s3, s15
	s_or_b64 s[2:3], s[14:15], s[2:3]
	s_cmp_eq_u64 s[2:3], 0
	s_cbranch_scc1 .LBB70_12
; %bb.1:
	v_cmp_lt_i64_e64 s[2:3], s[10:11], 1
	s_and_b64 vcc, exec, s[2:3]
	s_cbranch_vccnz .LBB70_13
; %bb.2:
	s_load_dword s14, s[0:1], 0xd4c
	v_mov_b64_e32 v[2:3], 0x10000
	v_cmp_lt_i64_e32 vcc, s[10:11], v[2:3]
	s_and_b64 s[2:3], vcc, exec
	v_mov_b32_e32 v7, 0
	s_cselect_b32 s3, s11, 0
	s_cselect_b32 s2, s10, 0x10000
	s_waitcnt lgkmcnt(0)
	s_and_b32 s18, s14, 0xffff
	v_mov_b32_e32 v6, v7
	v_mad_u64_u32 v[12:13], s[14:15], s18, 3, v[0:1]
	v_mov_b32_e32 v8, v7
	v_mov_b32_e32 v9, v7
	v_mov_b64_e32 v[2:3], v[6:7]
	s_mov_b32 s5, 0x10000
	s_lshl_b32 s17, s18, 2
	v_lshl_add_u32 v10, s18, 1, v0
	v_add_u32_e32 v14, s18, v0
	s_mov_b64 s[14:15], 0
	v_mov_b64_e32 v[16:17], s[2:3]
	v_mov_b64_e32 v[4:5], v[8:9]
	s_branch .LBB70_4
.LBB70_3:                               ;   in Loop: Header=BB70_4 Depth=1
	s_or_b64 exec, exec, s[2:3]
	s_add_u32 s14, s14, s17
	s_addc_u32 s15, s15, 0
	v_cmp_lt_i64_e32 vcc, s[14:15], v[16:17]
	s_cbranch_vccz .LBB70_14
.LBB70_4:                               ; =>This Inner Loop Header: Depth=1
	v_add_u32_e32 v6, s14, v0
	v_cmp_gt_i64_e32 vcc, s[10:11], v[6:7]
	v_cmp_gt_u32_e64 s[2:3], s5, v6
	s_and_b64 s[18:19], s[2:3], vcc
	s_and_saveexec_b64 s[2:3], s[18:19]
	s_cbranch_execz .LBB70_6
; %bb.5:                                ;   in Loop: Header=BB70_4 Depth=1
	v_lshl_add_u64 v[8:9], v[6:7], 2, s[12:13]
	global_load_dword v1, v[8:9], off
	s_waitcnt vmcnt(0)
	v_fma_f32 v2, v1, v1, v2
.LBB70_6:                               ;   in Loop: Header=BB70_4 Depth=1
	s_or_b64 exec, exec, s[2:3]
	v_add_u32_e32 v6, s14, v14
	v_cmp_gt_i64_e32 vcc, s[10:11], v[6:7]
	v_cmp_gt_u32_e64 s[2:3], s5, v6
	s_and_b64 s[18:19], s[2:3], vcc
	s_and_saveexec_b64 s[2:3], s[18:19]
	s_cbranch_execz .LBB70_8
; %bb.7:                                ;   in Loop: Header=BB70_4 Depth=1
	v_lshl_add_u64 v[8:9], v[6:7], 2, s[12:13]
	global_load_dword v1, v[8:9], off
	s_waitcnt vmcnt(0)
	v_fma_f32 v3, v1, v1, v3
.LBB70_8:                               ;   in Loop: Header=BB70_4 Depth=1
	s_or_b64 exec, exec, s[2:3]
	v_add_u32_e32 v6, s14, v10
	v_cmp_gt_i64_e32 vcc, s[10:11], v[6:7]
	v_cmp_gt_u32_e64 s[2:3], s5, v6
	s_and_b64 s[18:19], s[2:3], vcc
	s_and_saveexec_b64 s[2:3], s[18:19]
	s_cbranch_execz .LBB70_10
; %bb.9:                                ;   in Loop: Header=BB70_4 Depth=1
	v_lshl_add_u64 v[8:9], v[6:7], 2, s[12:13]
	global_load_dword v1, v[8:9], off
	s_waitcnt vmcnt(0)
	v_fma_f32 v4, v1, v1, v4
.LBB70_10:                              ;   in Loop: Header=BB70_4 Depth=1
	s_or_b64 exec, exec, s[2:3]
	v_add_u32_e32 v6, s14, v12
	v_cmp_gt_i64_e32 vcc, s[10:11], v[6:7]
	v_cmp_gt_u32_e64 s[2:3], s5, v6
	s_and_b64 s[18:19], s[2:3], vcc
	s_and_saveexec_b64 s[2:3], s[18:19]
	s_cbranch_execz .LBB70_3
; %bb.11:                               ;   in Loop: Header=BB70_4 Depth=1
	v_lshl_add_u64 v[8:9], v[6:7], 2, s[12:13]
	global_load_dword v1, v[8:9], off
	s_waitcnt vmcnt(0)
	v_fma_f32 v5, v1, v1, v5
	s_branch .LBB70_3
.LBB70_12:
                                        ; implicit-def: $vgpr2_vgpr3_vgpr4_vgpr5
	s_branch .LBB70_15
.LBB70_13:
	v_mov_b32_e32 v2, 0
	v_mov_b32_e32 v3, v2
	;; [unrolled: 1-line block ×4, first 2 shown]
.LBB70_14:
	s_cbranch_execnz .LBB70_20
.LBB70_15:
	v_mov_b64_e32 v[4:5], 0x10000
	v_cmp_lt_i64_e32 vcc, s[10:11], v[4:5]
	v_mov_b32_e32 v2, 0
	s_and_b64 s[2:3], vcc, exec
	s_cselect_b32 s3, s11, 0
	s_cselect_b32 s2, s10, 0x10000
	v_lshlrev_b32_e32 v4, 2, v0
	v_mov_b32_e32 v5, v2
	v_cmp_gt_i64_e32 vcc, s[2:3], v[4:5]
	s_mov_b32 s13, 0
	v_mov_b32_e32 v3, v2
	v_mov_b32_e32 v4, v2
	s_and_saveexec_b64 s[10:11], vcc
	s_cbranch_execz .LBB70_19
; %bb.16:
	s_load_dword s5, s[0:1], 0xd4c
	v_lshlrev_b32_e32 v4, 4, v0
	v_mov_b32_e32 v5, v2
	v_mov_b32_e32 v1, v2
	v_mov_b64_e32 v[8:9], v[0:1]
	s_waitcnt lgkmcnt(0)
	s_and_b32 s12, s5, 0xffff
	s_add_u32 s8, s6, s8
	s_addc_u32 s9, s7, s9
	v_lshl_add_u64 v[4:5], s[8:9], 0, v[4:5]
	s_lshl_b32 s6, s12, 4
	v_lshl_add_u64 v[6:7], v[4:5], 0, 8
	s_mov_b32 s7, s13
	s_mov_b64 s[8:9], 0
	v_mov_b32_e32 v3, v2
	v_mov_b32_e32 v4, v2
	;; [unrolled: 1-line block ×3, first 2 shown]
.LBB70_17:                              ; =>This Inner Loop Header: Depth=1
	global_load_dwordx4 v[10:13], v[6:7], off offset:-8
	v_lshl_add_u64 v[8:9], v[8:9], 0, s[12:13]
	v_lshlrev_b64 v[14:15], 2, v[8:9]
	v_cmp_le_i64_e32 vcc, s[2:3], v[14:15]
	v_lshl_add_u64 v[6:7], v[6:7], 0, s[6:7]
	s_or_b64 s[8:9], vcc, s[8:9]
	s_waitcnt vmcnt(0)
	v_pk_fma_f32 v[4:5], v[12:13], v[12:13], v[4:5]
	v_pk_fma_f32 v[2:3], v[10:11], v[10:11], v[2:3]
	s_andn2_b64 exec, exec, s[8:9]
	s_cbranch_execnz .LBB70_17
; %bb.18:
	s_or_b64 exec, exec, s[8:9]
.LBB70_19:
	s_or_b64 exec, exec, s[10:11]
.LBB70_20:
	v_add_f32_e32 v1, 0, v2
	v_add_f32_e32 v1, v3, v1
	;; [unrolled: 1-line block ×4, first 2 shown]
	v_mbcnt_lo_u32_b32 v1, -1, 0
	v_mbcnt_hi_u32_b32 v6, -1, v1
	v_mov_b32_e32 v1, 0x80
	v_lshl_or_b32 v1, v6, 2, v1
	ds_bpermute_b32 v3, v1, v2
	v_and_b32_e32 v9, 63, v6
	v_cmp_gt_u32_e32 vcc, 48, v9
	s_waitcnt lgkmcnt(0)
	s_barrier
	v_add_f32_e32 v3, v2, v3
	v_cndmask_b32_e64 v2, 0, 16, vcc
	v_add_lshl_u32 v2, v2, v6, 2
	ds_bpermute_b32 v4, v2, v3
	v_cmp_gt_u32_e32 vcc, 56, v9
	s_waitcnt lgkmcnt(0)
	v_add_f32_e32 v4, v3, v4
	v_cndmask_b32_e64 v3, 0, 8, vcc
	v_add_lshl_u32 v3, v3, v6, 2
	ds_bpermute_b32 v5, v3, v4
	v_cmp_gt_u32_e32 vcc, 60, v9
	s_waitcnt lgkmcnt(0)
	;; [unrolled: 6-line block ×3, first 2 shown]
	v_add_f32_e32 v7, v5, v7
	v_cndmask_b32_e64 v8, 0, 2, vcc
	v_add_lshl_u32 v5, v8, v6, 2
	ds_bpermute_b32 v10, v5, v7
	v_cmp_ne_u32_e32 vcc, 63, v9
	v_and_b32_e32 v8, 63, v0
	s_waitcnt lgkmcnt(0)
	v_add_f32_e32 v7, v7, v10
	v_addc_co_u32_e32 v6, vcc, 0, v6, vcc
	v_lshlrev_b32_e32 v6, 2, v6
	ds_bpermute_b32 v9, v6, v7
	v_cmp_eq_u32_e32 vcc, 0, v8
	s_and_saveexec_b64 s[2:3], vcc
	s_cbranch_execz .LBB70_22
; %bb.21:
	v_lshrrev_b32_e32 v10, 4, v0
	s_waitcnt lgkmcnt(0)
	v_add_f32_e32 v7, v7, v9
	ds_write_b32 v10, v7
.LBB70_22:
	s_or_b64 exec, exec, s[2:3]
	s_waitcnt lgkmcnt(0)
	s_barrier
	s_load_dword s2, s[0:1], 0xd4c
	v_mov_b32_e32 v7, 0
	s_waitcnt lgkmcnt(0)
	s_bfe_u32 s2, s2, 0xa0006
	v_cmp_gt_u32_e32 vcc, s2, v0
	s_and_saveexec_b64 s[2:3], vcc
	s_cbranch_execnz .LBB70_26
; %bb.23:
	s_or_b64 exec, exec, s[2:3]
	v_cmp_gt_u32_e32 vcc, 64, v0
	s_and_saveexec_b64 s[2:3], vcc
	s_cbranch_execnz .LBB70_27
.LBB70_24:
	s_or_b64 exec, exec, s[2:3]
	v_cmp_eq_u32_e32 vcc, 0, v0
	s_and_saveexec_b64 s[2:3], vcc
	s_cbranch_execnz .LBB70_28
.LBB70_25:
	s_endpgm
.LBB70_26:
	v_lshlrev_b32_e32 v7, 2, v8
	ds_read_b32 v7, v7
	s_or_b64 exec, exec, s[2:3]
	v_cmp_gt_u32_e32 vcc, 64, v0
	s_and_saveexec_b64 s[2:3], vcc
	s_cbranch_execz .LBB70_24
.LBB70_27:
	s_waitcnt lgkmcnt(0)
	ds_bpermute_b32 v1, v1, v7
	s_waitcnt lgkmcnt(0)
	v_add_f32_e32 v1, v7, v1
	ds_bpermute_b32 v2, v2, v1
	s_waitcnt lgkmcnt(0)
	v_add_f32_e32 v1, v1, v2
	;; [unrolled: 3-line block ×6, first 2 shown]
	s_or_b64 exec, exec, s[2:3]
	v_cmp_eq_u32_e32 vcc, 0, v0
	s_and_saveexec_b64 s[2:3], vcc
	s_cbranch_execz .LBB70_25
.LBB70_28:
	s_load_dword s5, s[0:1], 0xd20
	s_load_dword s6, s[0:1], 0xd38
	s_load_dwordx2 s[2:3], s[0:1], 0xd30
	v_mov_b32_e32 v0, 0
	s_waitcnt lgkmcnt(0)
	s_add_i32 s0, s5, s16
	s_mul_i32 s0, s0, s6
	s_add_i32 s0, s0, s4
	s_ashr_i32 s1, s0, 31
	s_lshl_b64 s[0:1], s[0:1], 2
	s_add_u32 s0, s2, s0
	s_addc_u32 s1, s3, s1
	global_store_dword v0, v7, s[0:1]
	s_endpgm
	.section	.rodata,"a",@progbits
	.p2align	6, 0x0
	.amdhsa_kernel _ZN2at6native12_GLOBAL__N_125multi_tensor_apply_kernelINS1_18TensorListMetadataILi1EEENS0_13LpNormFunctorIfLNS0_8NormTypeE2EN3c104HalfELi1ELi1ELi0EEEJPfiEEEvT_T0_DpT1_
		.amdhsa_group_segment_fixed_size 2048
		.amdhsa_private_segment_fixed_size 0
		.amdhsa_kernarg_size 3648
		.amdhsa_user_sgpr_count 2
		.amdhsa_user_sgpr_dispatch_ptr 0
		.amdhsa_user_sgpr_queue_ptr 0
		.amdhsa_user_sgpr_kernarg_segment_ptr 1
		.amdhsa_user_sgpr_dispatch_id 0
		.amdhsa_user_sgpr_kernarg_preload_length 0
		.amdhsa_user_sgpr_kernarg_preload_offset 0
		.amdhsa_user_sgpr_private_segment_size 0
		.amdhsa_uses_dynamic_stack 0
		.amdhsa_enable_private_segment 0
		.amdhsa_system_sgpr_workgroup_id_x 1
		.amdhsa_system_sgpr_workgroup_id_y 0
		.amdhsa_system_sgpr_workgroup_id_z 0
		.amdhsa_system_sgpr_workgroup_info 0
		.amdhsa_system_vgpr_workitem_id 0
		.amdhsa_next_free_vgpr 18
		.amdhsa_next_free_sgpr 20
		.amdhsa_accum_offset 20
		.amdhsa_reserve_vcc 1
		.amdhsa_float_round_mode_32 0
		.amdhsa_float_round_mode_16_64 0
		.amdhsa_float_denorm_mode_32 3
		.amdhsa_float_denorm_mode_16_64 3
		.amdhsa_dx10_clamp 1
		.amdhsa_ieee_mode 1
		.amdhsa_fp16_overflow 0
		.amdhsa_tg_split 0
		.amdhsa_exception_fp_ieee_invalid_op 0
		.amdhsa_exception_fp_denorm_src 0
		.amdhsa_exception_fp_ieee_div_zero 0
		.amdhsa_exception_fp_ieee_overflow 0
		.amdhsa_exception_fp_ieee_underflow 0
		.amdhsa_exception_fp_ieee_inexact 0
		.amdhsa_exception_int_div_zero 0
	.end_amdhsa_kernel
	.section	.text._ZN2at6native12_GLOBAL__N_125multi_tensor_apply_kernelINS1_18TensorListMetadataILi1EEENS0_13LpNormFunctorIfLNS0_8NormTypeE2EN3c104HalfELi1ELi1ELi0EEEJPfiEEEvT_T0_DpT1_,"axG",@progbits,_ZN2at6native12_GLOBAL__N_125multi_tensor_apply_kernelINS1_18TensorListMetadataILi1EEENS0_13LpNormFunctorIfLNS0_8NormTypeE2EN3c104HalfELi1ELi1ELi0EEEJPfiEEEvT_T0_DpT1_,comdat
.Lfunc_end70:
	.size	_ZN2at6native12_GLOBAL__N_125multi_tensor_apply_kernelINS1_18TensorListMetadataILi1EEENS0_13LpNormFunctorIfLNS0_8NormTypeE2EN3c104HalfELi1ELi1ELi0EEEJPfiEEEvT_T0_DpT1_, .Lfunc_end70-_ZN2at6native12_GLOBAL__N_125multi_tensor_apply_kernelINS1_18TensorListMetadataILi1EEENS0_13LpNormFunctorIfLNS0_8NormTypeE2EN3c104HalfELi1ELi1ELi0EEEJPfiEEEvT_T0_DpT1_
                                        ; -- End function
	.set _ZN2at6native12_GLOBAL__N_125multi_tensor_apply_kernelINS1_18TensorListMetadataILi1EEENS0_13LpNormFunctorIfLNS0_8NormTypeE2EN3c104HalfELi1ELi1ELi0EEEJPfiEEEvT_T0_DpT1_.num_vgpr, 18
	.set _ZN2at6native12_GLOBAL__N_125multi_tensor_apply_kernelINS1_18TensorListMetadataILi1EEENS0_13LpNormFunctorIfLNS0_8NormTypeE2EN3c104HalfELi1ELi1ELi0EEEJPfiEEEvT_T0_DpT1_.num_agpr, 0
	.set _ZN2at6native12_GLOBAL__N_125multi_tensor_apply_kernelINS1_18TensorListMetadataILi1EEENS0_13LpNormFunctorIfLNS0_8NormTypeE2EN3c104HalfELi1ELi1ELi0EEEJPfiEEEvT_T0_DpT1_.numbered_sgpr, 20
	.set _ZN2at6native12_GLOBAL__N_125multi_tensor_apply_kernelINS1_18TensorListMetadataILi1EEENS0_13LpNormFunctorIfLNS0_8NormTypeE2EN3c104HalfELi1ELi1ELi0EEEJPfiEEEvT_T0_DpT1_.num_named_barrier, 0
	.set _ZN2at6native12_GLOBAL__N_125multi_tensor_apply_kernelINS1_18TensorListMetadataILi1EEENS0_13LpNormFunctorIfLNS0_8NormTypeE2EN3c104HalfELi1ELi1ELi0EEEJPfiEEEvT_T0_DpT1_.private_seg_size, 0
	.set _ZN2at6native12_GLOBAL__N_125multi_tensor_apply_kernelINS1_18TensorListMetadataILi1EEENS0_13LpNormFunctorIfLNS0_8NormTypeE2EN3c104HalfELi1ELi1ELi0EEEJPfiEEEvT_T0_DpT1_.uses_vcc, 1
	.set _ZN2at6native12_GLOBAL__N_125multi_tensor_apply_kernelINS1_18TensorListMetadataILi1EEENS0_13LpNormFunctorIfLNS0_8NormTypeE2EN3c104HalfELi1ELi1ELi0EEEJPfiEEEvT_T0_DpT1_.uses_flat_scratch, 0
	.set _ZN2at6native12_GLOBAL__N_125multi_tensor_apply_kernelINS1_18TensorListMetadataILi1EEENS0_13LpNormFunctorIfLNS0_8NormTypeE2EN3c104HalfELi1ELi1ELi0EEEJPfiEEEvT_T0_DpT1_.has_dyn_sized_stack, 0
	.set _ZN2at6native12_GLOBAL__N_125multi_tensor_apply_kernelINS1_18TensorListMetadataILi1EEENS0_13LpNormFunctorIfLNS0_8NormTypeE2EN3c104HalfELi1ELi1ELi0EEEJPfiEEEvT_T0_DpT1_.has_recursion, 0
	.set _ZN2at6native12_GLOBAL__N_125multi_tensor_apply_kernelINS1_18TensorListMetadataILi1EEENS0_13LpNormFunctorIfLNS0_8NormTypeE2EN3c104HalfELi1ELi1ELi0EEEJPfiEEEvT_T0_DpT1_.has_indirect_call, 0
	.section	.AMDGPU.csdata,"",@progbits
; Kernel info:
; codeLenInByte = 1352
; TotalNumSgprs: 26
; NumVgprs: 18
; NumAgprs: 0
; TotalNumVgprs: 18
; ScratchSize: 0
; MemoryBound: 0
; FloatMode: 240
; IeeeMode: 1
; LDSByteSize: 2048 bytes/workgroup (compile time only)
; SGPRBlocks: 3
; VGPRBlocks: 2
; NumSGPRsForWavesPerEU: 26
; NumVGPRsForWavesPerEU: 18
; AccumOffset: 20
; Occupancy: 8
; WaveLimiterHint : 0
; COMPUTE_PGM_RSRC2:SCRATCH_EN: 0
; COMPUTE_PGM_RSRC2:USER_SGPR: 2
; COMPUTE_PGM_RSRC2:TRAP_HANDLER: 0
; COMPUTE_PGM_RSRC2:TGID_X_EN: 1
; COMPUTE_PGM_RSRC2:TGID_Y_EN: 0
; COMPUTE_PGM_RSRC2:TGID_Z_EN: 0
; COMPUTE_PGM_RSRC2:TIDIG_COMP_CNT: 0
; COMPUTE_PGM_RSRC3_GFX90A:ACCUM_OFFSET: 4
; COMPUTE_PGM_RSRC3_GFX90A:TG_SPLIT: 0
	.section	.text._ZN2at6native12_GLOBAL__N_125multi_tensor_apply_kernelINS1_18TensorListMetadataILi1EEENS0_13LpNormFunctorIfLNS0_8NormTypeE3EN3c104HalfELi1ELi1ELi0EEEJPfiEEEvT_T0_DpT1_,"axG",@progbits,_ZN2at6native12_GLOBAL__N_125multi_tensor_apply_kernelINS1_18TensorListMetadataILi1EEENS0_13LpNormFunctorIfLNS0_8NormTypeE3EN3c104HalfELi1ELi1ELi0EEEJPfiEEEvT_T0_DpT1_,comdat
	.globl	_ZN2at6native12_GLOBAL__N_125multi_tensor_apply_kernelINS1_18TensorListMetadataILi1EEENS0_13LpNormFunctorIfLNS0_8NormTypeE3EN3c104HalfELi1ELi1ELi0EEEJPfiEEEvT_T0_DpT1_ ; -- Begin function _ZN2at6native12_GLOBAL__N_125multi_tensor_apply_kernelINS1_18TensorListMetadataILi1EEENS0_13LpNormFunctorIfLNS0_8NormTypeE3EN3c104HalfELi1ELi1ELi0EEEJPfiEEEvT_T0_DpT1_
	.p2align	8
	.type	_ZN2at6native12_GLOBAL__N_125multi_tensor_apply_kernelINS1_18TensorListMetadataILi1EEENS0_13LpNormFunctorIfLNS0_8NormTypeE3EN3c104HalfELi1ELi1ELi0EEEJPfiEEEvT_T0_DpT1_,@function
_ZN2at6native12_GLOBAL__N_125multi_tensor_apply_kernelINS1_18TensorListMetadataILi1EEENS0_13LpNormFunctorIfLNS0_8NormTypeE3EN3c104HalfELi1ELi1ELi0EEEJPfiEEEvT_T0_DpT1_: ; @_ZN2at6native12_GLOBAL__N_125multi_tensor_apply_kernelINS1_18TensorListMetadataILi1EEENS0_13LpNormFunctorIfLNS0_8NormTypeE3EN3c104HalfELi1ELi1ELi0EEEJPfiEEEvT_T0_DpT1_
; %bb.0:
	v_mov_b32_e32 v1, s2
	global_load_ubyte v1, v1, s[0:1] offset:1760
	s_add_u32 s3, s0, s2
	s_mul_hi_u32 s4, s2, 3
	s_mul_i32 s2, s2, 3
	s_addc_u32 s5, s1, 0
	s_add_u32 s2, s3, s2
	s_addc_u32 s3, s5, s4
	s_load_dword s10, s[2:3], 0x820
	s_mov_b32 s15, 0
	s_waitcnt lgkmcnt(0)
	s_ashr_i32 s11, s10, 31
	s_lshl_b64 s[8:9], s[10:11], 16
	s_waitcnt vmcnt(0)
	v_readfirstlane_b32 s2, v1
	s_and_b32 s22, s2, 0xff
	s_lshl_b32 s6, s22, 3
	s_load_dwordx2 s[2:3], s[0:1], s6 offset:0x370
	s_load_dwordx2 s[4:5], s[0:1], s6 offset:0x0
	s_lshl_b64 s[6:7], s[10:11], 18
	s_waitcnt lgkmcnt(0)
	s_add_u32 s12, s4, s6
	s_addc_u32 s13, s5, s7
	s_sub_u32 s8, s2, s8
	s_subb_u32 s9, s3, s9
	s_and_b32 s14, s2, 3
	s_and_b32 s2, s12, 15
	s_mov_b32 s3, s15
	s_or_b64 s[2:3], s[14:15], s[2:3]
	s_cmp_eq_u64 s[2:3], 0
	s_cbranch_scc1 .LBB71_12
; %bb.1:
	v_cmp_lt_i64_e64 s[2:3], s[8:9], 1
	s_and_b64 vcc, exec, s[2:3]
	s_cbranch_vccnz .LBB71_13
; %bb.2:
	s_load_dword s14, s[0:1], 0xd4c
	v_mov_b64_e32 v[2:3], 0x10000
	v_cmp_lt_i64_e32 vcc, s[8:9], v[2:3]
	s_and_b64 s[2:3], vcc, exec
	v_mov_b32_e32 v7, 0
	s_cselect_b32 s3, s9, 0
	s_cselect_b32 s2, s8, 0x10000
	s_waitcnt lgkmcnt(0)
	s_and_b32 s17, s14, 0xffff
	v_mov_b32_e32 v6, v7
	v_mad_u64_u32 v[12:13], s[14:15], s17, 3, v[0:1]
	v_mov_b32_e32 v8, v7
	v_mov_b32_e32 v9, v7
	v_mov_b64_e32 v[2:3], v[6:7]
	s_mov_b32 s11, 0x10000
	s_lshl_b32 s16, s17, 2
	v_lshl_add_u32 v10, s17, 1, v0
	v_add_u32_e32 v14, s17, v0
	s_mov_b64 s[14:15], 0
	v_mov_b64_e32 v[16:17], s[2:3]
	v_mov_b64_e32 v[4:5], v[8:9]
	s_branch .LBB71_4
.LBB71_3:                               ;   in Loop: Header=BB71_4 Depth=1
	s_or_b64 exec, exec, s[2:3]
	s_add_u32 s14, s14, s16
	s_addc_u32 s15, s15, 0
	v_cmp_lt_i64_e32 vcc, s[14:15], v[16:17]
	s_cbranch_vccz .LBB71_14
.LBB71_4:                               ; =>This Inner Loop Header: Depth=1
	v_add_u32_e32 v6, s14, v0
	v_cmp_gt_i64_e32 vcc, s[8:9], v[6:7]
	v_cmp_gt_u32_e64 s[2:3], s11, v6
	s_and_b64 s[18:19], s[2:3], vcc
	s_and_saveexec_b64 s[2:3], s[18:19]
	s_cbranch_execz .LBB71_6
; %bb.5:                                ;   in Loop: Header=BB71_4 Depth=1
	v_lshl_add_u64 v[8:9], v[6:7], 2, s[12:13]
	global_load_dword v1, v[8:9], off
	s_waitcnt vmcnt(0)
	v_cmp_u_f32_e32 vcc, v1, v1
	v_cmp_lt_f32_e64 s[18:19], v2, |v1|
	s_or_b64 s[18:19], vcc, s[18:19]
	s_nop 0
	v_cndmask_b32_e64 v2, v2, |v1|, s[18:19]
.LBB71_6:                               ;   in Loop: Header=BB71_4 Depth=1
	s_or_b64 exec, exec, s[2:3]
	v_add_u32_e32 v6, s14, v14
	v_cmp_gt_i64_e32 vcc, s[8:9], v[6:7]
	v_cmp_gt_u32_e64 s[2:3], s11, v6
	s_and_b64 s[18:19], s[2:3], vcc
	s_and_saveexec_b64 s[2:3], s[18:19]
	s_cbranch_execz .LBB71_8
; %bb.7:                                ;   in Loop: Header=BB71_4 Depth=1
	v_lshl_add_u64 v[8:9], v[6:7], 2, s[12:13]
	global_load_dword v1, v[8:9], off
	s_waitcnt vmcnt(0)
	v_cmp_u_f32_e32 vcc, v1, v1
	v_cmp_lt_f32_e64 s[18:19], v3, |v1|
	s_or_b64 s[18:19], vcc, s[18:19]
	s_nop 0
	v_cndmask_b32_e64 v3, v3, |v1|, s[18:19]
.LBB71_8:                               ;   in Loop: Header=BB71_4 Depth=1
	s_or_b64 exec, exec, s[2:3]
	v_add_u32_e32 v6, s14, v10
	v_cmp_gt_i64_e32 vcc, s[8:9], v[6:7]
	v_cmp_gt_u32_e64 s[2:3], s11, v6
	s_and_b64 s[18:19], s[2:3], vcc
	s_and_saveexec_b64 s[2:3], s[18:19]
	s_cbranch_execz .LBB71_10
; %bb.9:                                ;   in Loop: Header=BB71_4 Depth=1
	v_lshl_add_u64 v[8:9], v[6:7], 2, s[12:13]
	global_load_dword v1, v[8:9], off
	s_waitcnt vmcnt(0)
	v_cmp_u_f32_e32 vcc, v1, v1
	v_cmp_lt_f32_e64 s[18:19], v4, |v1|
	s_or_b64 s[18:19], vcc, s[18:19]
	s_nop 0
	v_cndmask_b32_e64 v4, v4, |v1|, s[18:19]
.LBB71_10:                              ;   in Loop: Header=BB71_4 Depth=1
	s_or_b64 exec, exec, s[2:3]
	v_add_u32_e32 v6, s14, v12
	v_cmp_gt_i64_e32 vcc, s[8:9], v[6:7]
	v_cmp_gt_u32_e64 s[2:3], s11, v6
	s_and_b64 s[18:19], s[2:3], vcc
	s_and_saveexec_b64 s[2:3], s[18:19]
	s_cbranch_execz .LBB71_3
; %bb.11:                               ;   in Loop: Header=BB71_4 Depth=1
	v_lshl_add_u64 v[8:9], v[6:7], 2, s[12:13]
	global_load_dword v1, v[8:9], off
	s_waitcnt vmcnt(0)
	v_cmp_u_f32_e32 vcc, v1, v1
	v_cmp_lt_f32_e64 s[18:19], v5, |v1|
	s_or_b64 s[18:19], vcc, s[18:19]
	s_nop 0
	v_cndmask_b32_e64 v5, v5, |v1|, s[18:19]
	s_branch .LBB71_3
.LBB71_12:
                                        ; implicit-def: $vgpr2_vgpr3_vgpr4_vgpr5
	s_branch .LBB71_15
.LBB71_13:
	v_mov_b32_e32 v2, 0
	v_mov_b32_e32 v3, v2
	;; [unrolled: 1-line block ×4, first 2 shown]
.LBB71_14:
	s_cbranch_execnz .LBB71_20
.LBB71_15:
	v_mov_b64_e32 v[4:5], 0x10000
	v_cmp_lt_i64_e32 vcc, s[8:9], v[4:5]
	s_and_b64 s[2:3], vcc, exec
	v_mov_b32_e32 v3, 0
	s_cselect_b32 s13, s9, 0
	s_cselect_b32 s12, s8, 0x10000
	v_lshlrev_b32_e32 v2, 2, v0
	v_cmp_gt_i64_e32 vcc, s[12:13], v[2:3]
	s_mov_b32 s17, 0
	v_mov_b32_e32 v2, v3
	v_mov_b32_e32 v4, v3
	;; [unrolled: 1-line block ×3, first 2 shown]
	s_and_saveexec_b64 s[14:15], vcc
	s_cbranch_execz .LBB71_19
; %bb.16:
	s_load_dword s2, s[0:1], 0xd4c
	v_lshlrev_b32_e32 v2, 4, v0
	v_mov_b32_e32 v1, v3
	s_mov_b32 s19, s17
	s_mov_b64 s[20:21], 0
	s_waitcnt lgkmcnt(0)
	s_and_b32 s16, s2, 0xffff
	s_add_u32 s2, s4, s6
	s_addc_u32 s3, s5, s7
	v_lshl_add_u64 v[4:5], s[2:3], 0, v[2:3]
	s_lshl_b32 s18, s16, 4
	v_lshl_add_u64 v[8:9], v[4:5], 0, 8
	v_mov_b64_e32 v[10:11], v[0:1]
	v_mov_b32_e32 v5, 0
	v_mov_b32_e32 v6, 0
	;; [unrolled: 1-line block ×3, first 2 shown]
.LBB71_17:                              ; =>This Inner Loop Header: Depth=1
	global_load_dwordx4 v[12:15], v[8:9], off offset:-8
	v_lshl_add_u64 v[10:11], v[10:11], 0, s[16:17]
	v_lshlrev_b64 v[16:17], 2, v[10:11]
	v_cmp_le_i64_e32 vcc, s[12:13], v[16:17]
	v_lshl_add_u64 v[8:9], v[8:9], 0, s[18:19]
	s_waitcnt vmcnt(0)
	v_cmp_u_f32_e64 s[2:3], v15, v15
	v_cmp_lt_f32_e64 s[24:25], v7, |v15|
	v_cmp_u_f32_e64 s[4:5], v14, v14
	v_cmp_lt_f32_e64 s[26:27], v6, |v14|
	s_or_b64 s[2:3], s[2:3], s[24:25]
	v_cmp_u_f32_e64 s[6:7], v13, v13
	v_cmp_u_f32_e64 s[8:9], v12, v12
	v_cmp_lt_f32_e64 s[28:29], v5, |v13|
	v_cmp_lt_f32_e64 s[30:31], v3, |v12|
	v_cndmask_b32_e64 v7, v7, |v15|, s[2:3]
	s_or_b64 s[2:3], s[4:5], s[26:27]
	s_or_b64 s[8:9], s[8:9], s[30:31]
	v_cndmask_b32_e64 v6, v6, |v14|, s[2:3]
	s_or_b64 s[2:3], s[6:7], s[28:29]
	v_cndmask_b32_e64 v5, v5, |v13|, s[2:3]
	s_or_b64 s[20:21], vcc, s[20:21]
	v_cndmask_b32_e64 v3, v3, |v12|, s[8:9]
	s_andn2_b64 exec, exec, s[20:21]
	s_cbranch_execnz .LBB71_17
; %bb.18:
	s_or_b64 exec, exec, s[20:21]
	v_mov_b32_e32 v4, v3
	v_mov_b64_e32 v[2:3], v[4:5]
	v_mov_b64_e32 v[4:5], v[6:7]
.LBB71_19:
	s_or_b64 exec, exec, s[14:15]
.LBB71_20:
	v_cmp_nge_f32_e32 vcc, 0, v2
	v_and_b32_e32 v8, 63, v0
	s_nop 0
	v_cndmask_b32_e32 v1, 0, v2, vcc
	v_cmp_u_f32_e32 vcc, v3, v3
	v_cmp_lt_f32_e64 s[2:3], v1, v3
	s_or_b64 vcc, vcc, s[2:3]
	v_cndmask_b32_e32 v1, v1, v3, vcc
	v_cmp_u_f32_e32 vcc, v4, v4
	v_cmp_lt_f32_e64 s[2:3], v1, v4
	s_or_b64 vcc, vcc, s[2:3]
	;; [unrolled: 4-line block ×3, first 2 shown]
	v_cndmask_b32_e32 v2, v1, v5, vcc
	v_mbcnt_lo_u32_b32 v1, -1, 0
	v_mbcnt_hi_u32_b32 v6, -1, v1
	v_mov_b32_e32 v1, 0x80
	v_lshl_or_b32 v1, v6, 2, v1
	ds_bpermute_b32 v3, v1, v2
	v_and_b32_e32 v9, 63, v6
	s_barrier
	s_waitcnt lgkmcnt(0)
	v_cmp_u_f32_e32 vcc, v3, v3
	v_cmp_lt_f32_e64 s[2:3], v2, v3
	s_or_b64 vcc, vcc, s[2:3]
	v_cndmask_b32_e32 v3, v2, v3, vcc
	v_cmp_gt_u32_e32 vcc, 48, v9
	s_nop 1
	v_cndmask_b32_e64 v2, 0, 16, vcc
	v_add_lshl_u32 v2, v2, v6, 2
	ds_bpermute_b32 v4, v2, v3
	s_waitcnt lgkmcnt(0)
	v_cmp_u_f32_e32 vcc, v4, v4
	v_cmp_lt_f32_e64 s[2:3], v3, v4
	s_or_b64 vcc, vcc, s[2:3]
	v_cndmask_b32_e32 v4, v3, v4, vcc
	v_cmp_gt_u32_e32 vcc, 56, v9
	s_nop 1
	v_cndmask_b32_e64 v3, 0, 8, vcc
	v_add_lshl_u32 v3, v3, v6, 2
	ds_bpermute_b32 v5, v3, v4
	;; [unrolled: 10-line block ×4, first 2 shown]
	s_waitcnt lgkmcnt(0)
	v_cmp_u_f32_e32 vcc, v10, v10
	v_cmp_lt_f32_e64 s[2:3], v7, v10
	s_or_b64 vcc, vcc, s[2:3]
	v_cndmask_b32_e32 v7, v7, v10, vcc
	v_cmp_ne_u32_e32 vcc, 63, v9
	s_nop 1
	v_addc_co_u32_e32 v6, vcc, 0, v6, vcc
	v_lshlrev_b32_e32 v6, 2, v6
	ds_bpermute_b32 v9, v6, v7
	v_cmp_eq_u32_e32 vcc, 0, v8
	s_and_saveexec_b64 s[4:5], vcc
	s_cbranch_execz .LBB71_22
; %bb.21:
	s_waitcnt lgkmcnt(0)
	v_cmp_u_f32_e32 vcc, v9, v9
	v_cmp_lt_f32_e64 s[2:3], v7, v9
	s_or_b64 vcc, vcc, s[2:3]
	v_lshrrev_b32_e32 v10, 4, v0
	v_cndmask_b32_e32 v7, v7, v9, vcc
	ds_write_b32 v10, v7
.LBB71_22:
	s_or_b64 exec, exec, s[4:5]
	s_waitcnt lgkmcnt(0)
	s_barrier
	s_load_dword s2, s[0:1], 0xd4c
	v_mov_b32_e32 v7, 0xff7fffff
	s_waitcnt lgkmcnt(0)
	s_bfe_u32 s2, s2, 0xa0006
	v_cmp_gt_u32_e32 vcc, s2, v0
	s_and_saveexec_b64 s[2:3], vcc
	s_cbranch_execnz .LBB71_26
; %bb.23:
	s_or_b64 exec, exec, s[2:3]
	v_cmp_gt_u32_e32 vcc, 64, v0
	s_and_saveexec_b64 s[4:5], vcc
	s_cbranch_execnz .LBB71_27
.LBB71_24:
	s_or_b64 exec, exec, s[4:5]
	v_cmp_eq_u32_e32 vcc, 0, v0
	s_and_saveexec_b64 s[2:3], vcc
	s_cbranch_execnz .LBB71_28
.LBB71_25:
	s_endpgm
.LBB71_26:
	v_lshlrev_b32_e32 v7, 2, v8
	ds_read_b32 v7, v7
	s_or_b64 exec, exec, s[2:3]
	v_cmp_gt_u32_e32 vcc, 64, v0
	s_and_saveexec_b64 s[4:5], vcc
	s_cbranch_execz .LBB71_24
.LBB71_27:
	s_waitcnt lgkmcnt(0)
	ds_bpermute_b32 v1, v1, v7
	s_waitcnt lgkmcnt(0)
	v_cmp_u_f32_e32 vcc, v1, v1
	v_cmp_lt_f32_e64 s[2:3], v7, v1
	s_or_b64 vcc, vcc, s[2:3]
	v_cndmask_b32_e32 v1, v7, v1, vcc
	ds_bpermute_b32 v2, v2, v1
	s_waitcnt lgkmcnt(0)
	v_cmp_u_f32_e32 vcc, v2, v2
	v_cmp_lt_f32_e64 s[2:3], v1, v2
	s_or_b64 vcc, vcc, s[2:3]
	v_cndmask_b32_e32 v1, v1, v2, vcc
	;; [unrolled: 6-line block ×6, first 2 shown]
	s_or_b64 exec, exec, s[4:5]
	v_cmp_eq_u32_e32 vcc, 0, v0
	s_and_saveexec_b64 s[2:3], vcc
	s_cbranch_execz .LBB71_25
.LBB71_28:
	s_load_dword s4, s[0:1], 0xd20
	s_load_dword s5, s[0:1], 0xd38
	s_load_dwordx2 s[2:3], s[0:1], 0xd30
	v_mov_b32_e32 v0, 0
	s_waitcnt lgkmcnt(0)
	s_add_i32 s0, s4, s22
	s_mul_i32 s0, s0, s5
	s_add_i32 s0, s0, s10
	s_ashr_i32 s1, s0, 31
	s_lshl_b64 s[0:1], s[0:1], 2
	s_add_u32 s0, s2, s0
	s_addc_u32 s1, s3, s1
	global_store_dword v0, v7, s[0:1]
	s_endpgm
	.section	.rodata,"a",@progbits
	.p2align	6, 0x0
	.amdhsa_kernel _ZN2at6native12_GLOBAL__N_125multi_tensor_apply_kernelINS1_18TensorListMetadataILi1EEENS0_13LpNormFunctorIfLNS0_8NormTypeE3EN3c104HalfELi1ELi1ELi0EEEJPfiEEEvT_T0_DpT1_
		.amdhsa_group_segment_fixed_size 2048
		.amdhsa_private_segment_fixed_size 0
		.amdhsa_kernarg_size 3648
		.amdhsa_user_sgpr_count 2
		.amdhsa_user_sgpr_dispatch_ptr 0
		.amdhsa_user_sgpr_queue_ptr 0
		.amdhsa_user_sgpr_kernarg_segment_ptr 1
		.amdhsa_user_sgpr_dispatch_id 0
		.amdhsa_user_sgpr_kernarg_preload_length 0
		.amdhsa_user_sgpr_kernarg_preload_offset 0
		.amdhsa_user_sgpr_private_segment_size 0
		.amdhsa_uses_dynamic_stack 0
		.amdhsa_enable_private_segment 0
		.amdhsa_system_sgpr_workgroup_id_x 1
		.amdhsa_system_sgpr_workgroup_id_y 0
		.amdhsa_system_sgpr_workgroup_id_z 0
		.amdhsa_system_sgpr_workgroup_info 0
		.amdhsa_system_vgpr_workitem_id 0
		.amdhsa_next_free_vgpr 18
		.amdhsa_next_free_sgpr 32
		.amdhsa_accum_offset 20
		.amdhsa_reserve_vcc 1
		.amdhsa_float_round_mode_32 0
		.amdhsa_float_round_mode_16_64 0
		.amdhsa_float_denorm_mode_32 3
		.amdhsa_float_denorm_mode_16_64 3
		.amdhsa_dx10_clamp 1
		.amdhsa_ieee_mode 1
		.amdhsa_fp16_overflow 0
		.amdhsa_tg_split 0
		.amdhsa_exception_fp_ieee_invalid_op 0
		.amdhsa_exception_fp_denorm_src 0
		.amdhsa_exception_fp_ieee_div_zero 0
		.amdhsa_exception_fp_ieee_overflow 0
		.amdhsa_exception_fp_ieee_underflow 0
		.amdhsa_exception_fp_ieee_inexact 0
		.amdhsa_exception_int_div_zero 0
	.end_amdhsa_kernel
	.section	.text._ZN2at6native12_GLOBAL__N_125multi_tensor_apply_kernelINS1_18TensorListMetadataILi1EEENS0_13LpNormFunctorIfLNS0_8NormTypeE3EN3c104HalfELi1ELi1ELi0EEEJPfiEEEvT_T0_DpT1_,"axG",@progbits,_ZN2at6native12_GLOBAL__N_125multi_tensor_apply_kernelINS1_18TensorListMetadataILi1EEENS0_13LpNormFunctorIfLNS0_8NormTypeE3EN3c104HalfELi1ELi1ELi0EEEJPfiEEEvT_T0_DpT1_,comdat
.Lfunc_end71:
	.size	_ZN2at6native12_GLOBAL__N_125multi_tensor_apply_kernelINS1_18TensorListMetadataILi1EEENS0_13LpNormFunctorIfLNS0_8NormTypeE3EN3c104HalfELi1ELi1ELi0EEEJPfiEEEvT_T0_DpT1_, .Lfunc_end71-_ZN2at6native12_GLOBAL__N_125multi_tensor_apply_kernelINS1_18TensorListMetadataILi1EEENS0_13LpNormFunctorIfLNS0_8NormTypeE3EN3c104HalfELi1ELi1ELi0EEEJPfiEEEvT_T0_DpT1_
                                        ; -- End function
	.set _ZN2at6native12_GLOBAL__N_125multi_tensor_apply_kernelINS1_18TensorListMetadataILi1EEENS0_13LpNormFunctorIfLNS0_8NormTypeE3EN3c104HalfELi1ELi1ELi0EEEJPfiEEEvT_T0_DpT1_.num_vgpr, 18
	.set _ZN2at6native12_GLOBAL__N_125multi_tensor_apply_kernelINS1_18TensorListMetadataILi1EEENS0_13LpNormFunctorIfLNS0_8NormTypeE3EN3c104HalfELi1ELi1ELi0EEEJPfiEEEvT_T0_DpT1_.num_agpr, 0
	.set _ZN2at6native12_GLOBAL__N_125multi_tensor_apply_kernelINS1_18TensorListMetadataILi1EEENS0_13LpNormFunctorIfLNS0_8NormTypeE3EN3c104HalfELi1ELi1ELi0EEEJPfiEEEvT_T0_DpT1_.numbered_sgpr, 32
	.set _ZN2at6native12_GLOBAL__N_125multi_tensor_apply_kernelINS1_18TensorListMetadataILi1EEENS0_13LpNormFunctorIfLNS0_8NormTypeE3EN3c104HalfELi1ELi1ELi0EEEJPfiEEEvT_T0_DpT1_.num_named_barrier, 0
	.set _ZN2at6native12_GLOBAL__N_125multi_tensor_apply_kernelINS1_18TensorListMetadataILi1EEENS0_13LpNormFunctorIfLNS0_8NormTypeE3EN3c104HalfELi1ELi1ELi0EEEJPfiEEEvT_T0_DpT1_.private_seg_size, 0
	.set _ZN2at6native12_GLOBAL__N_125multi_tensor_apply_kernelINS1_18TensorListMetadataILi1EEENS0_13LpNormFunctorIfLNS0_8NormTypeE3EN3c104HalfELi1ELi1ELi0EEEJPfiEEEvT_T0_DpT1_.uses_vcc, 1
	.set _ZN2at6native12_GLOBAL__N_125multi_tensor_apply_kernelINS1_18TensorListMetadataILi1EEENS0_13LpNormFunctorIfLNS0_8NormTypeE3EN3c104HalfELi1ELi1ELi0EEEJPfiEEEvT_T0_DpT1_.uses_flat_scratch, 0
	.set _ZN2at6native12_GLOBAL__N_125multi_tensor_apply_kernelINS1_18TensorListMetadataILi1EEENS0_13LpNormFunctorIfLNS0_8NormTypeE3EN3c104HalfELi1ELi1ELi0EEEJPfiEEEvT_T0_DpT1_.has_dyn_sized_stack, 0
	.set _ZN2at6native12_GLOBAL__N_125multi_tensor_apply_kernelINS1_18TensorListMetadataILi1EEENS0_13LpNormFunctorIfLNS0_8NormTypeE3EN3c104HalfELi1ELi1ELi0EEEJPfiEEEvT_T0_DpT1_.has_recursion, 0
	.set _ZN2at6native12_GLOBAL__N_125multi_tensor_apply_kernelINS1_18TensorListMetadataILi1EEENS0_13LpNormFunctorIfLNS0_8NormTypeE3EN3c104HalfELi1ELi1ELi0EEEJPfiEEEvT_T0_DpT1_.has_indirect_call, 0
	.section	.AMDGPU.csdata,"",@progbits
; Kernel info:
; codeLenInByte = 1812
; TotalNumSgprs: 38
; NumVgprs: 18
; NumAgprs: 0
; TotalNumVgprs: 18
; ScratchSize: 0
; MemoryBound: 0
; FloatMode: 240
; IeeeMode: 1
; LDSByteSize: 2048 bytes/workgroup (compile time only)
; SGPRBlocks: 4
; VGPRBlocks: 2
; NumSGPRsForWavesPerEU: 38
; NumVGPRsForWavesPerEU: 18
; AccumOffset: 20
; Occupancy: 8
; WaveLimiterHint : 0
; COMPUTE_PGM_RSRC2:SCRATCH_EN: 0
; COMPUTE_PGM_RSRC2:USER_SGPR: 2
; COMPUTE_PGM_RSRC2:TRAP_HANDLER: 0
; COMPUTE_PGM_RSRC2:TGID_X_EN: 1
; COMPUTE_PGM_RSRC2:TGID_Y_EN: 0
; COMPUTE_PGM_RSRC2:TGID_Z_EN: 0
; COMPUTE_PGM_RSRC2:TIDIG_COMP_CNT: 0
; COMPUTE_PGM_RSRC3_GFX90A:ACCUM_OFFSET: 4
; COMPUTE_PGM_RSRC3_GFX90A:TG_SPLIT: 0
	.section	.text._ZN2at6native14lpnorm_cleanupIfLNS0_8NormTypeE0EN3c104HalfELb1EfEEvPKT3_NS0_19TensorListAddressesEi,"axG",@progbits,_ZN2at6native14lpnorm_cleanupIfLNS0_8NormTypeE0EN3c104HalfELb1EfEEvPKT3_NS0_19TensorListAddressesEi,comdat
	.protected	_ZN2at6native14lpnorm_cleanupIfLNS0_8NormTypeE0EN3c104HalfELb1EfEEvPKT3_NS0_19TensorListAddressesEi ; -- Begin function _ZN2at6native14lpnorm_cleanupIfLNS0_8NormTypeE0EN3c104HalfELb1EfEEvPKT3_NS0_19TensorListAddressesEi
	.globl	_ZN2at6native14lpnorm_cleanupIfLNS0_8NormTypeE0EN3c104HalfELb1EfEEvPKT3_NS0_19TensorListAddressesEi
	.p2align	8
	.type	_ZN2at6native14lpnorm_cleanupIfLNS0_8NormTypeE0EN3c104HalfELb1EfEEvPKT3_NS0_19TensorListAddressesEi,@function
_ZN2at6native14lpnorm_cleanupIfLNS0_8NormTypeE0EN3c104HalfELb1EfEEvPKT3_NS0_19TensorListAddressesEi: ; @_ZN2at6native14lpnorm_cleanupIfLNS0_8NormTypeE0EN3c104HalfELb1EfEEvPKT3_NS0_19TensorListAddressesEi
; %bb.0:
	s_load_dword s6, s[0:1], 0xc88
	v_mov_b32_e32 v1, 0
	s_waitcnt lgkmcnt(0)
	v_cmp_gt_u32_e32 vcc, s6, v0
	s_and_saveexec_b64 s[4:5], vcc
	s_cbranch_execz .LBB72_4
; %bb.1:
	s_load_dwordx2 s[12:13], s[0:1], 0x0
	s_load_dword s3, s[0:1], 0xc9c
	s_mul_i32 s8, s6, s2
	s_mov_b32 s9, 0
	s_ashr_i32 s7, s6, 31
	s_lshl_b64 s[14:15], s[8:9], 2
	s_waitcnt lgkmcnt(0)
	s_and_b32 s10, s3, 0xffff
	v_mov_b32_e32 v1, 0
	s_add_u32 s12, s12, s14
	v_lshlrev_b32_e32 v2, 2, v0
	v_mov_b32_e32 v3, v1
	s_addc_u32 s13, s13, s15
	s_mov_b32 s11, s9
	v_lshl_add_u64 v[2:3], s[12:13], 0, v[2:3]
	s_lshl_b32 s8, s10, 2
	s_mov_b64 s[12:13], 0
	v_mov_b64_e32 v[4:5], v[0:1]
.LBB72_2:                               ; =>This Inner Loop Header: Depth=1
	global_load_dword v6, v[2:3], off
	v_lshl_add_u64 v[4:5], v[4:5], 0, s[10:11]
	v_cmp_le_u64_e32 vcc, s[6:7], v[4:5]
	v_lshl_add_u64 v[2:3], v[2:3], 0, s[8:9]
	s_or_b64 s[12:13], vcc, s[12:13]
	s_waitcnt vmcnt(0)
	v_add_f32_e32 v1, v1, v6
	s_andn2_b64 exec, exec, s[12:13]
	s_cbranch_execnz .LBB72_2
; %bb.3:
	s_or_b64 exec, exec, s[12:13]
.LBB72_4:
	s_or_b64 exec, exec, s[4:5]
	v_mbcnt_lo_u32_b32 v2, -1, 0
	v_mbcnt_hi_u32_b32 v6, -1, v2
	v_mov_b32_e32 v2, 0x80
	v_lshl_or_b32 v2, v6, 2, v2
	ds_bpermute_b32 v3, v2, v1
	v_and_b32_e32 v7, 63, v6
	v_cmp_gt_u32_e32 vcc, 48, v7
	s_waitcnt lgkmcnt(0)
	s_barrier
	v_cndmask_b32_e64 v4, 0, 16, vcc
	v_add_f32_e32 v5, v1, v3
	v_add_lshl_u32 v1, v4, v6, 2
	ds_bpermute_b32 v4, v1, v5
	v_cmp_gt_u32_e32 vcc, 56, v7
	s_waitcnt lgkmcnt(0)
	v_add_f32_e32 v5, v5, v4
	v_cndmask_b32_e64 v3, 0, 8, vcc
	v_add_lshl_u32 v3, v3, v6, 2
	ds_bpermute_b32 v8, v3, v5
	v_cmp_gt_u32_e32 vcc, 60, v7
	s_waitcnt lgkmcnt(0)
	v_add_f32_e32 v8, v5, v8
	v_cndmask_b32_e64 v4, 0, 4, vcc
	;; [unrolled: 6-line block ×3, first 2 shown]
	v_add_lshl_u32 v5, v5, v6, 2
	ds_bpermute_b32 v10, v5, v9
	v_cmp_ne_u32_e32 vcc, 63, v7
	v_and_b32_e32 v8, 63, v0
	s_waitcnt lgkmcnt(0)
	v_add_f32_e32 v7, v9, v10
	v_addc_co_u32_e32 v6, vcc, 0, v6, vcc
	v_lshlrev_b32_e32 v6, 2, v6
	ds_bpermute_b32 v9, v6, v7
	v_cmp_eq_u32_e32 vcc, 0, v8
	s_and_saveexec_b64 s[4:5], vcc
	s_cbranch_execz .LBB72_6
; %bb.5:
	s_waitcnt lgkmcnt(0)
	v_add_f32_e32 v7, v7, v9
	v_lshrrev_b32_e32 v9, 4, v0
	ds_write_b32 v9, v7
.LBB72_6:
	s_or_b64 exec, exec, s[4:5]
	s_waitcnt lgkmcnt(0)
	s_barrier
	s_load_dword s3, s[0:1], 0xc9c
	v_mov_b32_e32 v7, 0
	s_waitcnt lgkmcnt(0)
	s_bfe_u32 s3, s3, 0xa0006
	v_cmp_gt_u32_e32 vcc, s3, v0
	s_and_saveexec_b64 s[4:5], vcc
; %bb.7:
	v_lshlrev_b32_e32 v7, 2, v8
	ds_read_b32 v7, v7
; %bb.8:
	s_or_b64 exec, exec, s[4:5]
	v_cmp_gt_u32_e32 vcc, 64, v0
	s_and_saveexec_b64 s[4:5], vcc
	s_cbranch_execz .LBB72_10
; %bb.9:
	s_waitcnt lgkmcnt(0)
	ds_bpermute_b32 v2, v2, v7
	s_waitcnt lgkmcnt(0)
	v_add_f32_e32 v2, v7, v2
	ds_bpermute_b32 v1, v1, v2
	s_waitcnt lgkmcnt(0)
	v_add_f32_e32 v1, v2, v1
	;; [unrolled: 3-line block ×6, first 2 shown]
.LBB72_10:
	s_or_b64 exec, exec, s[4:5]
	s_mov_b32 s3, 0
	v_cmp_eq_u32_e32 vcc, 0, v0
	s_and_saveexec_b64 s[4:5], vcc
	s_cbranch_execz .LBB72_12
; %bb.11:
	s_lshl_b64 s[2:3], s[2:3], 3
	s_add_u32 s0, s0, s2
	s_addc_u32 s1, s1, s3
	s_load_dwordx2 s[0:1], s[0:1], 0x8
	s_waitcnt lgkmcnt(0)
	v_cvt_f16_f32_e32 v0, v7
	v_mov_b32_e32 v1, 0
	global_store_short v1, v0, s[0:1]
.LBB72_12:
	s_endpgm
	.section	.rodata,"a",@progbits
	.p2align	6, 0x0
	.amdhsa_kernel _ZN2at6native14lpnorm_cleanupIfLNS0_8NormTypeE0EN3c104HalfELb1EfEEvPKT3_NS0_19TensorListAddressesEi
		.amdhsa_group_segment_fixed_size 2048
		.amdhsa_private_segment_fixed_size 0
		.amdhsa_kernarg_size 3472
		.amdhsa_user_sgpr_count 2
		.amdhsa_user_sgpr_dispatch_ptr 0
		.amdhsa_user_sgpr_queue_ptr 0
		.amdhsa_user_sgpr_kernarg_segment_ptr 1
		.amdhsa_user_sgpr_dispatch_id 0
		.amdhsa_user_sgpr_kernarg_preload_length 0
		.amdhsa_user_sgpr_kernarg_preload_offset 0
		.amdhsa_user_sgpr_private_segment_size 0
		.amdhsa_uses_dynamic_stack 0
		.amdhsa_enable_private_segment 0
		.amdhsa_system_sgpr_workgroup_id_x 1
		.amdhsa_system_sgpr_workgroup_id_y 0
		.amdhsa_system_sgpr_workgroup_id_z 0
		.amdhsa_system_sgpr_workgroup_info 0
		.amdhsa_system_vgpr_workitem_id 0
		.amdhsa_next_free_vgpr 11
		.amdhsa_next_free_sgpr 16
		.amdhsa_accum_offset 12
		.amdhsa_reserve_vcc 1
		.amdhsa_float_round_mode_32 0
		.amdhsa_float_round_mode_16_64 0
		.amdhsa_float_denorm_mode_32 3
		.amdhsa_float_denorm_mode_16_64 3
		.amdhsa_dx10_clamp 1
		.amdhsa_ieee_mode 1
		.amdhsa_fp16_overflow 0
		.amdhsa_tg_split 0
		.amdhsa_exception_fp_ieee_invalid_op 0
		.amdhsa_exception_fp_denorm_src 0
		.amdhsa_exception_fp_ieee_div_zero 0
		.amdhsa_exception_fp_ieee_overflow 0
		.amdhsa_exception_fp_ieee_underflow 0
		.amdhsa_exception_fp_ieee_inexact 0
		.amdhsa_exception_int_div_zero 0
	.end_amdhsa_kernel
	.section	.text._ZN2at6native14lpnorm_cleanupIfLNS0_8NormTypeE0EN3c104HalfELb1EfEEvPKT3_NS0_19TensorListAddressesEi,"axG",@progbits,_ZN2at6native14lpnorm_cleanupIfLNS0_8NormTypeE0EN3c104HalfELb1EfEEvPKT3_NS0_19TensorListAddressesEi,comdat
.Lfunc_end72:
	.size	_ZN2at6native14lpnorm_cleanupIfLNS0_8NormTypeE0EN3c104HalfELb1EfEEvPKT3_NS0_19TensorListAddressesEi, .Lfunc_end72-_ZN2at6native14lpnorm_cleanupIfLNS0_8NormTypeE0EN3c104HalfELb1EfEEvPKT3_NS0_19TensorListAddressesEi
                                        ; -- End function
	.set _ZN2at6native14lpnorm_cleanupIfLNS0_8NormTypeE0EN3c104HalfELb1EfEEvPKT3_NS0_19TensorListAddressesEi.num_vgpr, 11
	.set _ZN2at6native14lpnorm_cleanupIfLNS0_8NormTypeE0EN3c104HalfELb1EfEEvPKT3_NS0_19TensorListAddressesEi.num_agpr, 0
	.set _ZN2at6native14lpnorm_cleanupIfLNS0_8NormTypeE0EN3c104HalfELb1EfEEvPKT3_NS0_19TensorListAddressesEi.numbered_sgpr, 16
	.set _ZN2at6native14lpnorm_cleanupIfLNS0_8NormTypeE0EN3c104HalfELb1EfEEvPKT3_NS0_19TensorListAddressesEi.num_named_barrier, 0
	.set _ZN2at6native14lpnorm_cleanupIfLNS0_8NormTypeE0EN3c104HalfELb1EfEEvPKT3_NS0_19TensorListAddressesEi.private_seg_size, 0
	.set _ZN2at6native14lpnorm_cleanupIfLNS0_8NormTypeE0EN3c104HalfELb1EfEEvPKT3_NS0_19TensorListAddressesEi.uses_vcc, 1
	.set _ZN2at6native14lpnorm_cleanupIfLNS0_8NormTypeE0EN3c104HalfELb1EfEEvPKT3_NS0_19TensorListAddressesEi.uses_flat_scratch, 0
	.set _ZN2at6native14lpnorm_cleanupIfLNS0_8NormTypeE0EN3c104HalfELb1EfEEvPKT3_NS0_19TensorListAddressesEi.has_dyn_sized_stack, 0
	.set _ZN2at6native14lpnorm_cleanupIfLNS0_8NormTypeE0EN3c104HalfELb1EfEEvPKT3_NS0_19TensorListAddressesEi.has_recursion, 0
	.set _ZN2at6native14lpnorm_cleanupIfLNS0_8NormTypeE0EN3c104HalfELb1EfEEvPKT3_NS0_19TensorListAddressesEi.has_indirect_call, 0
	.section	.AMDGPU.csdata,"",@progbits
; Kernel info:
; codeLenInByte = 664
; TotalNumSgprs: 22
; NumVgprs: 11
; NumAgprs: 0
; TotalNumVgprs: 11
; ScratchSize: 0
; MemoryBound: 0
; FloatMode: 240
; IeeeMode: 1
; LDSByteSize: 2048 bytes/workgroup (compile time only)
; SGPRBlocks: 2
; VGPRBlocks: 1
; NumSGPRsForWavesPerEU: 22
; NumVGPRsForWavesPerEU: 11
; AccumOffset: 12
; Occupancy: 8
; WaveLimiterHint : 0
; COMPUTE_PGM_RSRC2:SCRATCH_EN: 0
; COMPUTE_PGM_RSRC2:USER_SGPR: 2
; COMPUTE_PGM_RSRC2:TRAP_HANDLER: 0
; COMPUTE_PGM_RSRC2:TGID_X_EN: 1
; COMPUTE_PGM_RSRC2:TGID_Y_EN: 0
; COMPUTE_PGM_RSRC2:TGID_Z_EN: 0
; COMPUTE_PGM_RSRC2:TIDIG_COMP_CNT: 0
; COMPUTE_PGM_RSRC3_GFX90A:ACCUM_OFFSET: 2
; COMPUTE_PGM_RSRC3_GFX90A:TG_SPLIT: 0
	.section	.text._ZN2at6native14lpnorm_cleanupIfLNS0_8NormTypeE1EN3c104HalfELb1EfEEvPKT3_NS0_19TensorListAddressesEi,"axG",@progbits,_ZN2at6native14lpnorm_cleanupIfLNS0_8NormTypeE1EN3c104HalfELb1EfEEvPKT3_NS0_19TensorListAddressesEi,comdat
	.protected	_ZN2at6native14lpnorm_cleanupIfLNS0_8NormTypeE1EN3c104HalfELb1EfEEvPKT3_NS0_19TensorListAddressesEi ; -- Begin function _ZN2at6native14lpnorm_cleanupIfLNS0_8NormTypeE1EN3c104HalfELb1EfEEvPKT3_NS0_19TensorListAddressesEi
	.globl	_ZN2at6native14lpnorm_cleanupIfLNS0_8NormTypeE1EN3c104HalfELb1EfEEvPKT3_NS0_19TensorListAddressesEi
	.p2align	8
	.type	_ZN2at6native14lpnorm_cleanupIfLNS0_8NormTypeE1EN3c104HalfELb1EfEEvPKT3_NS0_19TensorListAddressesEi,@function
_ZN2at6native14lpnorm_cleanupIfLNS0_8NormTypeE1EN3c104HalfELb1EfEEvPKT3_NS0_19TensorListAddressesEi: ; @_ZN2at6native14lpnorm_cleanupIfLNS0_8NormTypeE1EN3c104HalfELb1EfEEvPKT3_NS0_19TensorListAddressesEi
; %bb.0:
	s_load_dword s6, s[0:1], 0xc88
	v_mov_b32_e32 v1, 0
	s_waitcnt lgkmcnt(0)
	v_cmp_gt_u32_e32 vcc, s6, v0
	s_and_saveexec_b64 s[4:5], vcc
	s_cbranch_execz .LBB73_4
; %bb.1:
	s_load_dwordx2 s[12:13], s[0:1], 0x0
	s_load_dword s3, s[0:1], 0xc9c
	s_mul_i32 s8, s6, s2
	s_mov_b32 s9, 0
	s_ashr_i32 s7, s6, 31
	s_lshl_b64 s[14:15], s[8:9], 2
	s_waitcnt lgkmcnt(0)
	s_and_b32 s10, s3, 0xffff
	v_mov_b32_e32 v1, 0
	s_add_u32 s12, s12, s14
	v_lshlrev_b32_e32 v2, 2, v0
	v_mov_b32_e32 v3, v1
	s_addc_u32 s13, s13, s15
	s_mov_b32 s11, s9
	v_lshl_add_u64 v[2:3], s[12:13], 0, v[2:3]
	s_lshl_b32 s8, s10, 2
	s_mov_b64 s[12:13], 0
	v_mov_b64_e32 v[4:5], v[0:1]
.LBB73_2:                               ; =>This Inner Loop Header: Depth=1
	global_load_dword v6, v[2:3], off
	v_lshl_add_u64 v[4:5], v[4:5], 0, s[10:11]
	v_cmp_le_u64_e32 vcc, s[6:7], v[4:5]
	v_lshl_add_u64 v[2:3], v[2:3], 0, s[8:9]
	s_or_b64 s[12:13], vcc, s[12:13]
	s_waitcnt vmcnt(0)
	v_add_f32_e32 v1, v1, v6
	s_andn2_b64 exec, exec, s[12:13]
	s_cbranch_execnz .LBB73_2
; %bb.3:
	s_or_b64 exec, exec, s[12:13]
.LBB73_4:
	s_or_b64 exec, exec, s[4:5]
	v_mbcnt_lo_u32_b32 v2, -1, 0
	v_mbcnt_hi_u32_b32 v6, -1, v2
	v_mov_b32_e32 v2, 0x80
	v_lshl_or_b32 v2, v6, 2, v2
	ds_bpermute_b32 v3, v2, v1
	v_and_b32_e32 v7, 63, v6
	v_cmp_gt_u32_e32 vcc, 48, v7
	s_waitcnt lgkmcnt(0)
	s_barrier
	v_cndmask_b32_e64 v4, 0, 16, vcc
	v_add_f32_e32 v5, v1, v3
	v_add_lshl_u32 v1, v4, v6, 2
	ds_bpermute_b32 v4, v1, v5
	v_cmp_gt_u32_e32 vcc, 56, v7
	s_waitcnt lgkmcnt(0)
	v_add_f32_e32 v5, v5, v4
	v_cndmask_b32_e64 v3, 0, 8, vcc
	v_add_lshl_u32 v3, v3, v6, 2
	ds_bpermute_b32 v8, v3, v5
	v_cmp_gt_u32_e32 vcc, 60, v7
	s_waitcnt lgkmcnt(0)
	v_add_f32_e32 v8, v5, v8
	v_cndmask_b32_e64 v4, 0, 4, vcc
	v_add_lshl_u32 v4, v4, v6, 2
	ds_bpermute_b32 v9, v4, v8
	v_cmp_gt_u32_e32 vcc, 62, v7
	s_waitcnt lgkmcnt(0)
	v_add_f32_e32 v9, v8, v9
	v_cndmask_b32_e64 v5, 0, 2, vcc
	v_add_lshl_u32 v5, v5, v6, 2
	ds_bpermute_b32 v10, v5, v9
	v_cmp_ne_u32_e32 vcc, 63, v7
	v_and_b32_e32 v8, 63, v0
	s_waitcnt lgkmcnt(0)
	v_add_f32_e32 v7, v9, v10
	v_addc_co_u32_e32 v6, vcc, 0, v6, vcc
	v_lshlrev_b32_e32 v6, 2, v6
	ds_bpermute_b32 v9, v6, v7
	v_cmp_eq_u32_e32 vcc, 0, v8
	s_and_saveexec_b64 s[4:5], vcc
	s_cbranch_execz .LBB73_6
; %bb.5:
	s_waitcnt lgkmcnt(0)
	v_add_f32_e32 v7, v7, v9
	v_lshrrev_b32_e32 v9, 4, v0
	ds_write_b32 v9, v7
.LBB73_6:
	s_or_b64 exec, exec, s[4:5]
	s_waitcnt lgkmcnt(0)
	s_barrier
	s_load_dword s3, s[0:1], 0xc9c
	v_mov_b32_e32 v7, 0
	s_waitcnt lgkmcnt(0)
	s_bfe_u32 s3, s3, 0xa0006
	v_cmp_gt_u32_e32 vcc, s3, v0
	s_and_saveexec_b64 s[4:5], vcc
; %bb.7:
	v_lshlrev_b32_e32 v7, 2, v8
	ds_read_b32 v7, v7
; %bb.8:
	s_or_b64 exec, exec, s[4:5]
	v_cmp_gt_u32_e32 vcc, 64, v0
	s_and_saveexec_b64 s[4:5], vcc
	s_cbranch_execz .LBB73_10
; %bb.9:
	s_waitcnt lgkmcnt(0)
	ds_bpermute_b32 v2, v2, v7
	s_waitcnt lgkmcnt(0)
	v_add_f32_e32 v2, v7, v2
	ds_bpermute_b32 v1, v1, v2
	s_waitcnt lgkmcnt(0)
	v_add_f32_e32 v1, v2, v1
	;; [unrolled: 3-line block ×6, first 2 shown]
.LBB73_10:
	s_or_b64 exec, exec, s[4:5]
	s_mov_b32 s3, 0
	v_cmp_eq_u32_e32 vcc, 0, v0
	s_and_saveexec_b64 s[4:5], vcc
	s_cbranch_execz .LBB73_12
; %bb.11:
	s_lshl_b64 s[2:3], s[2:3], 3
	s_add_u32 s0, s0, s2
	s_addc_u32 s1, s1, s3
	s_load_dwordx2 s[0:1], s[0:1], 0x8
	s_waitcnt lgkmcnt(0)
	v_cvt_f16_f32_e32 v0, v7
	v_mov_b32_e32 v1, 0
	global_store_short v1, v0, s[0:1]
.LBB73_12:
	s_endpgm
	.section	.rodata,"a",@progbits
	.p2align	6, 0x0
	.amdhsa_kernel _ZN2at6native14lpnorm_cleanupIfLNS0_8NormTypeE1EN3c104HalfELb1EfEEvPKT3_NS0_19TensorListAddressesEi
		.amdhsa_group_segment_fixed_size 2048
		.amdhsa_private_segment_fixed_size 0
		.amdhsa_kernarg_size 3472
		.amdhsa_user_sgpr_count 2
		.amdhsa_user_sgpr_dispatch_ptr 0
		.amdhsa_user_sgpr_queue_ptr 0
		.amdhsa_user_sgpr_kernarg_segment_ptr 1
		.amdhsa_user_sgpr_dispatch_id 0
		.amdhsa_user_sgpr_kernarg_preload_length 0
		.amdhsa_user_sgpr_kernarg_preload_offset 0
		.amdhsa_user_sgpr_private_segment_size 0
		.amdhsa_uses_dynamic_stack 0
		.amdhsa_enable_private_segment 0
		.amdhsa_system_sgpr_workgroup_id_x 1
		.amdhsa_system_sgpr_workgroup_id_y 0
		.amdhsa_system_sgpr_workgroup_id_z 0
		.amdhsa_system_sgpr_workgroup_info 0
		.amdhsa_system_vgpr_workitem_id 0
		.amdhsa_next_free_vgpr 11
		.amdhsa_next_free_sgpr 16
		.amdhsa_accum_offset 12
		.amdhsa_reserve_vcc 1
		.amdhsa_float_round_mode_32 0
		.amdhsa_float_round_mode_16_64 0
		.amdhsa_float_denorm_mode_32 3
		.amdhsa_float_denorm_mode_16_64 3
		.amdhsa_dx10_clamp 1
		.amdhsa_ieee_mode 1
		.amdhsa_fp16_overflow 0
		.amdhsa_tg_split 0
		.amdhsa_exception_fp_ieee_invalid_op 0
		.amdhsa_exception_fp_denorm_src 0
		.amdhsa_exception_fp_ieee_div_zero 0
		.amdhsa_exception_fp_ieee_overflow 0
		.amdhsa_exception_fp_ieee_underflow 0
		.amdhsa_exception_fp_ieee_inexact 0
		.amdhsa_exception_int_div_zero 0
	.end_amdhsa_kernel
	.section	.text._ZN2at6native14lpnorm_cleanupIfLNS0_8NormTypeE1EN3c104HalfELb1EfEEvPKT3_NS0_19TensorListAddressesEi,"axG",@progbits,_ZN2at6native14lpnorm_cleanupIfLNS0_8NormTypeE1EN3c104HalfELb1EfEEvPKT3_NS0_19TensorListAddressesEi,comdat
.Lfunc_end73:
	.size	_ZN2at6native14lpnorm_cleanupIfLNS0_8NormTypeE1EN3c104HalfELb1EfEEvPKT3_NS0_19TensorListAddressesEi, .Lfunc_end73-_ZN2at6native14lpnorm_cleanupIfLNS0_8NormTypeE1EN3c104HalfELb1EfEEvPKT3_NS0_19TensorListAddressesEi
                                        ; -- End function
	.set _ZN2at6native14lpnorm_cleanupIfLNS0_8NormTypeE1EN3c104HalfELb1EfEEvPKT3_NS0_19TensorListAddressesEi.num_vgpr, 11
	.set _ZN2at6native14lpnorm_cleanupIfLNS0_8NormTypeE1EN3c104HalfELb1EfEEvPKT3_NS0_19TensorListAddressesEi.num_agpr, 0
	.set _ZN2at6native14lpnorm_cleanupIfLNS0_8NormTypeE1EN3c104HalfELb1EfEEvPKT3_NS0_19TensorListAddressesEi.numbered_sgpr, 16
	.set _ZN2at6native14lpnorm_cleanupIfLNS0_8NormTypeE1EN3c104HalfELb1EfEEvPKT3_NS0_19TensorListAddressesEi.num_named_barrier, 0
	.set _ZN2at6native14lpnorm_cleanupIfLNS0_8NormTypeE1EN3c104HalfELb1EfEEvPKT3_NS0_19TensorListAddressesEi.private_seg_size, 0
	.set _ZN2at6native14lpnorm_cleanupIfLNS0_8NormTypeE1EN3c104HalfELb1EfEEvPKT3_NS0_19TensorListAddressesEi.uses_vcc, 1
	.set _ZN2at6native14lpnorm_cleanupIfLNS0_8NormTypeE1EN3c104HalfELb1EfEEvPKT3_NS0_19TensorListAddressesEi.uses_flat_scratch, 0
	.set _ZN2at6native14lpnorm_cleanupIfLNS0_8NormTypeE1EN3c104HalfELb1EfEEvPKT3_NS0_19TensorListAddressesEi.has_dyn_sized_stack, 0
	.set _ZN2at6native14lpnorm_cleanupIfLNS0_8NormTypeE1EN3c104HalfELb1EfEEvPKT3_NS0_19TensorListAddressesEi.has_recursion, 0
	.set _ZN2at6native14lpnorm_cleanupIfLNS0_8NormTypeE1EN3c104HalfELb1EfEEvPKT3_NS0_19TensorListAddressesEi.has_indirect_call, 0
	.section	.AMDGPU.csdata,"",@progbits
; Kernel info:
; codeLenInByte = 664
; TotalNumSgprs: 22
; NumVgprs: 11
; NumAgprs: 0
; TotalNumVgprs: 11
; ScratchSize: 0
; MemoryBound: 0
; FloatMode: 240
; IeeeMode: 1
; LDSByteSize: 2048 bytes/workgroup (compile time only)
; SGPRBlocks: 2
; VGPRBlocks: 1
; NumSGPRsForWavesPerEU: 22
; NumVGPRsForWavesPerEU: 11
; AccumOffset: 12
; Occupancy: 8
; WaveLimiterHint : 0
; COMPUTE_PGM_RSRC2:SCRATCH_EN: 0
; COMPUTE_PGM_RSRC2:USER_SGPR: 2
; COMPUTE_PGM_RSRC2:TRAP_HANDLER: 0
; COMPUTE_PGM_RSRC2:TGID_X_EN: 1
; COMPUTE_PGM_RSRC2:TGID_Y_EN: 0
; COMPUTE_PGM_RSRC2:TGID_Z_EN: 0
; COMPUTE_PGM_RSRC2:TIDIG_COMP_CNT: 0
; COMPUTE_PGM_RSRC3_GFX90A:ACCUM_OFFSET: 2
; COMPUTE_PGM_RSRC3_GFX90A:TG_SPLIT: 0
	.section	.text._ZN2at6native14lpnorm_cleanupIfLNS0_8NormTypeE2EN3c104HalfELb1EfEEvPKT3_NS0_19TensorListAddressesEi,"axG",@progbits,_ZN2at6native14lpnorm_cleanupIfLNS0_8NormTypeE2EN3c104HalfELb1EfEEvPKT3_NS0_19TensorListAddressesEi,comdat
	.protected	_ZN2at6native14lpnorm_cleanupIfLNS0_8NormTypeE2EN3c104HalfELb1EfEEvPKT3_NS0_19TensorListAddressesEi ; -- Begin function _ZN2at6native14lpnorm_cleanupIfLNS0_8NormTypeE2EN3c104HalfELb1EfEEvPKT3_NS0_19TensorListAddressesEi
	.globl	_ZN2at6native14lpnorm_cleanupIfLNS0_8NormTypeE2EN3c104HalfELb1EfEEvPKT3_NS0_19TensorListAddressesEi
	.p2align	8
	.type	_ZN2at6native14lpnorm_cleanupIfLNS0_8NormTypeE2EN3c104HalfELb1EfEEvPKT3_NS0_19TensorListAddressesEi,@function
_ZN2at6native14lpnorm_cleanupIfLNS0_8NormTypeE2EN3c104HalfELb1EfEEvPKT3_NS0_19TensorListAddressesEi: ; @_ZN2at6native14lpnorm_cleanupIfLNS0_8NormTypeE2EN3c104HalfELb1EfEEvPKT3_NS0_19TensorListAddressesEi
; %bb.0:
	s_load_dword s6, s[0:1], 0xc88
	v_mov_b32_e32 v1, 0
	s_waitcnt lgkmcnt(0)
	v_cmp_gt_u32_e32 vcc, s6, v0
	s_and_saveexec_b64 s[4:5], vcc
	s_cbranch_execz .LBB74_4
; %bb.1:
	s_load_dwordx2 s[12:13], s[0:1], 0x0
	s_load_dword s3, s[0:1], 0xc9c
	s_mul_i32 s8, s6, s2
	s_mov_b32 s9, 0
	s_ashr_i32 s7, s6, 31
	s_lshl_b64 s[14:15], s[8:9], 2
	s_waitcnt lgkmcnt(0)
	s_and_b32 s10, s3, 0xffff
	v_mov_b32_e32 v1, 0
	s_add_u32 s12, s12, s14
	v_lshlrev_b32_e32 v2, 2, v0
	v_mov_b32_e32 v3, v1
	s_addc_u32 s13, s13, s15
	s_mov_b32 s11, s9
	v_lshl_add_u64 v[2:3], s[12:13], 0, v[2:3]
	s_lshl_b32 s8, s10, 2
	s_mov_b64 s[12:13], 0
	v_mov_b64_e32 v[4:5], v[0:1]
.LBB74_2:                               ; =>This Inner Loop Header: Depth=1
	global_load_dword v6, v[2:3], off
	v_lshl_add_u64 v[4:5], v[4:5], 0, s[10:11]
	v_cmp_le_u64_e32 vcc, s[6:7], v[4:5]
	v_lshl_add_u64 v[2:3], v[2:3], 0, s[8:9]
	s_or_b64 s[12:13], vcc, s[12:13]
	s_waitcnt vmcnt(0)
	v_add_f32_e32 v1, v1, v6
	s_andn2_b64 exec, exec, s[12:13]
	s_cbranch_execnz .LBB74_2
; %bb.3:
	s_or_b64 exec, exec, s[12:13]
.LBB74_4:
	s_or_b64 exec, exec, s[4:5]
	v_mbcnt_lo_u32_b32 v2, -1, 0
	v_mbcnt_hi_u32_b32 v6, -1, v2
	v_mov_b32_e32 v2, 0x80
	v_lshl_or_b32 v2, v6, 2, v2
	ds_bpermute_b32 v3, v2, v1
	v_and_b32_e32 v7, 63, v6
	v_cmp_gt_u32_e32 vcc, 48, v7
	s_waitcnt lgkmcnt(0)
	s_barrier
	v_cndmask_b32_e64 v4, 0, 16, vcc
	v_add_f32_e32 v5, v1, v3
	v_add_lshl_u32 v1, v4, v6, 2
	ds_bpermute_b32 v4, v1, v5
	v_cmp_gt_u32_e32 vcc, 56, v7
	s_waitcnt lgkmcnt(0)
	v_add_f32_e32 v5, v5, v4
	v_cndmask_b32_e64 v3, 0, 8, vcc
	v_add_lshl_u32 v3, v3, v6, 2
	ds_bpermute_b32 v8, v3, v5
	v_cmp_gt_u32_e32 vcc, 60, v7
	s_waitcnt lgkmcnt(0)
	v_add_f32_e32 v8, v5, v8
	v_cndmask_b32_e64 v4, 0, 4, vcc
	;; [unrolled: 6-line block ×3, first 2 shown]
	v_add_lshl_u32 v5, v5, v6, 2
	ds_bpermute_b32 v10, v5, v9
	v_cmp_ne_u32_e32 vcc, 63, v7
	v_and_b32_e32 v8, 63, v0
	s_waitcnt lgkmcnt(0)
	v_add_f32_e32 v7, v9, v10
	v_addc_co_u32_e32 v6, vcc, 0, v6, vcc
	v_lshlrev_b32_e32 v6, 2, v6
	ds_bpermute_b32 v9, v6, v7
	v_cmp_eq_u32_e32 vcc, 0, v8
	s_and_saveexec_b64 s[4:5], vcc
	s_cbranch_execz .LBB74_6
; %bb.5:
	s_waitcnt lgkmcnt(0)
	v_add_f32_e32 v7, v7, v9
	v_lshrrev_b32_e32 v9, 4, v0
	ds_write_b32 v9, v7
.LBB74_6:
	s_or_b64 exec, exec, s[4:5]
	s_waitcnt lgkmcnt(0)
	s_barrier
	s_load_dword s3, s[0:1], 0xc9c
	v_mov_b32_e32 v7, 0
	s_waitcnt lgkmcnt(0)
	s_bfe_u32 s3, s3, 0xa0006
	v_cmp_gt_u32_e32 vcc, s3, v0
	s_and_saveexec_b64 s[4:5], vcc
; %bb.7:
	v_lshlrev_b32_e32 v7, 2, v8
	ds_read_b32 v7, v7
; %bb.8:
	s_or_b64 exec, exec, s[4:5]
	v_cmp_gt_u32_e32 vcc, 64, v0
	s_and_saveexec_b64 s[4:5], vcc
	s_cbranch_execz .LBB74_10
; %bb.9:
	s_waitcnt lgkmcnt(0)
	ds_bpermute_b32 v2, v2, v7
	s_waitcnt lgkmcnt(0)
	v_add_f32_e32 v2, v7, v2
	ds_bpermute_b32 v1, v1, v2
	s_waitcnt lgkmcnt(0)
	v_add_f32_e32 v1, v2, v1
	;; [unrolled: 3-line block ×6, first 2 shown]
.LBB74_10:
	s_or_b64 exec, exec, s[4:5]
	s_mov_b32 s3, 0
	v_cmp_eq_u32_e32 vcc, 0, v0
	s_and_saveexec_b64 s[4:5], vcc
	s_cbranch_execz .LBB74_12
; %bb.11:
	s_mov_b32 s4, 0xf800000
	s_waitcnt lgkmcnt(0)
	v_mul_f32_e32 v0, 0x4f800000, v7
	v_cmp_gt_f32_e32 vcc, s4, v7
	s_lshl_b64 s[2:3], s[2:3], 3
	s_add_u32 s2, s0, s2
	v_cndmask_b32_e32 v0, v7, v0, vcc
	v_sqrt_f32_e32 v1, v0
	s_addc_u32 s3, s1, s3
	v_add_u32_e32 v2, -1, v1
	v_fma_f32 v3, -v2, v1, v0
	v_cmp_ge_f32_e64 s[0:1], 0, v3
	v_add_u32_e32 v3, 1, v1
	s_nop 0
	v_cndmask_b32_e64 v2, v1, v2, s[0:1]
	v_fma_f32 v1, -v3, v1, v0
	v_cmp_lt_f32_e64 s[0:1], 0, v1
	s_nop 1
	v_cndmask_b32_e64 v1, v2, v3, s[0:1]
	v_mul_f32_e32 v2, 0x37800000, v1
	v_cndmask_b32_e32 v1, v1, v2, vcc
	v_mov_b32_e32 v2, 0x260
	v_cmp_class_f32_e32 vcc, v0, v2
	s_load_dwordx2 s[0:1], s[2:3], 0x8
	s_nop 0
	v_cndmask_b32_e32 v0, v1, v0, vcc
	v_cvt_f16_f32_e32 v0, v0
	v_mov_b32_e32 v1, 0
	s_waitcnt lgkmcnt(0)
	global_store_short v1, v0, s[0:1]
.LBB74_12:
	s_endpgm
	.section	.rodata,"a",@progbits
	.p2align	6, 0x0
	.amdhsa_kernel _ZN2at6native14lpnorm_cleanupIfLNS0_8NormTypeE2EN3c104HalfELb1EfEEvPKT3_NS0_19TensorListAddressesEi
		.amdhsa_group_segment_fixed_size 2048
		.amdhsa_private_segment_fixed_size 0
		.amdhsa_kernarg_size 3472
		.amdhsa_user_sgpr_count 2
		.amdhsa_user_sgpr_dispatch_ptr 0
		.amdhsa_user_sgpr_queue_ptr 0
		.amdhsa_user_sgpr_kernarg_segment_ptr 1
		.amdhsa_user_sgpr_dispatch_id 0
		.amdhsa_user_sgpr_kernarg_preload_length 0
		.amdhsa_user_sgpr_kernarg_preload_offset 0
		.amdhsa_user_sgpr_private_segment_size 0
		.amdhsa_uses_dynamic_stack 0
		.amdhsa_enable_private_segment 0
		.amdhsa_system_sgpr_workgroup_id_x 1
		.amdhsa_system_sgpr_workgroup_id_y 0
		.amdhsa_system_sgpr_workgroup_id_z 0
		.amdhsa_system_sgpr_workgroup_info 0
		.amdhsa_system_vgpr_workitem_id 0
		.amdhsa_next_free_vgpr 11
		.amdhsa_next_free_sgpr 16
		.amdhsa_accum_offset 12
		.amdhsa_reserve_vcc 1
		.amdhsa_float_round_mode_32 0
		.amdhsa_float_round_mode_16_64 0
		.amdhsa_float_denorm_mode_32 3
		.amdhsa_float_denorm_mode_16_64 3
		.amdhsa_dx10_clamp 1
		.amdhsa_ieee_mode 1
		.amdhsa_fp16_overflow 0
		.amdhsa_tg_split 0
		.amdhsa_exception_fp_ieee_invalid_op 0
		.amdhsa_exception_fp_denorm_src 0
		.amdhsa_exception_fp_ieee_div_zero 0
		.amdhsa_exception_fp_ieee_overflow 0
		.amdhsa_exception_fp_ieee_underflow 0
		.amdhsa_exception_fp_ieee_inexact 0
		.amdhsa_exception_int_div_zero 0
	.end_amdhsa_kernel
	.section	.text._ZN2at6native14lpnorm_cleanupIfLNS0_8NormTypeE2EN3c104HalfELb1EfEEvPKT3_NS0_19TensorListAddressesEi,"axG",@progbits,_ZN2at6native14lpnorm_cleanupIfLNS0_8NormTypeE2EN3c104HalfELb1EfEEvPKT3_NS0_19TensorListAddressesEi,comdat
.Lfunc_end74:
	.size	_ZN2at6native14lpnorm_cleanupIfLNS0_8NormTypeE2EN3c104HalfELb1EfEEvPKT3_NS0_19TensorListAddressesEi, .Lfunc_end74-_ZN2at6native14lpnorm_cleanupIfLNS0_8NormTypeE2EN3c104HalfELb1EfEEvPKT3_NS0_19TensorListAddressesEi
                                        ; -- End function
	.set _ZN2at6native14lpnorm_cleanupIfLNS0_8NormTypeE2EN3c104HalfELb1EfEEvPKT3_NS0_19TensorListAddressesEi.num_vgpr, 11
	.set _ZN2at6native14lpnorm_cleanupIfLNS0_8NormTypeE2EN3c104HalfELb1EfEEvPKT3_NS0_19TensorListAddressesEi.num_agpr, 0
	.set _ZN2at6native14lpnorm_cleanupIfLNS0_8NormTypeE2EN3c104HalfELb1EfEEvPKT3_NS0_19TensorListAddressesEi.numbered_sgpr, 16
	.set _ZN2at6native14lpnorm_cleanupIfLNS0_8NormTypeE2EN3c104HalfELb1EfEEvPKT3_NS0_19TensorListAddressesEi.num_named_barrier, 0
	.set _ZN2at6native14lpnorm_cleanupIfLNS0_8NormTypeE2EN3c104HalfELb1EfEEvPKT3_NS0_19TensorListAddressesEi.private_seg_size, 0
	.set _ZN2at6native14lpnorm_cleanupIfLNS0_8NormTypeE2EN3c104HalfELb1EfEEvPKT3_NS0_19TensorListAddressesEi.uses_vcc, 1
	.set _ZN2at6native14lpnorm_cleanupIfLNS0_8NormTypeE2EN3c104HalfELb1EfEEvPKT3_NS0_19TensorListAddressesEi.uses_flat_scratch, 0
	.set _ZN2at6native14lpnorm_cleanupIfLNS0_8NormTypeE2EN3c104HalfELb1EfEEvPKT3_NS0_19TensorListAddressesEi.has_dyn_sized_stack, 0
	.set _ZN2at6native14lpnorm_cleanupIfLNS0_8NormTypeE2EN3c104HalfELb1EfEEvPKT3_NS0_19TensorListAddressesEi.has_recursion, 0
	.set _ZN2at6native14lpnorm_cleanupIfLNS0_8NormTypeE2EN3c104HalfELb1EfEEvPKT3_NS0_19TensorListAddressesEi.has_indirect_call, 0
	.section	.AMDGPU.csdata,"",@progbits
; Kernel info:
; codeLenInByte = 792
; TotalNumSgprs: 22
; NumVgprs: 11
; NumAgprs: 0
; TotalNumVgprs: 11
; ScratchSize: 0
; MemoryBound: 0
; FloatMode: 240
; IeeeMode: 1
; LDSByteSize: 2048 bytes/workgroup (compile time only)
; SGPRBlocks: 2
; VGPRBlocks: 1
; NumSGPRsForWavesPerEU: 22
; NumVGPRsForWavesPerEU: 11
; AccumOffset: 12
; Occupancy: 8
; WaveLimiterHint : 0
; COMPUTE_PGM_RSRC2:SCRATCH_EN: 0
; COMPUTE_PGM_RSRC2:USER_SGPR: 2
; COMPUTE_PGM_RSRC2:TRAP_HANDLER: 0
; COMPUTE_PGM_RSRC2:TGID_X_EN: 1
; COMPUTE_PGM_RSRC2:TGID_Y_EN: 0
; COMPUTE_PGM_RSRC2:TGID_Z_EN: 0
; COMPUTE_PGM_RSRC2:TIDIG_COMP_CNT: 0
; COMPUTE_PGM_RSRC3_GFX90A:ACCUM_OFFSET: 2
; COMPUTE_PGM_RSRC3_GFX90A:TG_SPLIT: 0
	.section	.text._ZN2at6native14lpnorm_cleanupIfLNS0_8NormTypeE3EN3c104HalfELb1EfEEvPKT3_NS0_19TensorListAddressesEi,"axG",@progbits,_ZN2at6native14lpnorm_cleanupIfLNS0_8NormTypeE3EN3c104HalfELb1EfEEvPKT3_NS0_19TensorListAddressesEi,comdat
	.protected	_ZN2at6native14lpnorm_cleanupIfLNS0_8NormTypeE3EN3c104HalfELb1EfEEvPKT3_NS0_19TensorListAddressesEi ; -- Begin function _ZN2at6native14lpnorm_cleanupIfLNS0_8NormTypeE3EN3c104HalfELb1EfEEvPKT3_NS0_19TensorListAddressesEi
	.globl	_ZN2at6native14lpnorm_cleanupIfLNS0_8NormTypeE3EN3c104HalfELb1EfEEvPKT3_NS0_19TensorListAddressesEi
	.p2align	8
	.type	_ZN2at6native14lpnorm_cleanupIfLNS0_8NormTypeE3EN3c104HalfELb1EfEEvPKT3_NS0_19TensorListAddressesEi,@function
_ZN2at6native14lpnorm_cleanupIfLNS0_8NormTypeE3EN3c104HalfELb1EfEEvPKT3_NS0_19TensorListAddressesEi: ; @_ZN2at6native14lpnorm_cleanupIfLNS0_8NormTypeE3EN3c104HalfELb1EfEEvPKT3_NS0_19TensorListAddressesEi
; %bb.0:
	s_load_dword s10, s[0:1], 0xc88
	v_mov_b32_e32 v1, 0
	s_waitcnt lgkmcnt(0)
	v_cmp_gt_u32_e32 vcc, s10, v0
	s_and_saveexec_b64 s[8:9], vcc
	s_cbranch_execz .LBB75_4
; %bb.1:
	s_load_dwordx2 s[4:5], s[0:1], 0x0
	s_load_dword s3, s[0:1], 0xc9c
	s_mul_i32 s12, s10, s2
	s_mov_b32 s13, 0
	s_ashr_i32 s11, s10, 31
	s_lshl_b64 s[6:7], s[12:13], 2
	s_waitcnt lgkmcnt(0)
	s_and_b32 s14, s3, 0xffff
	v_mov_b32_e32 v1, 0
	s_add_u32 s4, s4, s6
	v_lshlrev_b32_e32 v2, 2, v0
	v_mov_b32_e32 v3, v1
	s_addc_u32 s5, s5, s7
	s_mov_b32 s15, s13
	v_lshl_add_u64 v[2:3], s[4:5], 0, v[2:3]
	s_lshl_b32 s12, s14, 2
	s_mov_b64 s[16:17], 0
	v_mov_b64_e32 v[4:5], v[0:1]
.LBB75_2:                               ; =>This Inner Loop Header: Depth=1
	global_load_dword v6, v[2:3], off
	v_lshl_add_u64 v[4:5], v[4:5], 0, s[14:15]
	v_cmp_le_u64_e32 vcc, s[10:11], v[4:5]
	v_lshl_add_u64 v[2:3], v[2:3], 0, s[12:13]
	s_waitcnt vmcnt(0)
	v_cmp_u_f32_e64 s[4:5], v6, v6
	v_cmp_lt_f32_e64 s[6:7], v1, v6
	s_or_b64 s[4:5], s[4:5], s[6:7]
	s_or_b64 s[16:17], vcc, s[16:17]
	v_cndmask_b32_e64 v1, v1, v6, s[4:5]
	s_andn2_b64 exec, exec, s[16:17]
	s_cbranch_execnz .LBB75_2
; %bb.3:
	s_or_b64 exec, exec, s[16:17]
.LBB75_4:
	s_or_b64 exec, exec, s[8:9]
	v_mbcnt_lo_u32_b32 v2, -1, 0
	v_mbcnt_hi_u32_b32 v6, -1, v2
	v_mov_b32_e32 v2, 0x80
	v_lshl_or_b32 v2, v6, 2, v2
	ds_bpermute_b32 v3, v2, v1
	v_and_b32_e32 v9, 63, v6
	v_and_b32_e32 v8, 63, v0
	s_waitcnt lgkmcnt(0)
	s_barrier
	v_cmp_u_f32_e32 vcc, v3, v3
	v_cmp_lt_f32_e64 s[4:5], v1, v3
	s_or_b64 vcc, vcc, s[4:5]
	v_cndmask_b32_e32 v3, v1, v3, vcc
	v_cmp_gt_u32_e32 vcc, 48, v9
	s_nop 1
	v_cndmask_b32_e64 v1, 0, 16, vcc
	v_add_lshl_u32 v1, v1, v6, 2
	ds_bpermute_b32 v4, v1, v3
	s_waitcnt lgkmcnt(0)
	v_cmp_u_f32_e32 vcc, v4, v4
	v_cmp_lt_f32_e64 s[4:5], v3, v4
	s_or_b64 vcc, vcc, s[4:5]
	v_cndmask_b32_e32 v4, v3, v4, vcc
	v_cmp_gt_u32_e32 vcc, 56, v9
	s_nop 1
	v_cndmask_b32_e64 v3, 0, 8, vcc
	v_add_lshl_u32 v3, v3, v6, 2
	ds_bpermute_b32 v5, v3, v4
	s_waitcnt lgkmcnt(0)
	;; [unrolled: 10-line block ×4, first 2 shown]
	v_cmp_u_f32_e32 vcc, v10, v10
	v_cmp_lt_f32_e64 s[4:5], v7, v10
	s_or_b64 vcc, vcc, s[4:5]
	v_cndmask_b32_e32 v7, v7, v10, vcc
	v_cmp_ne_u32_e32 vcc, 63, v9
	s_nop 1
	v_addc_co_u32_e32 v6, vcc, 0, v6, vcc
	v_lshlrev_b32_e32 v6, 2, v6
	ds_bpermute_b32 v9, v6, v7
	v_cmp_eq_u32_e32 vcc, 0, v8
	s_and_saveexec_b64 s[6:7], vcc
	s_cbranch_execz .LBB75_6
; %bb.5:
	s_waitcnt lgkmcnt(0)
	v_cmp_u_f32_e32 vcc, v9, v9
	v_cmp_lt_f32_e64 s[4:5], v7, v9
	s_or_b64 vcc, vcc, s[4:5]
	v_cndmask_b32_e32 v7, v7, v9, vcc
	v_lshrrev_b32_e32 v9, 4, v0
	ds_write_b32 v9, v7
.LBB75_6:
	s_or_b64 exec, exec, s[6:7]
	s_waitcnt lgkmcnt(0)
	s_barrier
	s_load_dword s3, s[0:1], 0xc9c
	v_mov_b32_e32 v7, 0xff7fffff
	s_waitcnt lgkmcnt(0)
	s_bfe_u32 s3, s3, 0xa0006
	v_cmp_gt_u32_e32 vcc, s3, v0
	s_and_saveexec_b64 s[4:5], vcc
; %bb.7:
	v_lshlrev_b32_e32 v7, 2, v8
	ds_read_b32 v7, v7
; %bb.8:
	s_or_b64 exec, exec, s[4:5]
	v_cmp_gt_u32_e32 vcc, 64, v0
	s_and_saveexec_b64 s[6:7], vcc
	s_cbranch_execz .LBB75_10
; %bb.9:
	s_waitcnt lgkmcnt(0)
	ds_bpermute_b32 v2, v2, v7
	s_waitcnt lgkmcnt(0)
	v_cmp_u_f32_e32 vcc, v2, v2
	v_cmp_lt_f32_e64 s[4:5], v7, v2
	s_or_b64 vcc, vcc, s[4:5]
	v_cndmask_b32_e32 v2, v7, v2, vcc
	ds_bpermute_b32 v1, v1, v2
	s_waitcnt lgkmcnt(0)
	v_cmp_u_f32_e32 vcc, v1, v1
	v_cmp_lt_f32_e64 s[4:5], v2, v1
	s_or_b64 vcc, vcc, s[4:5]
	v_cndmask_b32_e32 v1, v2, v1, vcc
	ds_bpermute_b32 v2, v3, v1
	s_waitcnt lgkmcnt(0)
	v_cmp_u_f32_e32 vcc, v2, v2
	v_cmp_lt_f32_e64 s[4:5], v1, v2
	s_or_b64 vcc, vcc, s[4:5]
	v_cndmask_b32_e32 v1, v1, v2, vcc
	ds_bpermute_b32 v2, v4, v1
	s_waitcnt lgkmcnt(0)
	v_cmp_u_f32_e32 vcc, v2, v2
	v_cmp_lt_f32_e64 s[4:5], v1, v2
	s_or_b64 vcc, vcc, s[4:5]
	v_cndmask_b32_e32 v1, v1, v2, vcc
	ds_bpermute_b32 v2, v5, v1
	s_waitcnt lgkmcnt(0)
	v_cmp_u_f32_e32 vcc, v2, v2
	v_cmp_lt_f32_e64 s[4:5], v1, v2
	s_or_b64 vcc, vcc, s[4:5]
	v_cndmask_b32_e32 v1, v1, v2, vcc
	ds_bpermute_b32 v2, v6, v1
	s_waitcnt lgkmcnt(0)
	v_cmp_u_f32_e32 vcc, v2, v2
	v_cmp_lt_f32_e64 s[4:5], v1, v2
	s_or_b64 vcc, vcc, s[4:5]
	v_cndmask_b32_e32 v7, v1, v2, vcc
.LBB75_10:
	s_or_b64 exec, exec, s[6:7]
	s_mov_b32 s3, 0
	v_cmp_eq_u32_e32 vcc, 0, v0
	s_and_saveexec_b64 s[4:5], vcc
	s_cbranch_execz .LBB75_12
; %bb.11:
	s_lshl_b64 s[2:3], s[2:3], 3
	s_add_u32 s0, s0, s2
	s_addc_u32 s1, s1, s3
	s_load_dwordx2 s[0:1], s[0:1], 0x8
	s_waitcnt lgkmcnt(0)
	v_cvt_f16_f32_e32 v0, v7
	v_mov_b32_e32 v1, 0
	global_store_short v1, v0, s[0:1]
.LBB75_12:
	s_endpgm
	.section	.rodata,"a",@progbits
	.p2align	6, 0x0
	.amdhsa_kernel _ZN2at6native14lpnorm_cleanupIfLNS0_8NormTypeE3EN3c104HalfELb1EfEEvPKT3_NS0_19TensorListAddressesEi
		.amdhsa_group_segment_fixed_size 2048
		.amdhsa_private_segment_fixed_size 0
		.amdhsa_kernarg_size 3472
		.amdhsa_user_sgpr_count 2
		.amdhsa_user_sgpr_dispatch_ptr 0
		.amdhsa_user_sgpr_queue_ptr 0
		.amdhsa_user_sgpr_kernarg_segment_ptr 1
		.amdhsa_user_sgpr_dispatch_id 0
		.amdhsa_user_sgpr_kernarg_preload_length 0
		.amdhsa_user_sgpr_kernarg_preload_offset 0
		.amdhsa_user_sgpr_private_segment_size 0
		.amdhsa_uses_dynamic_stack 0
		.amdhsa_enable_private_segment 0
		.amdhsa_system_sgpr_workgroup_id_x 1
		.amdhsa_system_sgpr_workgroup_id_y 0
		.amdhsa_system_sgpr_workgroup_id_z 0
		.amdhsa_system_sgpr_workgroup_info 0
		.amdhsa_system_vgpr_workitem_id 0
		.amdhsa_next_free_vgpr 11
		.amdhsa_next_free_sgpr 18
		.amdhsa_accum_offset 12
		.amdhsa_reserve_vcc 1
		.amdhsa_float_round_mode_32 0
		.amdhsa_float_round_mode_16_64 0
		.amdhsa_float_denorm_mode_32 3
		.amdhsa_float_denorm_mode_16_64 3
		.amdhsa_dx10_clamp 1
		.amdhsa_ieee_mode 1
		.amdhsa_fp16_overflow 0
		.amdhsa_tg_split 0
		.amdhsa_exception_fp_ieee_invalid_op 0
		.amdhsa_exception_fp_denorm_src 0
		.amdhsa_exception_fp_ieee_div_zero 0
		.amdhsa_exception_fp_ieee_overflow 0
		.amdhsa_exception_fp_ieee_underflow 0
		.amdhsa_exception_fp_ieee_inexact 0
		.amdhsa_exception_int_div_zero 0
	.end_amdhsa_kernel
	.section	.text._ZN2at6native14lpnorm_cleanupIfLNS0_8NormTypeE3EN3c104HalfELb1EfEEvPKT3_NS0_19TensorListAddressesEi,"axG",@progbits,_ZN2at6native14lpnorm_cleanupIfLNS0_8NormTypeE3EN3c104HalfELb1EfEEvPKT3_NS0_19TensorListAddressesEi,comdat
.Lfunc_end75:
	.size	_ZN2at6native14lpnorm_cleanupIfLNS0_8NormTypeE3EN3c104HalfELb1EfEEvPKT3_NS0_19TensorListAddressesEi, .Lfunc_end75-_ZN2at6native14lpnorm_cleanupIfLNS0_8NormTypeE3EN3c104HalfELb1EfEEvPKT3_NS0_19TensorListAddressesEi
                                        ; -- End function
	.set _ZN2at6native14lpnorm_cleanupIfLNS0_8NormTypeE3EN3c104HalfELb1EfEEvPKT3_NS0_19TensorListAddressesEi.num_vgpr, 11
	.set _ZN2at6native14lpnorm_cleanupIfLNS0_8NormTypeE3EN3c104HalfELb1EfEEvPKT3_NS0_19TensorListAddressesEi.num_agpr, 0
	.set _ZN2at6native14lpnorm_cleanupIfLNS0_8NormTypeE3EN3c104HalfELb1EfEEvPKT3_NS0_19TensorListAddressesEi.numbered_sgpr, 18
	.set _ZN2at6native14lpnorm_cleanupIfLNS0_8NormTypeE3EN3c104HalfELb1EfEEvPKT3_NS0_19TensorListAddressesEi.num_named_barrier, 0
	.set _ZN2at6native14lpnorm_cleanupIfLNS0_8NormTypeE3EN3c104HalfELb1EfEEvPKT3_NS0_19TensorListAddressesEi.private_seg_size, 0
	.set _ZN2at6native14lpnorm_cleanupIfLNS0_8NormTypeE3EN3c104HalfELb1EfEEvPKT3_NS0_19TensorListAddressesEi.uses_vcc, 1
	.set _ZN2at6native14lpnorm_cleanupIfLNS0_8NormTypeE3EN3c104HalfELb1EfEEvPKT3_NS0_19TensorListAddressesEi.uses_flat_scratch, 0
	.set _ZN2at6native14lpnorm_cleanupIfLNS0_8NormTypeE3EN3c104HalfELb1EfEEvPKT3_NS0_19TensorListAddressesEi.has_dyn_sized_stack, 0
	.set _ZN2at6native14lpnorm_cleanupIfLNS0_8NormTypeE3EN3c104HalfELb1EfEEvPKT3_NS0_19TensorListAddressesEi.has_recursion, 0
	.set _ZN2at6native14lpnorm_cleanupIfLNS0_8NormTypeE3EN3c104HalfELb1EfEEvPKT3_NS0_19TensorListAddressesEi.has_indirect_call, 0
	.section	.AMDGPU.csdata,"",@progbits
; Kernel info:
; codeLenInByte = 904
; TotalNumSgprs: 24
; NumVgprs: 11
; NumAgprs: 0
; TotalNumVgprs: 11
; ScratchSize: 0
; MemoryBound: 0
; FloatMode: 240
; IeeeMode: 1
; LDSByteSize: 2048 bytes/workgroup (compile time only)
; SGPRBlocks: 2
; VGPRBlocks: 1
; NumSGPRsForWavesPerEU: 24
; NumVGPRsForWavesPerEU: 11
; AccumOffset: 12
; Occupancy: 8
; WaveLimiterHint : 0
; COMPUTE_PGM_RSRC2:SCRATCH_EN: 0
; COMPUTE_PGM_RSRC2:USER_SGPR: 2
; COMPUTE_PGM_RSRC2:TRAP_HANDLER: 0
; COMPUTE_PGM_RSRC2:TGID_X_EN: 1
; COMPUTE_PGM_RSRC2:TGID_Y_EN: 0
; COMPUTE_PGM_RSRC2:TGID_Z_EN: 0
; COMPUTE_PGM_RSRC2:TIDIG_COMP_CNT: 0
; COMPUTE_PGM_RSRC3_GFX90A:ACCUM_OFFSET: 2
; COMPUTE_PGM_RSRC3_GFX90A:TG_SPLIT: 0
	.section	.text._ZN2at6native12_GLOBAL__N_125multi_tensor_apply_kernelINS1_18TensorListMetadataILi1EEENS0_13LpNormFunctorIfLNS0_8NormTypeE0EN3c108BFloat16ELi1ELi1ELi0EEEJPfiEEEvT_T0_DpT1_,"axG",@progbits,_ZN2at6native12_GLOBAL__N_125multi_tensor_apply_kernelINS1_18TensorListMetadataILi1EEENS0_13LpNormFunctorIfLNS0_8NormTypeE0EN3c108BFloat16ELi1ELi1ELi0EEEJPfiEEEvT_T0_DpT1_,comdat
	.globl	_ZN2at6native12_GLOBAL__N_125multi_tensor_apply_kernelINS1_18TensorListMetadataILi1EEENS0_13LpNormFunctorIfLNS0_8NormTypeE0EN3c108BFloat16ELi1ELi1ELi0EEEJPfiEEEvT_T0_DpT1_ ; -- Begin function _ZN2at6native12_GLOBAL__N_125multi_tensor_apply_kernelINS1_18TensorListMetadataILi1EEENS0_13LpNormFunctorIfLNS0_8NormTypeE0EN3c108BFloat16ELi1ELi1ELi0EEEJPfiEEEvT_T0_DpT1_
	.p2align	8
	.type	_ZN2at6native12_GLOBAL__N_125multi_tensor_apply_kernelINS1_18TensorListMetadataILi1EEENS0_13LpNormFunctorIfLNS0_8NormTypeE0EN3c108BFloat16ELi1ELi1ELi0EEEJPfiEEEvT_T0_DpT1_,@function
_ZN2at6native12_GLOBAL__N_125multi_tensor_apply_kernelINS1_18TensorListMetadataILi1EEENS0_13LpNormFunctorIfLNS0_8NormTypeE0EN3c108BFloat16ELi1ELi1ELi0EEEJPfiEEEvT_T0_DpT1_: ; @_ZN2at6native12_GLOBAL__N_125multi_tensor_apply_kernelINS1_18TensorListMetadataILi1EEENS0_13LpNormFunctorIfLNS0_8NormTypeE0EN3c108BFloat16ELi1ELi1ELi0EEEJPfiEEEvT_T0_DpT1_
; %bb.0:
	v_mov_b32_e32 v1, s2
	global_load_ubyte v1, v1, s[0:1] offset:1760
	s_add_u32 s3, s0, s2
	s_mul_hi_u32 s4, s2, 3
	s_mul_i32 s2, s2, 3
	s_addc_u32 s5, s1, 0
	s_add_u32 s2, s3, s2
	s_addc_u32 s3, s5, s4
	s_load_dword s4, s[2:3], 0x820
	s_mov_b32 s15, 0
	s_waitcnt vmcnt(0)
	v_readfirstlane_b32 s2, v1
	s_and_b32 s16, s2, 0xff
	s_lshl_b32 s5, s16, 3
	s_load_dwordx2 s[2:3], s[0:1], s5 offset:0x370
	s_load_dwordx2 s[6:7], s[0:1], s5 offset:0x0
	s_waitcnt lgkmcnt(0)
	s_ashr_i32 s5, s4, 31
	s_lshl_b64 s[10:11], s[4:5], 16
	s_lshl_b64 s[8:9], s[4:5], 18
	s_add_u32 s12, s6, s8
	s_addc_u32 s13, s7, s9
	s_sub_u32 s10, s2, s10
	s_subb_u32 s11, s3, s11
	s_and_b32 s14, s2, 3
	s_and_b32 s2, s12, 15
	s_mov_b32 s3, s15
	s_or_b64 s[2:3], s[14:15], s[2:3]
	s_cmp_eq_u64 s[2:3], 0
	s_cbranch_scc1 .LBB76_12
; %bb.1:
	v_cmp_lt_i64_e64 s[2:3], s[10:11], 1
	s_and_b64 vcc, exec, s[2:3]
	s_cbranch_vccnz .LBB76_13
; %bb.2:
	s_load_dword s14, s[0:1], 0xd4c
	v_mov_b64_e32 v[2:3], 0x10000
	v_cmp_lt_i64_e32 vcc, s[10:11], v[2:3]
	s_and_b64 s[2:3], vcc, exec
	v_mov_b32_e32 v7, 0
	s_cselect_b32 s3, s11, 0
	s_cselect_b32 s2, s10, 0x10000
	s_waitcnt lgkmcnt(0)
	s_and_b32 s18, s14, 0xffff
	v_mov_b32_e32 v6, v7
	v_mad_u64_u32 v[12:13], s[14:15], s18, 3, v[0:1]
	v_mov_b32_e32 v8, v7
	v_mov_b32_e32 v9, v7
	v_mov_b64_e32 v[2:3], v[6:7]
	s_mov_b32 s5, 0x10000
	s_lshl_b32 s17, s18, 2
	v_lshl_add_u32 v10, s18, 1, v0
	v_add_u32_e32 v14, s18, v0
	s_mov_b64 s[14:15], 0
	v_mov_b64_e32 v[16:17], s[2:3]
	v_mov_b64_e32 v[4:5], v[8:9]
	s_branch .LBB76_4
.LBB76_3:                               ;   in Loop: Header=BB76_4 Depth=1
	s_or_b64 exec, exec, s[2:3]
	s_add_u32 s14, s14, s17
	s_addc_u32 s15, s15, 0
	v_cmp_lt_i64_e32 vcc, s[14:15], v[16:17]
	s_cbranch_vccz .LBB76_14
.LBB76_4:                               ; =>This Inner Loop Header: Depth=1
	v_add_u32_e32 v6, s14, v0
	v_cmp_gt_i64_e32 vcc, s[10:11], v[6:7]
	v_cmp_gt_u32_e64 s[2:3], s5, v6
	s_and_b64 s[18:19], s[2:3], vcc
	s_and_saveexec_b64 s[2:3], s[18:19]
	s_cbranch_execz .LBB76_6
; %bb.5:                                ;   in Loop: Header=BB76_4 Depth=1
	v_lshl_add_u64 v[8:9], v[6:7], 2, s[12:13]
	global_load_dword v1, v[8:9], off
	s_waitcnt vmcnt(0)
	v_cmp_neq_f32_e32 vcc, 0, v1
	s_nop 1
	v_cndmask_b32_e64 v1, 0, 1.0, vcc
	v_add_f32_e32 v2, v2, v1
.LBB76_6:                               ;   in Loop: Header=BB76_4 Depth=1
	s_or_b64 exec, exec, s[2:3]
	v_add_u32_e32 v6, s14, v14
	v_cmp_gt_i64_e32 vcc, s[10:11], v[6:7]
	v_cmp_gt_u32_e64 s[2:3], s5, v6
	s_and_b64 s[18:19], s[2:3], vcc
	s_and_saveexec_b64 s[2:3], s[18:19]
	s_cbranch_execz .LBB76_8
; %bb.7:                                ;   in Loop: Header=BB76_4 Depth=1
	v_lshl_add_u64 v[8:9], v[6:7], 2, s[12:13]
	global_load_dword v1, v[8:9], off
	s_waitcnt vmcnt(0)
	v_cmp_neq_f32_e32 vcc, 0, v1
	s_nop 1
	v_cndmask_b32_e64 v1, 0, 1.0, vcc
	v_add_f32_e32 v3, v3, v1
.LBB76_8:                               ;   in Loop: Header=BB76_4 Depth=1
	s_or_b64 exec, exec, s[2:3]
	v_add_u32_e32 v6, s14, v10
	v_cmp_gt_i64_e32 vcc, s[10:11], v[6:7]
	v_cmp_gt_u32_e64 s[2:3], s5, v6
	s_and_b64 s[18:19], s[2:3], vcc
	s_and_saveexec_b64 s[2:3], s[18:19]
	s_cbranch_execz .LBB76_10
; %bb.9:                                ;   in Loop: Header=BB76_4 Depth=1
	v_lshl_add_u64 v[8:9], v[6:7], 2, s[12:13]
	global_load_dword v1, v[8:9], off
	s_waitcnt vmcnt(0)
	v_cmp_neq_f32_e32 vcc, 0, v1
	s_nop 1
	v_cndmask_b32_e64 v1, 0, 1.0, vcc
	v_add_f32_e32 v4, v4, v1
.LBB76_10:                              ;   in Loop: Header=BB76_4 Depth=1
	s_or_b64 exec, exec, s[2:3]
	v_add_u32_e32 v6, s14, v12
	v_cmp_gt_i64_e32 vcc, s[10:11], v[6:7]
	v_cmp_gt_u32_e64 s[2:3], s5, v6
	s_and_b64 s[18:19], s[2:3], vcc
	s_and_saveexec_b64 s[2:3], s[18:19]
	s_cbranch_execz .LBB76_3
; %bb.11:                               ;   in Loop: Header=BB76_4 Depth=1
	v_lshl_add_u64 v[8:9], v[6:7], 2, s[12:13]
	global_load_dword v1, v[8:9], off
	s_waitcnt vmcnt(0)
	v_cmp_neq_f32_e32 vcc, 0, v1
	s_nop 1
	v_cndmask_b32_e64 v1, 0, 1.0, vcc
	v_add_f32_e32 v5, v5, v1
	s_branch .LBB76_3
.LBB76_12:
                                        ; implicit-def: $vgpr2_vgpr3_vgpr4_vgpr5
	s_branch .LBB76_15
.LBB76_13:
	v_mov_b32_e32 v2, 0
	v_mov_b32_e32 v3, v2
	;; [unrolled: 1-line block ×4, first 2 shown]
.LBB76_14:
	s_cbranch_execnz .LBB76_20
.LBB76_15:
	v_mov_b64_e32 v[4:5], 0x10000
	v_cmp_lt_i64_e32 vcc, s[10:11], v[4:5]
	v_mov_b32_e32 v2, 0
	s_and_b64 s[2:3], vcc, exec
	s_cselect_b32 s3, s11, 0
	s_cselect_b32 s2, s10, 0x10000
	v_lshlrev_b32_e32 v4, 2, v0
	v_mov_b32_e32 v5, v2
	v_cmp_gt_i64_e32 vcc, s[2:3], v[4:5]
	s_mov_b32 s13, 0
	v_mov_b32_e32 v3, v2
	v_mov_b32_e32 v4, v2
	s_and_saveexec_b64 s[10:11], vcc
	s_cbranch_execz .LBB76_19
; %bb.16:
	s_load_dword s5, s[0:1], 0xd4c
	v_lshlrev_b32_e32 v4, 4, v0
	v_mov_b32_e32 v5, v2
	v_mov_b32_e32 v1, v2
	v_mov_b64_e32 v[8:9], v[0:1]
	s_waitcnt lgkmcnt(0)
	s_and_b32 s12, s5, 0xffff
	s_add_u32 s8, s6, s8
	s_addc_u32 s9, s7, s9
	v_lshl_add_u64 v[4:5], s[8:9], 0, v[4:5]
	s_lshl_b32 s6, s12, 4
	v_lshl_add_u64 v[6:7], v[4:5], 0, 8
	s_mov_b32 s7, s13
	s_mov_b64 s[8:9], 0
	v_mov_b32_e32 v3, v2
	v_mov_b32_e32 v4, v2
	v_mov_b32_e32 v5, v2
.LBB76_17:                              ; =>This Inner Loop Header: Depth=1
	global_load_dwordx4 v[10:13], v[6:7], off offset:-8
	v_lshl_add_u64 v[8:9], v[8:9], 0, s[12:13]
	v_lshlrev_b64 v[14:15], 2, v[8:9]
	v_cmp_le_i64_e32 vcc, s[2:3], v[14:15]
	s_or_b64 s[8:9], vcc, s[8:9]
	v_lshl_add_u64 v[6:7], v[6:7], 0, s[6:7]
	s_waitcnt vmcnt(0)
	v_cmp_eq_f32_e32 vcc, 0, v11
	s_nop 1
	v_cndmask_b32_e64 v11, 1.0, 0, vcc
	v_cmp_eq_f32_e32 vcc, 0, v10
	s_nop 1
	v_cndmask_b32_e64 v10, 1.0, 0, vcc
	v_cmp_eq_f32_e32 vcc, 0, v13
	v_pk_add_f32 v[2:3], v[2:3], v[10:11]
	s_nop 0
	v_cndmask_b32_e64 v13, 1.0, 0, vcc
	v_cmp_eq_f32_e32 vcc, 0, v12
	s_nop 1
	v_cndmask_b32_e64 v12, 1.0, 0, vcc
	v_pk_add_f32 v[4:5], v[4:5], v[12:13]
	s_andn2_b64 exec, exec, s[8:9]
	s_cbranch_execnz .LBB76_17
; %bb.18:
	s_or_b64 exec, exec, s[8:9]
.LBB76_19:
	s_or_b64 exec, exec, s[10:11]
.LBB76_20:
	v_add_f32_e32 v1, 0, v2
	v_add_f32_e32 v1, v3, v1
	;; [unrolled: 1-line block ×4, first 2 shown]
	v_mbcnt_lo_u32_b32 v1, -1, 0
	v_mbcnt_hi_u32_b32 v6, -1, v1
	v_mov_b32_e32 v1, 0x80
	v_lshl_or_b32 v1, v6, 2, v1
	ds_bpermute_b32 v3, v1, v2
	v_and_b32_e32 v9, 63, v6
	v_cmp_gt_u32_e32 vcc, 48, v9
	s_waitcnt lgkmcnt(0)
	s_barrier
	v_add_f32_e32 v3, v2, v3
	v_cndmask_b32_e64 v2, 0, 16, vcc
	v_add_lshl_u32 v2, v2, v6, 2
	ds_bpermute_b32 v4, v2, v3
	v_cmp_gt_u32_e32 vcc, 56, v9
	s_waitcnt lgkmcnt(0)
	v_add_f32_e32 v4, v3, v4
	v_cndmask_b32_e64 v3, 0, 8, vcc
	v_add_lshl_u32 v3, v3, v6, 2
	ds_bpermute_b32 v5, v3, v4
	v_cmp_gt_u32_e32 vcc, 60, v9
	s_waitcnt lgkmcnt(0)
	;; [unrolled: 6-line block ×3, first 2 shown]
	v_add_f32_e32 v7, v5, v7
	v_cndmask_b32_e64 v8, 0, 2, vcc
	v_add_lshl_u32 v5, v8, v6, 2
	ds_bpermute_b32 v10, v5, v7
	v_cmp_ne_u32_e32 vcc, 63, v9
	v_and_b32_e32 v8, 63, v0
	s_waitcnt lgkmcnt(0)
	v_add_f32_e32 v7, v7, v10
	v_addc_co_u32_e32 v6, vcc, 0, v6, vcc
	v_lshlrev_b32_e32 v6, 2, v6
	ds_bpermute_b32 v9, v6, v7
	v_cmp_eq_u32_e32 vcc, 0, v8
	s_and_saveexec_b64 s[2:3], vcc
	s_cbranch_execz .LBB76_22
; %bb.21:
	v_lshrrev_b32_e32 v10, 4, v0
	s_waitcnt lgkmcnt(0)
	v_add_f32_e32 v7, v7, v9
	ds_write_b32 v10, v7
.LBB76_22:
	s_or_b64 exec, exec, s[2:3]
	s_waitcnt lgkmcnt(0)
	s_barrier
	s_load_dword s2, s[0:1], 0xd4c
	v_mov_b32_e32 v7, 0
	s_waitcnt lgkmcnt(0)
	s_bfe_u32 s2, s2, 0xa0006
	v_cmp_gt_u32_e32 vcc, s2, v0
	s_and_saveexec_b64 s[2:3], vcc
	s_cbranch_execnz .LBB76_26
; %bb.23:
	s_or_b64 exec, exec, s[2:3]
	v_cmp_gt_u32_e32 vcc, 64, v0
	s_and_saveexec_b64 s[2:3], vcc
	s_cbranch_execnz .LBB76_27
.LBB76_24:
	s_or_b64 exec, exec, s[2:3]
	v_cmp_eq_u32_e32 vcc, 0, v0
	s_and_saveexec_b64 s[2:3], vcc
	s_cbranch_execnz .LBB76_28
.LBB76_25:
	s_endpgm
.LBB76_26:
	v_lshlrev_b32_e32 v7, 2, v8
	ds_read_b32 v7, v7
	s_or_b64 exec, exec, s[2:3]
	v_cmp_gt_u32_e32 vcc, 64, v0
	s_and_saveexec_b64 s[2:3], vcc
	s_cbranch_execz .LBB76_24
.LBB76_27:
	s_waitcnt lgkmcnt(0)
	ds_bpermute_b32 v1, v1, v7
	s_waitcnt lgkmcnt(0)
	v_add_f32_e32 v1, v7, v1
	ds_bpermute_b32 v2, v2, v1
	s_waitcnt lgkmcnt(0)
	v_add_f32_e32 v1, v1, v2
	;; [unrolled: 3-line block ×6, first 2 shown]
	s_or_b64 exec, exec, s[2:3]
	v_cmp_eq_u32_e32 vcc, 0, v0
	s_and_saveexec_b64 s[2:3], vcc
	s_cbranch_execz .LBB76_25
.LBB76_28:
	s_load_dword s5, s[0:1], 0xd20
	s_load_dword s6, s[0:1], 0xd38
	s_load_dwordx2 s[2:3], s[0:1], 0xd30
	v_mov_b32_e32 v0, 0
	s_waitcnt lgkmcnt(0)
	s_add_i32 s0, s5, s16
	s_mul_i32 s0, s0, s6
	s_add_i32 s0, s0, s4
	s_ashr_i32 s1, s0, 31
	s_lshl_b64 s[0:1], s[0:1], 2
	s_add_u32 s0, s2, s0
	s_addc_u32 s1, s3, s1
	global_store_dword v0, v7, s[0:1]
	s_endpgm
	.section	.rodata,"a",@progbits
	.p2align	6, 0x0
	.amdhsa_kernel _ZN2at6native12_GLOBAL__N_125multi_tensor_apply_kernelINS1_18TensorListMetadataILi1EEENS0_13LpNormFunctorIfLNS0_8NormTypeE0EN3c108BFloat16ELi1ELi1ELi0EEEJPfiEEEvT_T0_DpT1_
		.amdhsa_group_segment_fixed_size 2048
		.amdhsa_private_segment_fixed_size 0
		.amdhsa_kernarg_size 3648
		.amdhsa_user_sgpr_count 2
		.amdhsa_user_sgpr_dispatch_ptr 0
		.amdhsa_user_sgpr_queue_ptr 0
		.amdhsa_user_sgpr_kernarg_segment_ptr 1
		.amdhsa_user_sgpr_dispatch_id 0
		.amdhsa_user_sgpr_kernarg_preload_length 0
		.amdhsa_user_sgpr_kernarg_preload_offset 0
		.amdhsa_user_sgpr_private_segment_size 0
		.amdhsa_uses_dynamic_stack 0
		.amdhsa_enable_private_segment 0
		.amdhsa_system_sgpr_workgroup_id_x 1
		.amdhsa_system_sgpr_workgroup_id_y 0
		.amdhsa_system_sgpr_workgroup_id_z 0
		.amdhsa_system_sgpr_workgroup_info 0
		.amdhsa_system_vgpr_workitem_id 0
		.amdhsa_next_free_vgpr 18
		.amdhsa_next_free_sgpr 20
		.amdhsa_accum_offset 20
		.amdhsa_reserve_vcc 1
		.amdhsa_float_round_mode_32 0
		.amdhsa_float_round_mode_16_64 0
		.amdhsa_float_denorm_mode_32 3
		.amdhsa_float_denorm_mode_16_64 3
		.amdhsa_dx10_clamp 1
		.amdhsa_ieee_mode 1
		.amdhsa_fp16_overflow 0
		.amdhsa_tg_split 0
		.amdhsa_exception_fp_ieee_invalid_op 0
		.amdhsa_exception_fp_denorm_src 0
		.amdhsa_exception_fp_ieee_div_zero 0
		.amdhsa_exception_fp_ieee_overflow 0
		.amdhsa_exception_fp_ieee_underflow 0
		.amdhsa_exception_fp_ieee_inexact 0
		.amdhsa_exception_int_div_zero 0
	.end_amdhsa_kernel
	.section	.text._ZN2at6native12_GLOBAL__N_125multi_tensor_apply_kernelINS1_18TensorListMetadataILi1EEENS0_13LpNormFunctorIfLNS0_8NormTypeE0EN3c108BFloat16ELi1ELi1ELi0EEEJPfiEEEvT_T0_DpT1_,"axG",@progbits,_ZN2at6native12_GLOBAL__N_125multi_tensor_apply_kernelINS1_18TensorListMetadataILi1EEENS0_13LpNormFunctorIfLNS0_8NormTypeE0EN3c108BFloat16ELi1ELi1ELi0EEEJPfiEEEvT_T0_DpT1_,comdat
.Lfunc_end76:
	.size	_ZN2at6native12_GLOBAL__N_125multi_tensor_apply_kernelINS1_18TensorListMetadataILi1EEENS0_13LpNormFunctorIfLNS0_8NormTypeE0EN3c108BFloat16ELi1ELi1ELi0EEEJPfiEEEvT_T0_DpT1_, .Lfunc_end76-_ZN2at6native12_GLOBAL__N_125multi_tensor_apply_kernelINS1_18TensorListMetadataILi1EEENS0_13LpNormFunctorIfLNS0_8NormTypeE0EN3c108BFloat16ELi1ELi1ELi0EEEJPfiEEEvT_T0_DpT1_
                                        ; -- End function
	.set _ZN2at6native12_GLOBAL__N_125multi_tensor_apply_kernelINS1_18TensorListMetadataILi1EEENS0_13LpNormFunctorIfLNS0_8NormTypeE0EN3c108BFloat16ELi1ELi1ELi0EEEJPfiEEEvT_T0_DpT1_.num_vgpr, 18
	.set _ZN2at6native12_GLOBAL__N_125multi_tensor_apply_kernelINS1_18TensorListMetadataILi1EEENS0_13LpNormFunctorIfLNS0_8NormTypeE0EN3c108BFloat16ELi1ELi1ELi0EEEJPfiEEEvT_T0_DpT1_.num_agpr, 0
	.set _ZN2at6native12_GLOBAL__N_125multi_tensor_apply_kernelINS1_18TensorListMetadataILi1EEENS0_13LpNormFunctorIfLNS0_8NormTypeE0EN3c108BFloat16ELi1ELi1ELi0EEEJPfiEEEvT_T0_DpT1_.numbered_sgpr, 20
	.set _ZN2at6native12_GLOBAL__N_125multi_tensor_apply_kernelINS1_18TensorListMetadataILi1EEENS0_13LpNormFunctorIfLNS0_8NormTypeE0EN3c108BFloat16ELi1ELi1ELi0EEEJPfiEEEvT_T0_DpT1_.num_named_barrier, 0
	.set _ZN2at6native12_GLOBAL__N_125multi_tensor_apply_kernelINS1_18TensorListMetadataILi1EEENS0_13LpNormFunctorIfLNS0_8NormTypeE0EN3c108BFloat16ELi1ELi1ELi0EEEJPfiEEEvT_T0_DpT1_.private_seg_size, 0
	.set _ZN2at6native12_GLOBAL__N_125multi_tensor_apply_kernelINS1_18TensorListMetadataILi1EEENS0_13LpNormFunctorIfLNS0_8NormTypeE0EN3c108BFloat16ELi1ELi1ELi0EEEJPfiEEEvT_T0_DpT1_.uses_vcc, 1
	.set _ZN2at6native12_GLOBAL__N_125multi_tensor_apply_kernelINS1_18TensorListMetadataILi1EEENS0_13LpNormFunctorIfLNS0_8NormTypeE0EN3c108BFloat16ELi1ELi1ELi0EEEJPfiEEEvT_T0_DpT1_.uses_flat_scratch, 0
	.set _ZN2at6native12_GLOBAL__N_125multi_tensor_apply_kernelINS1_18TensorListMetadataILi1EEENS0_13LpNormFunctorIfLNS0_8NormTypeE0EN3c108BFloat16ELi1ELi1ELi0EEEJPfiEEEvT_T0_DpT1_.has_dyn_sized_stack, 0
	.set _ZN2at6native12_GLOBAL__N_125multi_tensor_apply_kernelINS1_18TensorListMetadataILi1EEENS0_13LpNormFunctorIfLNS0_8NormTypeE0EN3c108BFloat16ELi1ELi1ELi0EEEJPfiEEEvT_T0_DpT1_.has_recursion, 0
	.set _ZN2at6native12_GLOBAL__N_125multi_tensor_apply_kernelINS1_18TensorListMetadataILi1EEENS0_13LpNormFunctorIfLNS0_8NormTypeE0EN3c108BFloat16ELi1ELi1ELi0EEEJPfiEEEvT_T0_DpT1_.has_indirect_call, 0
	.section	.AMDGPU.csdata,"",@progbits
; Kernel info:
; codeLenInByte = 1464
; TotalNumSgprs: 26
; NumVgprs: 18
; NumAgprs: 0
; TotalNumVgprs: 18
; ScratchSize: 0
; MemoryBound: 0
; FloatMode: 240
; IeeeMode: 1
; LDSByteSize: 2048 bytes/workgroup (compile time only)
; SGPRBlocks: 3
; VGPRBlocks: 2
; NumSGPRsForWavesPerEU: 26
; NumVGPRsForWavesPerEU: 18
; AccumOffset: 20
; Occupancy: 8
; WaveLimiterHint : 0
; COMPUTE_PGM_RSRC2:SCRATCH_EN: 0
; COMPUTE_PGM_RSRC2:USER_SGPR: 2
; COMPUTE_PGM_RSRC2:TRAP_HANDLER: 0
; COMPUTE_PGM_RSRC2:TGID_X_EN: 1
; COMPUTE_PGM_RSRC2:TGID_Y_EN: 0
; COMPUTE_PGM_RSRC2:TGID_Z_EN: 0
; COMPUTE_PGM_RSRC2:TIDIG_COMP_CNT: 0
; COMPUTE_PGM_RSRC3_GFX90A:ACCUM_OFFSET: 4
; COMPUTE_PGM_RSRC3_GFX90A:TG_SPLIT: 0
	.section	.text._ZN2at6native12_GLOBAL__N_125multi_tensor_apply_kernelINS1_18TensorListMetadataILi1EEENS0_13LpNormFunctorIfLNS0_8NormTypeE1EN3c108BFloat16ELi1ELi1ELi0EEEJPfiEEEvT_T0_DpT1_,"axG",@progbits,_ZN2at6native12_GLOBAL__N_125multi_tensor_apply_kernelINS1_18TensorListMetadataILi1EEENS0_13LpNormFunctorIfLNS0_8NormTypeE1EN3c108BFloat16ELi1ELi1ELi0EEEJPfiEEEvT_T0_DpT1_,comdat
	.globl	_ZN2at6native12_GLOBAL__N_125multi_tensor_apply_kernelINS1_18TensorListMetadataILi1EEENS0_13LpNormFunctorIfLNS0_8NormTypeE1EN3c108BFloat16ELi1ELi1ELi0EEEJPfiEEEvT_T0_DpT1_ ; -- Begin function _ZN2at6native12_GLOBAL__N_125multi_tensor_apply_kernelINS1_18TensorListMetadataILi1EEENS0_13LpNormFunctorIfLNS0_8NormTypeE1EN3c108BFloat16ELi1ELi1ELi0EEEJPfiEEEvT_T0_DpT1_
	.p2align	8
	.type	_ZN2at6native12_GLOBAL__N_125multi_tensor_apply_kernelINS1_18TensorListMetadataILi1EEENS0_13LpNormFunctorIfLNS0_8NormTypeE1EN3c108BFloat16ELi1ELi1ELi0EEEJPfiEEEvT_T0_DpT1_,@function
_ZN2at6native12_GLOBAL__N_125multi_tensor_apply_kernelINS1_18TensorListMetadataILi1EEENS0_13LpNormFunctorIfLNS0_8NormTypeE1EN3c108BFloat16ELi1ELi1ELi0EEEJPfiEEEvT_T0_DpT1_: ; @_ZN2at6native12_GLOBAL__N_125multi_tensor_apply_kernelINS1_18TensorListMetadataILi1EEENS0_13LpNormFunctorIfLNS0_8NormTypeE1EN3c108BFloat16ELi1ELi1ELi0EEEJPfiEEEvT_T0_DpT1_
; %bb.0:
	v_mov_b32_e32 v1, s2
	global_load_ubyte v1, v1, s[0:1] offset:1760
	s_add_u32 s3, s0, s2
	s_mul_hi_u32 s4, s2, 3
	s_mul_i32 s2, s2, 3
	s_addc_u32 s5, s1, 0
	s_add_u32 s2, s3, s2
	s_addc_u32 s3, s5, s4
	s_load_dword s4, s[2:3], 0x820
	s_mov_b32 s15, 0
	s_waitcnt vmcnt(0)
	v_readfirstlane_b32 s2, v1
	s_and_b32 s16, s2, 0xff
	s_lshl_b32 s5, s16, 3
	s_load_dwordx2 s[2:3], s[0:1], s5 offset:0x370
	s_load_dwordx2 s[6:7], s[0:1], s5 offset:0x0
	s_waitcnt lgkmcnt(0)
	s_ashr_i32 s5, s4, 31
	s_lshl_b64 s[10:11], s[4:5], 16
	s_lshl_b64 s[8:9], s[4:5], 18
	s_add_u32 s12, s6, s8
	s_addc_u32 s13, s7, s9
	s_sub_u32 s10, s2, s10
	s_subb_u32 s11, s3, s11
	s_and_b32 s14, s2, 3
	s_and_b32 s2, s12, 15
	s_mov_b32 s3, s15
	s_or_b64 s[2:3], s[14:15], s[2:3]
	s_cmp_eq_u64 s[2:3], 0
	s_cbranch_scc1 .LBB77_12
; %bb.1:
	v_cmp_lt_i64_e64 s[2:3], s[10:11], 1
	s_and_b64 vcc, exec, s[2:3]
	s_cbranch_vccnz .LBB77_13
; %bb.2:
	s_load_dword s14, s[0:1], 0xd4c
	v_mov_b64_e32 v[2:3], 0x10000
	v_cmp_lt_i64_e32 vcc, s[10:11], v[2:3]
	s_and_b64 s[2:3], vcc, exec
	v_mov_b32_e32 v7, 0
	s_cselect_b32 s3, s11, 0
	s_cselect_b32 s2, s10, 0x10000
	s_waitcnt lgkmcnt(0)
	s_and_b32 s18, s14, 0xffff
	v_mov_b32_e32 v6, v7
	v_mad_u64_u32 v[12:13], s[14:15], s18, 3, v[0:1]
	v_mov_b32_e32 v8, v7
	v_mov_b32_e32 v9, v7
	v_mov_b64_e32 v[2:3], v[6:7]
	s_mov_b32 s5, 0x10000
	s_lshl_b32 s17, s18, 2
	v_lshl_add_u32 v10, s18, 1, v0
	v_add_u32_e32 v14, s18, v0
	s_mov_b64 s[14:15], 0
	v_mov_b64_e32 v[16:17], s[2:3]
	v_mov_b64_e32 v[4:5], v[8:9]
	s_branch .LBB77_4
.LBB77_3:                               ;   in Loop: Header=BB77_4 Depth=1
	s_or_b64 exec, exec, s[2:3]
	s_add_u32 s14, s14, s17
	s_addc_u32 s15, s15, 0
	v_cmp_lt_i64_e32 vcc, s[14:15], v[16:17]
	s_cbranch_vccz .LBB77_14
.LBB77_4:                               ; =>This Inner Loop Header: Depth=1
	v_add_u32_e32 v6, s14, v0
	v_cmp_gt_i64_e32 vcc, s[10:11], v[6:7]
	v_cmp_gt_u32_e64 s[2:3], s5, v6
	s_and_b64 s[18:19], s[2:3], vcc
	s_and_saveexec_b64 s[2:3], s[18:19]
	s_cbranch_execz .LBB77_6
; %bb.5:                                ;   in Loop: Header=BB77_4 Depth=1
	v_lshl_add_u64 v[8:9], v[6:7], 2, s[12:13]
	global_load_dword v1, v[8:9], off
	s_waitcnt vmcnt(0)
	v_add_f32_e64 v2, v2, |v1|
.LBB77_6:                               ;   in Loop: Header=BB77_4 Depth=1
	s_or_b64 exec, exec, s[2:3]
	v_add_u32_e32 v6, s14, v14
	v_cmp_gt_i64_e32 vcc, s[10:11], v[6:7]
	v_cmp_gt_u32_e64 s[2:3], s5, v6
	s_and_b64 s[18:19], s[2:3], vcc
	s_and_saveexec_b64 s[2:3], s[18:19]
	s_cbranch_execz .LBB77_8
; %bb.7:                                ;   in Loop: Header=BB77_4 Depth=1
	v_lshl_add_u64 v[8:9], v[6:7], 2, s[12:13]
	global_load_dword v1, v[8:9], off
	s_waitcnt vmcnt(0)
	v_add_f32_e64 v3, v3, |v1|
.LBB77_8:                               ;   in Loop: Header=BB77_4 Depth=1
	s_or_b64 exec, exec, s[2:3]
	v_add_u32_e32 v6, s14, v10
	v_cmp_gt_i64_e32 vcc, s[10:11], v[6:7]
	v_cmp_gt_u32_e64 s[2:3], s5, v6
	s_and_b64 s[18:19], s[2:3], vcc
	s_and_saveexec_b64 s[2:3], s[18:19]
	s_cbranch_execz .LBB77_10
; %bb.9:                                ;   in Loop: Header=BB77_4 Depth=1
	v_lshl_add_u64 v[8:9], v[6:7], 2, s[12:13]
	global_load_dword v1, v[8:9], off
	s_waitcnt vmcnt(0)
	v_add_f32_e64 v4, v4, |v1|
.LBB77_10:                              ;   in Loop: Header=BB77_4 Depth=1
	s_or_b64 exec, exec, s[2:3]
	v_add_u32_e32 v6, s14, v12
	v_cmp_gt_i64_e32 vcc, s[10:11], v[6:7]
	v_cmp_gt_u32_e64 s[2:3], s5, v6
	s_and_b64 s[18:19], s[2:3], vcc
	s_and_saveexec_b64 s[2:3], s[18:19]
	s_cbranch_execz .LBB77_3
; %bb.11:                               ;   in Loop: Header=BB77_4 Depth=1
	v_lshl_add_u64 v[8:9], v[6:7], 2, s[12:13]
	global_load_dword v1, v[8:9], off
	s_waitcnt vmcnt(0)
	v_add_f32_e64 v5, v5, |v1|
	s_branch .LBB77_3
.LBB77_12:
                                        ; implicit-def: $vgpr2_vgpr3_vgpr4_vgpr5
	s_branch .LBB77_15
.LBB77_13:
	v_mov_b32_e32 v2, 0
	v_mov_b32_e32 v3, v2
	;; [unrolled: 1-line block ×4, first 2 shown]
.LBB77_14:
	s_cbranch_execnz .LBB77_20
.LBB77_15:
	v_mov_b64_e32 v[4:5], 0x10000
	v_cmp_lt_i64_e32 vcc, s[10:11], v[4:5]
	v_mov_b32_e32 v2, 0
	s_and_b64 s[2:3], vcc, exec
	s_cselect_b32 s3, s11, 0
	s_cselect_b32 s2, s10, 0x10000
	v_lshlrev_b32_e32 v4, 2, v0
	v_mov_b32_e32 v5, v2
	v_cmp_gt_i64_e32 vcc, s[2:3], v[4:5]
	s_mov_b32 s13, 0
	v_mov_b32_e32 v3, v2
	v_mov_b32_e32 v4, v2
	s_and_saveexec_b64 s[10:11], vcc
	s_cbranch_execz .LBB77_19
; %bb.16:
	s_load_dword s5, s[0:1], 0xd4c
	v_lshlrev_b32_e32 v4, 4, v0
	v_mov_b32_e32 v5, v2
	v_mov_b32_e32 v1, v2
	v_mov_b64_e32 v[8:9], v[0:1]
	s_waitcnt lgkmcnt(0)
	s_and_b32 s12, s5, 0xffff
	s_add_u32 s8, s6, s8
	s_addc_u32 s9, s7, s9
	v_lshl_add_u64 v[4:5], s[8:9], 0, v[4:5]
	s_lshl_b32 s6, s12, 4
	v_lshl_add_u64 v[6:7], v[4:5], 0, 8
	s_mov_b32 s7, s13
	s_mov_b64 s[8:9], 0
	v_mov_b32_e32 v3, v2
	v_mov_b32_e32 v4, v2
	;; [unrolled: 1-line block ×3, first 2 shown]
.LBB77_17:                              ; =>This Inner Loop Header: Depth=1
	global_load_dwordx4 v[10:13], v[6:7], off offset:-8
	v_lshl_add_u64 v[8:9], v[8:9], 0, s[12:13]
	v_lshlrev_b64 v[14:15], 2, v[8:9]
	v_cmp_le_i64_e32 vcc, s[2:3], v[14:15]
	v_lshl_add_u64 v[6:7], v[6:7], 0, s[6:7]
	s_or_b64 s[8:9], vcc, s[8:9]
	s_waitcnt vmcnt(0)
	v_and_b32_e32 v11, 0x7fffffff, v11
	v_and_b32_e32 v10, 0x7fffffff, v10
	;; [unrolled: 1-line block ×4, first 2 shown]
	v_pk_add_f32 v[4:5], v[4:5], v[12:13]
	v_pk_add_f32 v[2:3], v[2:3], v[10:11]
	s_andn2_b64 exec, exec, s[8:9]
	s_cbranch_execnz .LBB77_17
; %bb.18:
	s_or_b64 exec, exec, s[8:9]
.LBB77_19:
	s_or_b64 exec, exec, s[10:11]
.LBB77_20:
	v_add_f32_e32 v1, 0, v2
	v_add_f32_e32 v1, v3, v1
	;; [unrolled: 1-line block ×4, first 2 shown]
	v_mbcnt_lo_u32_b32 v1, -1, 0
	v_mbcnt_hi_u32_b32 v6, -1, v1
	v_mov_b32_e32 v1, 0x80
	v_lshl_or_b32 v1, v6, 2, v1
	ds_bpermute_b32 v3, v1, v2
	v_and_b32_e32 v9, 63, v6
	v_cmp_gt_u32_e32 vcc, 48, v9
	s_waitcnt lgkmcnt(0)
	s_barrier
	v_add_f32_e32 v3, v2, v3
	v_cndmask_b32_e64 v2, 0, 16, vcc
	v_add_lshl_u32 v2, v2, v6, 2
	ds_bpermute_b32 v4, v2, v3
	v_cmp_gt_u32_e32 vcc, 56, v9
	s_waitcnt lgkmcnt(0)
	v_add_f32_e32 v4, v3, v4
	v_cndmask_b32_e64 v3, 0, 8, vcc
	v_add_lshl_u32 v3, v3, v6, 2
	ds_bpermute_b32 v5, v3, v4
	v_cmp_gt_u32_e32 vcc, 60, v9
	s_waitcnt lgkmcnt(0)
	;; [unrolled: 6-line block ×3, first 2 shown]
	v_add_f32_e32 v7, v5, v7
	v_cndmask_b32_e64 v8, 0, 2, vcc
	v_add_lshl_u32 v5, v8, v6, 2
	ds_bpermute_b32 v10, v5, v7
	v_cmp_ne_u32_e32 vcc, 63, v9
	v_and_b32_e32 v8, 63, v0
	s_waitcnt lgkmcnt(0)
	v_add_f32_e32 v7, v7, v10
	v_addc_co_u32_e32 v6, vcc, 0, v6, vcc
	v_lshlrev_b32_e32 v6, 2, v6
	ds_bpermute_b32 v9, v6, v7
	v_cmp_eq_u32_e32 vcc, 0, v8
	s_and_saveexec_b64 s[2:3], vcc
	s_cbranch_execz .LBB77_22
; %bb.21:
	v_lshrrev_b32_e32 v10, 4, v0
	s_waitcnt lgkmcnt(0)
	v_add_f32_e32 v7, v7, v9
	ds_write_b32 v10, v7
.LBB77_22:
	s_or_b64 exec, exec, s[2:3]
	s_waitcnt lgkmcnt(0)
	s_barrier
	s_load_dword s2, s[0:1], 0xd4c
	v_mov_b32_e32 v7, 0
	s_waitcnt lgkmcnt(0)
	s_bfe_u32 s2, s2, 0xa0006
	v_cmp_gt_u32_e32 vcc, s2, v0
	s_and_saveexec_b64 s[2:3], vcc
	s_cbranch_execnz .LBB77_26
; %bb.23:
	s_or_b64 exec, exec, s[2:3]
	v_cmp_gt_u32_e32 vcc, 64, v0
	s_and_saveexec_b64 s[2:3], vcc
	s_cbranch_execnz .LBB77_27
.LBB77_24:
	s_or_b64 exec, exec, s[2:3]
	v_cmp_eq_u32_e32 vcc, 0, v0
	s_and_saveexec_b64 s[2:3], vcc
	s_cbranch_execnz .LBB77_28
.LBB77_25:
	s_endpgm
.LBB77_26:
	v_lshlrev_b32_e32 v7, 2, v8
	ds_read_b32 v7, v7
	s_or_b64 exec, exec, s[2:3]
	v_cmp_gt_u32_e32 vcc, 64, v0
	s_and_saveexec_b64 s[2:3], vcc
	s_cbranch_execz .LBB77_24
.LBB77_27:
	s_waitcnt lgkmcnt(0)
	ds_bpermute_b32 v1, v1, v7
	s_waitcnt lgkmcnt(0)
	v_add_f32_e32 v1, v7, v1
	ds_bpermute_b32 v2, v2, v1
	s_waitcnt lgkmcnt(0)
	v_add_f32_e32 v1, v1, v2
	;; [unrolled: 3-line block ×6, first 2 shown]
	s_or_b64 exec, exec, s[2:3]
	v_cmp_eq_u32_e32 vcc, 0, v0
	s_and_saveexec_b64 s[2:3], vcc
	s_cbranch_execz .LBB77_25
.LBB77_28:
	s_load_dword s5, s[0:1], 0xd20
	s_load_dword s6, s[0:1], 0xd38
	s_load_dwordx2 s[2:3], s[0:1], 0xd30
	v_mov_b32_e32 v0, 0
	s_waitcnt lgkmcnt(0)
	s_add_i32 s0, s5, s16
	s_mul_i32 s0, s0, s6
	s_add_i32 s0, s0, s4
	s_ashr_i32 s1, s0, 31
	s_lshl_b64 s[0:1], s[0:1], 2
	s_add_u32 s0, s2, s0
	s_addc_u32 s1, s3, s1
	global_store_dword v0, v7, s[0:1]
	s_endpgm
	.section	.rodata,"a",@progbits
	.p2align	6, 0x0
	.amdhsa_kernel _ZN2at6native12_GLOBAL__N_125multi_tensor_apply_kernelINS1_18TensorListMetadataILi1EEENS0_13LpNormFunctorIfLNS0_8NormTypeE1EN3c108BFloat16ELi1ELi1ELi0EEEJPfiEEEvT_T0_DpT1_
		.amdhsa_group_segment_fixed_size 2048
		.amdhsa_private_segment_fixed_size 0
		.amdhsa_kernarg_size 3648
		.amdhsa_user_sgpr_count 2
		.amdhsa_user_sgpr_dispatch_ptr 0
		.amdhsa_user_sgpr_queue_ptr 0
		.amdhsa_user_sgpr_kernarg_segment_ptr 1
		.amdhsa_user_sgpr_dispatch_id 0
		.amdhsa_user_sgpr_kernarg_preload_length 0
		.amdhsa_user_sgpr_kernarg_preload_offset 0
		.amdhsa_user_sgpr_private_segment_size 0
		.amdhsa_uses_dynamic_stack 0
		.amdhsa_enable_private_segment 0
		.amdhsa_system_sgpr_workgroup_id_x 1
		.amdhsa_system_sgpr_workgroup_id_y 0
		.amdhsa_system_sgpr_workgroup_id_z 0
		.amdhsa_system_sgpr_workgroup_info 0
		.amdhsa_system_vgpr_workitem_id 0
		.amdhsa_next_free_vgpr 18
		.amdhsa_next_free_sgpr 20
		.amdhsa_accum_offset 20
		.amdhsa_reserve_vcc 1
		.amdhsa_float_round_mode_32 0
		.amdhsa_float_round_mode_16_64 0
		.amdhsa_float_denorm_mode_32 3
		.amdhsa_float_denorm_mode_16_64 3
		.amdhsa_dx10_clamp 1
		.amdhsa_ieee_mode 1
		.amdhsa_fp16_overflow 0
		.amdhsa_tg_split 0
		.amdhsa_exception_fp_ieee_invalid_op 0
		.amdhsa_exception_fp_denorm_src 0
		.amdhsa_exception_fp_ieee_div_zero 0
		.amdhsa_exception_fp_ieee_overflow 0
		.amdhsa_exception_fp_ieee_underflow 0
		.amdhsa_exception_fp_ieee_inexact 0
		.amdhsa_exception_int_div_zero 0
	.end_amdhsa_kernel
	.section	.text._ZN2at6native12_GLOBAL__N_125multi_tensor_apply_kernelINS1_18TensorListMetadataILi1EEENS0_13LpNormFunctorIfLNS0_8NormTypeE1EN3c108BFloat16ELi1ELi1ELi0EEEJPfiEEEvT_T0_DpT1_,"axG",@progbits,_ZN2at6native12_GLOBAL__N_125multi_tensor_apply_kernelINS1_18TensorListMetadataILi1EEENS0_13LpNormFunctorIfLNS0_8NormTypeE1EN3c108BFloat16ELi1ELi1ELi0EEEJPfiEEEvT_T0_DpT1_,comdat
.Lfunc_end77:
	.size	_ZN2at6native12_GLOBAL__N_125multi_tensor_apply_kernelINS1_18TensorListMetadataILi1EEENS0_13LpNormFunctorIfLNS0_8NormTypeE1EN3c108BFloat16ELi1ELi1ELi0EEEJPfiEEEvT_T0_DpT1_, .Lfunc_end77-_ZN2at6native12_GLOBAL__N_125multi_tensor_apply_kernelINS1_18TensorListMetadataILi1EEENS0_13LpNormFunctorIfLNS0_8NormTypeE1EN3c108BFloat16ELi1ELi1ELi0EEEJPfiEEEvT_T0_DpT1_
                                        ; -- End function
	.set _ZN2at6native12_GLOBAL__N_125multi_tensor_apply_kernelINS1_18TensorListMetadataILi1EEENS0_13LpNormFunctorIfLNS0_8NormTypeE1EN3c108BFloat16ELi1ELi1ELi0EEEJPfiEEEvT_T0_DpT1_.num_vgpr, 18
	.set _ZN2at6native12_GLOBAL__N_125multi_tensor_apply_kernelINS1_18TensorListMetadataILi1EEENS0_13LpNormFunctorIfLNS0_8NormTypeE1EN3c108BFloat16ELi1ELi1ELi0EEEJPfiEEEvT_T0_DpT1_.num_agpr, 0
	.set _ZN2at6native12_GLOBAL__N_125multi_tensor_apply_kernelINS1_18TensorListMetadataILi1EEENS0_13LpNormFunctorIfLNS0_8NormTypeE1EN3c108BFloat16ELi1ELi1ELi0EEEJPfiEEEvT_T0_DpT1_.numbered_sgpr, 20
	.set _ZN2at6native12_GLOBAL__N_125multi_tensor_apply_kernelINS1_18TensorListMetadataILi1EEENS0_13LpNormFunctorIfLNS0_8NormTypeE1EN3c108BFloat16ELi1ELi1ELi0EEEJPfiEEEvT_T0_DpT1_.num_named_barrier, 0
	.set _ZN2at6native12_GLOBAL__N_125multi_tensor_apply_kernelINS1_18TensorListMetadataILi1EEENS0_13LpNormFunctorIfLNS0_8NormTypeE1EN3c108BFloat16ELi1ELi1ELi0EEEJPfiEEEvT_T0_DpT1_.private_seg_size, 0
	.set _ZN2at6native12_GLOBAL__N_125multi_tensor_apply_kernelINS1_18TensorListMetadataILi1EEENS0_13LpNormFunctorIfLNS0_8NormTypeE1EN3c108BFloat16ELi1ELi1ELi0EEEJPfiEEEvT_T0_DpT1_.uses_vcc, 1
	.set _ZN2at6native12_GLOBAL__N_125multi_tensor_apply_kernelINS1_18TensorListMetadataILi1EEENS0_13LpNormFunctorIfLNS0_8NormTypeE1EN3c108BFloat16ELi1ELi1ELi0EEEJPfiEEEvT_T0_DpT1_.uses_flat_scratch, 0
	.set _ZN2at6native12_GLOBAL__N_125multi_tensor_apply_kernelINS1_18TensorListMetadataILi1EEENS0_13LpNormFunctorIfLNS0_8NormTypeE1EN3c108BFloat16ELi1ELi1ELi0EEEJPfiEEEvT_T0_DpT1_.has_dyn_sized_stack, 0
	.set _ZN2at6native12_GLOBAL__N_125multi_tensor_apply_kernelINS1_18TensorListMetadataILi1EEENS0_13LpNormFunctorIfLNS0_8NormTypeE1EN3c108BFloat16ELi1ELi1ELi0EEEJPfiEEEvT_T0_DpT1_.has_recursion, 0
	.set _ZN2at6native12_GLOBAL__N_125multi_tensor_apply_kernelINS1_18TensorListMetadataILi1EEENS0_13LpNormFunctorIfLNS0_8NormTypeE1EN3c108BFloat16ELi1ELi1ELi0EEEJPfiEEEvT_T0_DpT1_.has_indirect_call, 0
	.section	.AMDGPU.csdata,"",@progbits
; Kernel info:
; codeLenInByte = 1384
; TotalNumSgprs: 26
; NumVgprs: 18
; NumAgprs: 0
; TotalNumVgprs: 18
; ScratchSize: 0
; MemoryBound: 0
; FloatMode: 240
; IeeeMode: 1
; LDSByteSize: 2048 bytes/workgroup (compile time only)
; SGPRBlocks: 3
; VGPRBlocks: 2
; NumSGPRsForWavesPerEU: 26
; NumVGPRsForWavesPerEU: 18
; AccumOffset: 20
; Occupancy: 8
; WaveLimiterHint : 0
; COMPUTE_PGM_RSRC2:SCRATCH_EN: 0
; COMPUTE_PGM_RSRC2:USER_SGPR: 2
; COMPUTE_PGM_RSRC2:TRAP_HANDLER: 0
; COMPUTE_PGM_RSRC2:TGID_X_EN: 1
; COMPUTE_PGM_RSRC2:TGID_Y_EN: 0
; COMPUTE_PGM_RSRC2:TGID_Z_EN: 0
; COMPUTE_PGM_RSRC2:TIDIG_COMP_CNT: 0
; COMPUTE_PGM_RSRC3_GFX90A:ACCUM_OFFSET: 4
; COMPUTE_PGM_RSRC3_GFX90A:TG_SPLIT: 0
	.section	.text._ZN2at6native12_GLOBAL__N_125multi_tensor_apply_kernelINS1_18TensorListMetadataILi1EEENS0_13LpNormFunctorIfLNS0_8NormTypeE2EN3c108BFloat16ELi1ELi1ELi0EEEJPfiEEEvT_T0_DpT1_,"axG",@progbits,_ZN2at6native12_GLOBAL__N_125multi_tensor_apply_kernelINS1_18TensorListMetadataILi1EEENS0_13LpNormFunctorIfLNS0_8NormTypeE2EN3c108BFloat16ELi1ELi1ELi0EEEJPfiEEEvT_T0_DpT1_,comdat
	.globl	_ZN2at6native12_GLOBAL__N_125multi_tensor_apply_kernelINS1_18TensorListMetadataILi1EEENS0_13LpNormFunctorIfLNS0_8NormTypeE2EN3c108BFloat16ELi1ELi1ELi0EEEJPfiEEEvT_T0_DpT1_ ; -- Begin function _ZN2at6native12_GLOBAL__N_125multi_tensor_apply_kernelINS1_18TensorListMetadataILi1EEENS0_13LpNormFunctorIfLNS0_8NormTypeE2EN3c108BFloat16ELi1ELi1ELi0EEEJPfiEEEvT_T0_DpT1_
	.p2align	8
	.type	_ZN2at6native12_GLOBAL__N_125multi_tensor_apply_kernelINS1_18TensorListMetadataILi1EEENS0_13LpNormFunctorIfLNS0_8NormTypeE2EN3c108BFloat16ELi1ELi1ELi0EEEJPfiEEEvT_T0_DpT1_,@function
_ZN2at6native12_GLOBAL__N_125multi_tensor_apply_kernelINS1_18TensorListMetadataILi1EEENS0_13LpNormFunctorIfLNS0_8NormTypeE2EN3c108BFloat16ELi1ELi1ELi0EEEJPfiEEEvT_T0_DpT1_: ; @_ZN2at6native12_GLOBAL__N_125multi_tensor_apply_kernelINS1_18TensorListMetadataILi1EEENS0_13LpNormFunctorIfLNS0_8NormTypeE2EN3c108BFloat16ELi1ELi1ELi0EEEJPfiEEEvT_T0_DpT1_
; %bb.0:
	v_mov_b32_e32 v1, s2
	global_load_ubyte v1, v1, s[0:1] offset:1760
	s_add_u32 s3, s0, s2
	s_mul_hi_u32 s4, s2, 3
	s_mul_i32 s2, s2, 3
	s_addc_u32 s5, s1, 0
	s_add_u32 s2, s3, s2
	s_addc_u32 s3, s5, s4
	s_load_dword s4, s[2:3], 0x820
	s_mov_b32 s15, 0
	s_waitcnt vmcnt(0)
	v_readfirstlane_b32 s2, v1
	s_and_b32 s16, s2, 0xff
	s_lshl_b32 s5, s16, 3
	s_load_dwordx2 s[2:3], s[0:1], s5 offset:0x370
	s_load_dwordx2 s[6:7], s[0:1], s5 offset:0x0
	s_waitcnt lgkmcnt(0)
	s_ashr_i32 s5, s4, 31
	s_lshl_b64 s[10:11], s[4:5], 16
	s_lshl_b64 s[8:9], s[4:5], 18
	s_add_u32 s12, s6, s8
	s_addc_u32 s13, s7, s9
	s_sub_u32 s10, s2, s10
	s_subb_u32 s11, s3, s11
	s_and_b32 s14, s2, 3
	s_and_b32 s2, s12, 15
	s_mov_b32 s3, s15
	s_or_b64 s[2:3], s[14:15], s[2:3]
	s_cmp_eq_u64 s[2:3], 0
	s_cbranch_scc1 .LBB78_12
; %bb.1:
	v_cmp_lt_i64_e64 s[2:3], s[10:11], 1
	s_and_b64 vcc, exec, s[2:3]
	s_cbranch_vccnz .LBB78_13
; %bb.2:
	s_load_dword s14, s[0:1], 0xd4c
	v_mov_b64_e32 v[2:3], 0x10000
	v_cmp_lt_i64_e32 vcc, s[10:11], v[2:3]
	s_and_b64 s[2:3], vcc, exec
	v_mov_b32_e32 v7, 0
	s_cselect_b32 s3, s11, 0
	s_cselect_b32 s2, s10, 0x10000
	s_waitcnt lgkmcnt(0)
	s_and_b32 s18, s14, 0xffff
	v_mov_b32_e32 v6, v7
	v_mad_u64_u32 v[12:13], s[14:15], s18, 3, v[0:1]
	v_mov_b32_e32 v8, v7
	v_mov_b32_e32 v9, v7
	v_mov_b64_e32 v[2:3], v[6:7]
	s_mov_b32 s5, 0x10000
	s_lshl_b32 s17, s18, 2
	v_lshl_add_u32 v10, s18, 1, v0
	v_add_u32_e32 v14, s18, v0
	s_mov_b64 s[14:15], 0
	v_mov_b64_e32 v[16:17], s[2:3]
	v_mov_b64_e32 v[4:5], v[8:9]
	s_branch .LBB78_4
.LBB78_3:                               ;   in Loop: Header=BB78_4 Depth=1
	s_or_b64 exec, exec, s[2:3]
	s_add_u32 s14, s14, s17
	s_addc_u32 s15, s15, 0
	v_cmp_lt_i64_e32 vcc, s[14:15], v[16:17]
	s_cbranch_vccz .LBB78_14
.LBB78_4:                               ; =>This Inner Loop Header: Depth=1
	v_add_u32_e32 v6, s14, v0
	v_cmp_gt_i64_e32 vcc, s[10:11], v[6:7]
	v_cmp_gt_u32_e64 s[2:3], s5, v6
	s_and_b64 s[18:19], s[2:3], vcc
	s_and_saveexec_b64 s[2:3], s[18:19]
	s_cbranch_execz .LBB78_6
; %bb.5:                                ;   in Loop: Header=BB78_4 Depth=1
	v_lshl_add_u64 v[8:9], v[6:7], 2, s[12:13]
	global_load_dword v1, v[8:9], off
	s_waitcnt vmcnt(0)
	v_fma_f32 v2, v1, v1, v2
.LBB78_6:                               ;   in Loop: Header=BB78_4 Depth=1
	s_or_b64 exec, exec, s[2:3]
	v_add_u32_e32 v6, s14, v14
	v_cmp_gt_i64_e32 vcc, s[10:11], v[6:7]
	v_cmp_gt_u32_e64 s[2:3], s5, v6
	s_and_b64 s[18:19], s[2:3], vcc
	s_and_saveexec_b64 s[2:3], s[18:19]
	s_cbranch_execz .LBB78_8
; %bb.7:                                ;   in Loop: Header=BB78_4 Depth=1
	v_lshl_add_u64 v[8:9], v[6:7], 2, s[12:13]
	global_load_dword v1, v[8:9], off
	s_waitcnt vmcnt(0)
	v_fma_f32 v3, v1, v1, v3
.LBB78_8:                               ;   in Loop: Header=BB78_4 Depth=1
	s_or_b64 exec, exec, s[2:3]
	v_add_u32_e32 v6, s14, v10
	v_cmp_gt_i64_e32 vcc, s[10:11], v[6:7]
	v_cmp_gt_u32_e64 s[2:3], s5, v6
	s_and_b64 s[18:19], s[2:3], vcc
	s_and_saveexec_b64 s[2:3], s[18:19]
	s_cbranch_execz .LBB78_10
; %bb.9:                                ;   in Loop: Header=BB78_4 Depth=1
	v_lshl_add_u64 v[8:9], v[6:7], 2, s[12:13]
	global_load_dword v1, v[8:9], off
	s_waitcnt vmcnt(0)
	v_fma_f32 v4, v1, v1, v4
.LBB78_10:                              ;   in Loop: Header=BB78_4 Depth=1
	s_or_b64 exec, exec, s[2:3]
	v_add_u32_e32 v6, s14, v12
	v_cmp_gt_i64_e32 vcc, s[10:11], v[6:7]
	v_cmp_gt_u32_e64 s[2:3], s5, v6
	s_and_b64 s[18:19], s[2:3], vcc
	s_and_saveexec_b64 s[2:3], s[18:19]
	s_cbranch_execz .LBB78_3
; %bb.11:                               ;   in Loop: Header=BB78_4 Depth=1
	v_lshl_add_u64 v[8:9], v[6:7], 2, s[12:13]
	global_load_dword v1, v[8:9], off
	s_waitcnt vmcnt(0)
	v_fma_f32 v5, v1, v1, v5
	s_branch .LBB78_3
.LBB78_12:
                                        ; implicit-def: $vgpr2_vgpr3_vgpr4_vgpr5
	s_branch .LBB78_15
.LBB78_13:
	v_mov_b32_e32 v2, 0
	v_mov_b32_e32 v3, v2
	v_mov_b32_e32 v4, v2
	v_mov_b32_e32 v5, v2
.LBB78_14:
	s_cbranch_execnz .LBB78_20
.LBB78_15:
	v_mov_b64_e32 v[4:5], 0x10000
	v_cmp_lt_i64_e32 vcc, s[10:11], v[4:5]
	v_mov_b32_e32 v2, 0
	s_and_b64 s[2:3], vcc, exec
	s_cselect_b32 s3, s11, 0
	s_cselect_b32 s2, s10, 0x10000
	v_lshlrev_b32_e32 v4, 2, v0
	v_mov_b32_e32 v5, v2
	v_cmp_gt_i64_e32 vcc, s[2:3], v[4:5]
	s_mov_b32 s13, 0
	v_mov_b32_e32 v3, v2
	v_mov_b32_e32 v4, v2
	s_and_saveexec_b64 s[10:11], vcc
	s_cbranch_execz .LBB78_19
; %bb.16:
	s_load_dword s5, s[0:1], 0xd4c
	v_lshlrev_b32_e32 v4, 4, v0
	v_mov_b32_e32 v5, v2
	v_mov_b32_e32 v1, v2
	v_mov_b64_e32 v[8:9], v[0:1]
	s_waitcnt lgkmcnt(0)
	s_and_b32 s12, s5, 0xffff
	s_add_u32 s8, s6, s8
	s_addc_u32 s9, s7, s9
	v_lshl_add_u64 v[4:5], s[8:9], 0, v[4:5]
	s_lshl_b32 s6, s12, 4
	v_lshl_add_u64 v[6:7], v[4:5], 0, 8
	s_mov_b32 s7, s13
	s_mov_b64 s[8:9], 0
	v_mov_b32_e32 v3, v2
	v_mov_b32_e32 v4, v2
	;; [unrolled: 1-line block ×3, first 2 shown]
.LBB78_17:                              ; =>This Inner Loop Header: Depth=1
	global_load_dwordx4 v[10:13], v[6:7], off offset:-8
	v_lshl_add_u64 v[8:9], v[8:9], 0, s[12:13]
	v_lshlrev_b64 v[14:15], 2, v[8:9]
	v_cmp_le_i64_e32 vcc, s[2:3], v[14:15]
	v_lshl_add_u64 v[6:7], v[6:7], 0, s[6:7]
	s_or_b64 s[8:9], vcc, s[8:9]
	s_waitcnt vmcnt(0)
	v_pk_fma_f32 v[4:5], v[12:13], v[12:13], v[4:5]
	v_pk_fma_f32 v[2:3], v[10:11], v[10:11], v[2:3]
	s_andn2_b64 exec, exec, s[8:9]
	s_cbranch_execnz .LBB78_17
; %bb.18:
	s_or_b64 exec, exec, s[8:9]
.LBB78_19:
	s_or_b64 exec, exec, s[10:11]
.LBB78_20:
	v_add_f32_e32 v1, 0, v2
	v_add_f32_e32 v1, v3, v1
	;; [unrolled: 1-line block ×4, first 2 shown]
	v_mbcnt_lo_u32_b32 v1, -1, 0
	v_mbcnt_hi_u32_b32 v6, -1, v1
	v_mov_b32_e32 v1, 0x80
	v_lshl_or_b32 v1, v6, 2, v1
	ds_bpermute_b32 v3, v1, v2
	v_and_b32_e32 v9, 63, v6
	v_cmp_gt_u32_e32 vcc, 48, v9
	s_waitcnt lgkmcnt(0)
	s_barrier
	v_add_f32_e32 v3, v2, v3
	v_cndmask_b32_e64 v2, 0, 16, vcc
	v_add_lshl_u32 v2, v2, v6, 2
	ds_bpermute_b32 v4, v2, v3
	v_cmp_gt_u32_e32 vcc, 56, v9
	s_waitcnt lgkmcnt(0)
	v_add_f32_e32 v4, v3, v4
	v_cndmask_b32_e64 v3, 0, 8, vcc
	v_add_lshl_u32 v3, v3, v6, 2
	ds_bpermute_b32 v5, v3, v4
	v_cmp_gt_u32_e32 vcc, 60, v9
	s_waitcnt lgkmcnt(0)
	;; [unrolled: 6-line block ×3, first 2 shown]
	v_add_f32_e32 v7, v5, v7
	v_cndmask_b32_e64 v8, 0, 2, vcc
	v_add_lshl_u32 v5, v8, v6, 2
	ds_bpermute_b32 v10, v5, v7
	v_cmp_ne_u32_e32 vcc, 63, v9
	v_and_b32_e32 v8, 63, v0
	s_waitcnt lgkmcnt(0)
	v_add_f32_e32 v7, v7, v10
	v_addc_co_u32_e32 v6, vcc, 0, v6, vcc
	v_lshlrev_b32_e32 v6, 2, v6
	ds_bpermute_b32 v9, v6, v7
	v_cmp_eq_u32_e32 vcc, 0, v8
	s_and_saveexec_b64 s[2:3], vcc
	s_cbranch_execz .LBB78_22
; %bb.21:
	v_lshrrev_b32_e32 v10, 4, v0
	s_waitcnt lgkmcnt(0)
	v_add_f32_e32 v7, v7, v9
	ds_write_b32 v10, v7
.LBB78_22:
	s_or_b64 exec, exec, s[2:3]
	s_waitcnt lgkmcnt(0)
	s_barrier
	s_load_dword s2, s[0:1], 0xd4c
	v_mov_b32_e32 v7, 0
	s_waitcnt lgkmcnt(0)
	s_bfe_u32 s2, s2, 0xa0006
	v_cmp_gt_u32_e32 vcc, s2, v0
	s_and_saveexec_b64 s[2:3], vcc
	s_cbranch_execnz .LBB78_26
; %bb.23:
	s_or_b64 exec, exec, s[2:3]
	v_cmp_gt_u32_e32 vcc, 64, v0
	s_and_saveexec_b64 s[2:3], vcc
	s_cbranch_execnz .LBB78_27
.LBB78_24:
	s_or_b64 exec, exec, s[2:3]
	v_cmp_eq_u32_e32 vcc, 0, v0
	s_and_saveexec_b64 s[2:3], vcc
	s_cbranch_execnz .LBB78_28
.LBB78_25:
	s_endpgm
.LBB78_26:
	v_lshlrev_b32_e32 v7, 2, v8
	ds_read_b32 v7, v7
	s_or_b64 exec, exec, s[2:3]
	v_cmp_gt_u32_e32 vcc, 64, v0
	s_and_saveexec_b64 s[2:3], vcc
	s_cbranch_execz .LBB78_24
.LBB78_27:
	s_waitcnt lgkmcnt(0)
	ds_bpermute_b32 v1, v1, v7
	s_waitcnt lgkmcnt(0)
	v_add_f32_e32 v1, v7, v1
	ds_bpermute_b32 v2, v2, v1
	s_waitcnt lgkmcnt(0)
	v_add_f32_e32 v1, v1, v2
	;; [unrolled: 3-line block ×6, first 2 shown]
	s_or_b64 exec, exec, s[2:3]
	v_cmp_eq_u32_e32 vcc, 0, v0
	s_and_saveexec_b64 s[2:3], vcc
	s_cbranch_execz .LBB78_25
.LBB78_28:
	s_load_dword s5, s[0:1], 0xd20
	s_load_dword s6, s[0:1], 0xd38
	s_load_dwordx2 s[2:3], s[0:1], 0xd30
	v_mov_b32_e32 v0, 0
	s_waitcnt lgkmcnt(0)
	s_add_i32 s0, s5, s16
	s_mul_i32 s0, s0, s6
	s_add_i32 s0, s0, s4
	s_ashr_i32 s1, s0, 31
	s_lshl_b64 s[0:1], s[0:1], 2
	s_add_u32 s0, s2, s0
	s_addc_u32 s1, s3, s1
	global_store_dword v0, v7, s[0:1]
	s_endpgm
	.section	.rodata,"a",@progbits
	.p2align	6, 0x0
	.amdhsa_kernel _ZN2at6native12_GLOBAL__N_125multi_tensor_apply_kernelINS1_18TensorListMetadataILi1EEENS0_13LpNormFunctorIfLNS0_8NormTypeE2EN3c108BFloat16ELi1ELi1ELi0EEEJPfiEEEvT_T0_DpT1_
		.amdhsa_group_segment_fixed_size 2048
		.amdhsa_private_segment_fixed_size 0
		.amdhsa_kernarg_size 3648
		.amdhsa_user_sgpr_count 2
		.amdhsa_user_sgpr_dispatch_ptr 0
		.amdhsa_user_sgpr_queue_ptr 0
		.amdhsa_user_sgpr_kernarg_segment_ptr 1
		.amdhsa_user_sgpr_dispatch_id 0
		.amdhsa_user_sgpr_kernarg_preload_length 0
		.amdhsa_user_sgpr_kernarg_preload_offset 0
		.amdhsa_user_sgpr_private_segment_size 0
		.amdhsa_uses_dynamic_stack 0
		.amdhsa_enable_private_segment 0
		.amdhsa_system_sgpr_workgroup_id_x 1
		.amdhsa_system_sgpr_workgroup_id_y 0
		.amdhsa_system_sgpr_workgroup_id_z 0
		.amdhsa_system_sgpr_workgroup_info 0
		.amdhsa_system_vgpr_workitem_id 0
		.amdhsa_next_free_vgpr 18
		.amdhsa_next_free_sgpr 20
		.amdhsa_accum_offset 20
		.amdhsa_reserve_vcc 1
		.amdhsa_float_round_mode_32 0
		.amdhsa_float_round_mode_16_64 0
		.amdhsa_float_denorm_mode_32 3
		.amdhsa_float_denorm_mode_16_64 3
		.amdhsa_dx10_clamp 1
		.amdhsa_ieee_mode 1
		.amdhsa_fp16_overflow 0
		.amdhsa_tg_split 0
		.amdhsa_exception_fp_ieee_invalid_op 0
		.amdhsa_exception_fp_denorm_src 0
		.amdhsa_exception_fp_ieee_div_zero 0
		.amdhsa_exception_fp_ieee_overflow 0
		.amdhsa_exception_fp_ieee_underflow 0
		.amdhsa_exception_fp_ieee_inexact 0
		.amdhsa_exception_int_div_zero 0
	.end_amdhsa_kernel
	.section	.text._ZN2at6native12_GLOBAL__N_125multi_tensor_apply_kernelINS1_18TensorListMetadataILi1EEENS0_13LpNormFunctorIfLNS0_8NormTypeE2EN3c108BFloat16ELi1ELi1ELi0EEEJPfiEEEvT_T0_DpT1_,"axG",@progbits,_ZN2at6native12_GLOBAL__N_125multi_tensor_apply_kernelINS1_18TensorListMetadataILi1EEENS0_13LpNormFunctorIfLNS0_8NormTypeE2EN3c108BFloat16ELi1ELi1ELi0EEEJPfiEEEvT_T0_DpT1_,comdat
.Lfunc_end78:
	.size	_ZN2at6native12_GLOBAL__N_125multi_tensor_apply_kernelINS1_18TensorListMetadataILi1EEENS0_13LpNormFunctorIfLNS0_8NormTypeE2EN3c108BFloat16ELi1ELi1ELi0EEEJPfiEEEvT_T0_DpT1_, .Lfunc_end78-_ZN2at6native12_GLOBAL__N_125multi_tensor_apply_kernelINS1_18TensorListMetadataILi1EEENS0_13LpNormFunctorIfLNS0_8NormTypeE2EN3c108BFloat16ELi1ELi1ELi0EEEJPfiEEEvT_T0_DpT1_
                                        ; -- End function
	.set _ZN2at6native12_GLOBAL__N_125multi_tensor_apply_kernelINS1_18TensorListMetadataILi1EEENS0_13LpNormFunctorIfLNS0_8NormTypeE2EN3c108BFloat16ELi1ELi1ELi0EEEJPfiEEEvT_T0_DpT1_.num_vgpr, 18
	.set _ZN2at6native12_GLOBAL__N_125multi_tensor_apply_kernelINS1_18TensorListMetadataILi1EEENS0_13LpNormFunctorIfLNS0_8NormTypeE2EN3c108BFloat16ELi1ELi1ELi0EEEJPfiEEEvT_T0_DpT1_.num_agpr, 0
	.set _ZN2at6native12_GLOBAL__N_125multi_tensor_apply_kernelINS1_18TensorListMetadataILi1EEENS0_13LpNormFunctorIfLNS0_8NormTypeE2EN3c108BFloat16ELi1ELi1ELi0EEEJPfiEEEvT_T0_DpT1_.numbered_sgpr, 20
	.set _ZN2at6native12_GLOBAL__N_125multi_tensor_apply_kernelINS1_18TensorListMetadataILi1EEENS0_13LpNormFunctorIfLNS0_8NormTypeE2EN3c108BFloat16ELi1ELi1ELi0EEEJPfiEEEvT_T0_DpT1_.num_named_barrier, 0
	.set _ZN2at6native12_GLOBAL__N_125multi_tensor_apply_kernelINS1_18TensorListMetadataILi1EEENS0_13LpNormFunctorIfLNS0_8NormTypeE2EN3c108BFloat16ELi1ELi1ELi0EEEJPfiEEEvT_T0_DpT1_.private_seg_size, 0
	.set _ZN2at6native12_GLOBAL__N_125multi_tensor_apply_kernelINS1_18TensorListMetadataILi1EEENS0_13LpNormFunctorIfLNS0_8NormTypeE2EN3c108BFloat16ELi1ELi1ELi0EEEJPfiEEEvT_T0_DpT1_.uses_vcc, 1
	.set _ZN2at6native12_GLOBAL__N_125multi_tensor_apply_kernelINS1_18TensorListMetadataILi1EEENS0_13LpNormFunctorIfLNS0_8NormTypeE2EN3c108BFloat16ELi1ELi1ELi0EEEJPfiEEEvT_T0_DpT1_.uses_flat_scratch, 0
	.set _ZN2at6native12_GLOBAL__N_125multi_tensor_apply_kernelINS1_18TensorListMetadataILi1EEENS0_13LpNormFunctorIfLNS0_8NormTypeE2EN3c108BFloat16ELi1ELi1ELi0EEEJPfiEEEvT_T0_DpT1_.has_dyn_sized_stack, 0
	.set _ZN2at6native12_GLOBAL__N_125multi_tensor_apply_kernelINS1_18TensorListMetadataILi1EEENS0_13LpNormFunctorIfLNS0_8NormTypeE2EN3c108BFloat16ELi1ELi1ELi0EEEJPfiEEEvT_T0_DpT1_.has_recursion, 0
	.set _ZN2at6native12_GLOBAL__N_125multi_tensor_apply_kernelINS1_18TensorListMetadataILi1EEENS0_13LpNormFunctorIfLNS0_8NormTypeE2EN3c108BFloat16ELi1ELi1ELi0EEEJPfiEEEvT_T0_DpT1_.has_indirect_call, 0
	.section	.AMDGPU.csdata,"",@progbits
; Kernel info:
; codeLenInByte = 1352
; TotalNumSgprs: 26
; NumVgprs: 18
; NumAgprs: 0
; TotalNumVgprs: 18
; ScratchSize: 0
; MemoryBound: 0
; FloatMode: 240
; IeeeMode: 1
; LDSByteSize: 2048 bytes/workgroup (compile time only)
; SGPRBlocks: 3
; VGPRBlocks: 2
; NumSGPRsForWavesPerEU: 26
; NumVGPRsForWavesPerEU: 18
; AccumOffset: 20
; Occupancy: 8
; WaveLimiterHint : 0
; COMPUTE_PGM_RSRC2:SCRATCH_EN: 0
; COMPUTE_PGM_RSRC2:USER_SGPR: 2
; COMPUTE_PGM_RSRC2:TRAP_HANDLER: 0
; COMPUTE_PGM_RSRC2:TGID_X_EN: 1
; COMPUTE_PGM_RSRC2:TGID_Y_EN: 0
; COMPUTE_PGM_RSRC2:TGID_Z_EN: 0
; COMPUTE_PGM_RSRC2:TIDIG_COMP_CNT: 0
; COMPUTE_PGM_RSRC3_GFX90A:ACCUM_OFFSET: 4
; COMPUTE_PGM_RSRC3_GFX90A:TG_SPLIT: 0
	.section	.text._ZN2at6native12_GLOBAL__N_125multi_tensor_apply_kernelINS1_18TensorListMetadataILi1EEENS0_13LpNormFunctorIfLNS0_8NormTypeE3EN3c108BFloat16ELi1ELi1ELi0EEEJPfiEEEvT_T0_DpT1_,"axG",@progbits,_ZN2at6native12_GLOBAL__N_125multi_tensor_apply_kernelINS1_18TensorListMetadataILi1EEENS0_13LpNormFunctorIfLNS0_8NormTypeE3EN3c108BFloat16ELi1ELi1ELi0EEEJPfiEEEvT_T0_DpT1_,comdat
	.globl	_ZN2at6native12_GLOBAL__N_125multi_tensor_apply_kernelINS1_18TensorListMetadataILi1EEENS0_13LpNormFunctorIfLNS0_8NormTypeE3EN3c108BFloat16ELi1ELi1ELi0EEEJPfiEEEvT_T0_DpT1_ ; -- Begin function _ZN2at6native12_GLOBAL__N_125multi_tensor_apply_kernelINS1_18TensorListMetadataILi1EEENS0_13LpNormFunctorIfLNS0_8NormTypeE3EN3c108BFloat16ELi1ELi1ELi0EEEJPfiEEEvT_T0_DpT1_
	.p2align	8
	.type	_ZN2at6native12_GLOBAL__N_125multi_tensor_apply_kernelINS1_18TensorListMetadataILi1EEENS0_13LpNormFunctorIfLNS0_8NormTypeE3EN3c108BFloat16ELi1ELi1ELi0EEEJPfiEEEvT_T0_DpT1_,@function
_ZN2at6native12_GLOBAL__N_125multi_tensor_apply_kernelINS1_18TensorListMetadataILi1EEENS0_13LpNormFunctorIfLNS0_8NormTypeE3EN3c108BFloat16ELi1ELi1ELi0EEEJPfiEEEvT_T0_DpT1_: ; @_ZN2at6native12_GLOBAL__N_125multi_tensor_apply_kernelINS1_18TensorListMetadataILi1EEENS0_13LpNormFunctorIfLNS0_8NormTypeE3EN3c108BFloat16ELi1ELi1ELi0EEEJPfiEEEvT_T0_DpT1_
; %bb.0:
	v_mov_b32_e32 v1, s2
	global_load_ubyte v1, v1, s[0:1] offset:1760
	s_add_u32 s3, s0, s2
	s_mul_hi_u32 s4, s2, 3
	s_mul_i32 s2, s2, 3
	s_addc_u32 s5, s1, 0
	s_add_u32 s2, s3, s2
	s_addc_u32 s3, s5, s4
	s_load_dword s10, s[2:3], 0x820
	s_mov_b32 s15, 0
	s_waitcnt lgkmcnt(0)
	s_ashr_i32 s11, s10, 31
	s_lshl_b64 s[8:9], s[10:11], 16
	s_waitcnt vmcnt(0)
	v_readfirstlane_b32 s2, v1
	s_and_b32 s22, s2, 0xff
	s_lshl_b32 s6, s22, 3
	s_load_dwordx2 s[2:3], s[0:1], s6 offset:0x370
	s_load_dwordx2 s[4:5], s[0:1], s6 offset:0x0
	s_lshl_b64 s[6:7], s[10:11], 18
	s_waitcnt lgkmcnt(0)
	s_add_u32 s12, s4, s6
	s_addc_u32 s13, s5, s7
	s_sub_u32 s8, s2, s8
	s_subb_u32 s9, s3, s9
	s_and_b32 s14, s2, 3
	s_and_b32 s2, s12, 15
	s_mov_b32 s3, s15
	s_or_b64 s[2:3], s[14:15], s[2:3]
	s_cmp_eq_u64 s[2:3], 0
	s_cbranch_scc1 .LBB79_12
; %bb.1:
	v_cmp_lt_i64_e64 s[2:3], s[8:9], 1
	s_and_b64 vcc, exec, s[2:3]
	s_cbranch_vccnz .LBB79_13
; %bb.2:
	s_load_dword s14, s[0:1], 0xd4c
	v_mov_b64_e32 v[2:3], 0x10000
	v_cmp_lt_i64_e32 vcc, s[8:9], v[2:3]
	s_and_b64 s[2:3], vcc, exec
	v_mov_b32_e32 v7, 0
	s_cselect_b32 s3, s9, 0
	s_cselect_b32 s2, s8, 0x10000
	s_waitcnt lgkmcnt(0)
	s_and_b32 s17, s14, 0xffff
	v_mov_b32_e32 v6, v7
	v_mad_u64_u32 v[12:13], s[14:15], s17, 3, v[0:1]
	v_mov_b32_e32 v8, v7
	v_mov_b32_e32 v9, v7
	v_mov_b64_e32 v[2:3], v[6:7]
	s_mov_b32 s11, 0x10000
	s_lshl_b32 s16, s17, 2
	v_lshl_add_u32 v10, s17, 1, v0
	v_add_u32_e32 v14, s17, v0
	s_mov_b64 s[14:15], 0
	v_mov_b64_e32 v[16:17], s[2:3]
	v_mov_b64_e32 v[4:5], v[8:9]
	s_branch .LBB79_4
.LBB79_3:                               ;   in Loop: Header=BB79_4 Depth=1
	s_or_b64 exec, exec, s[2:3]
	s_add_u32 s14, s14, s16
	s_addc_u32 s15, s15, 0
	v_cmp_lt_i64_e32 vcc, s[14:15], v[16:17]
	s_cbranch_vccz .LBB79_14
.LBB79_4:                               ; =>This Inner Loop Header: Depth=1
	v_add_u32_e32 v6, s14, v0
	v_cmp_gt_i64_e32 vcc, s[8:9], v[6:7]
	v_cmp_gt_u32_e64 s[2:3], s11, v6
	s_and_b64 s[18:19], s[2:3], vcc
	s_and_saveexec_b64 s[2:3], s[18:19]
	s_cbranch_execz .LBB79_6
; %bb.5:                                ;   in Loop: Header=BB79_4 Depth=1
	v_lshl_add_u64 v[8:9], v[6:7], 2, s[12:13]
	global_load_dword v1, v[8:9], off
	s_waitcnt vmcnt(0)
	v_cmp_u_f32_e32 vcc, v1, v1
	v_cmp_lt_f32_e64 s[18:19], v2, |v1|
	s_or_b64 s[18:19], vcc, s[18:19]
	s_nop 0
	v_cndmask_b32_e64 v2, v2, |v1|, s[18:19]
.LBB79_6:                               ;   in Loop: Header=BB79_4 Depth=1
	s_or_b64 exec, exec, s[2:3]
	v_add_u32_e32 v6, s14, v14
	v_cmp_gt_i64_e32 vcc, s[8:9], v[6:7]
	v_cmp_gt_u32_e64 s[2:3], s11, v6
	s_and_b64 s[18:19], s[2:3], vcc
	s_and_saveexec_b64 s[2:3], s[18:19]
	s_cbranch_execz .LBB79_8
; %bb.7:                                ;   in Loop: Header=BB79_4 Depth=1
	v_lshl_add_u64 v[8:9], v[6:7], 2, s[12:13]
	global_load_dword v1, v[8:9], off
	s_waitcnt vmcnt(0)
	v_cmp_u_f32_e32 vcc, v1, v1
	v_cmp_lt_f32_e64 s[18:19], v3, |v1|
	s_or_b64 s[18:19], vcc, s[18:19]
	s_nop 0
	v_cndmask_b32_e64 v3, v3, |v1|, s[18:19]
.LBB79_8:                               ;   in Loop: Header=BB79_4 Depth=1
	s_or_b64 exec, exec, s[2:3]
	v_add_u32_e32 v6, s14, v10
	v_cmp_gt_i64_e32 vcc, s[8:9], v[6:7]
	v_cmp_gt_u32_e64 s[2:3], s11, v6
	s_and_b64 s[18:19], s[2:3], vcc
	s_and_saveexec_b64 s[2:3], s[18:19]
	s_cbranch_execz .LBB79_10
; %bb.9:                                ;   in Loop: Header=BB79_4 Depth=1
	v_lshl_add_u64 v[8:9], v[6:7], 2, s[12:13]
	global_load_dword v1, v[8:9], off
	s_waitcnt vmcnt(0)
	v_cmp_u_f32_e32 vcc, v1, v1
	v_cmp_lt_f32_e64 s[18:19], v4, |v1|
	s_or_b64 s[18:19], vcc, s[18:19]
	s_nop 0
	v_cndmask_b32_e64 v4, v4, |v1|, s[18:19]
.LBB79_10:                              ;   in Loop: Header=BB79_4 Depth=1
	s_or_b64 exec, exec, s[2:3]
	v_add_u32_e32 v6, s14, v12
	v_cmp_gt_i64_e32 vcc, s[8:9], v[6:7]
	v_cmp_gt_u32_e64 s[2:3], s11, v6
	s_and_b64 s[18:19], s[2:3], vcc
	s_and_saveexec_b64 s[2:3], s[18:19]
	s_cbranch_execz .LBB79_3
; %bb.11:                               ;   in Loop: Header=BB79_4 Depth=1
	v_lshl_add_u64 v[8:9], v[6:7], 2, s[12:13]
	global_load_dword v1, v[8:9], off
	s_waitcnt vmcnt(0)
	v_cmp_u_f32_e32 vcc, v1, v1
	v_cmp_lt_f32_e64 s[18:19], v5, |v1|
	s_or_b64 s[18:19], vcc, s[18:19]
	s_nop 0
	v_cndmask_b32_e64 v5, v5, |v1|, s[18:19]
	s_branch .LBB79_3
.LBB79_12:
                                        ; implicit-def: $vgpr2_vgpr3_vgpr4_vgpr5
	s_branch .LBB79_15
.LBB79_13:
	v_mov_b32_e32 v2, 0
	v_mov_b32_e32 v3, v2
	;; [unrolled: 1-line block ×4, first 2 shown]
.LBB79_14:
	s_cbranch_execnz .LBB79_20
.LBB79_15:
	v_mov_b64_e32 v[4:5], 0x10000
	v_cmp_lt_i64_e32 vcc, s[8:9], v[4:5]
	s_and_b64 s[2:3], vcc, exec
	v_mov_b32_e32 v3, 0
	s_cselect_b32 s13, s9, 0
	s_cselect_b32 s12, s8, 0x10000
	v_lshlrev_b32_e32 v2, 2, v0
	v_cmp_gt_i64_e32 vcc, s[12:13], v[2:3]
	s_mov_b32 s17, 0
	v_mov_b32_e32 v2, v3
	v_mov_b32_e32 v4, v3
	v_mov_b32_e32 v5, v3
	s_and_saveexec_b64 s[14:15], vcc
	s_cbranch_execz .LBB79_19
; %bb.16:
	s_load_dword s2, s[0:1], 0xd4c
	v_lshlrev_b32_e32 v2, 4, v0
	v_mov_b32_e32 v1, v3
	s_mov_b32 s19, s17
	s_mov_b64 s[20:21], 0
	s_waitcnt lgkmcnt(0)
	s_and_b32 s16, s2, 0xffff
	s_add_u32 s2, s4, s6
	s_addc_u32 s3, s5, s7
	v_lshl_add_u64 v[4:5], s[2:3], 0, v[2:3]
	s_lshl_b32 s18, s16, 4
	v_lshl_add_u64 v[8:9], v[4:5], 0, 8
	v_mov_b64_e32 v[10:11], v[0:1]
	v_mov_b32_e32 v5, 0
	v_mov_b32_e32 v6, 0
	;; [unrolled: 1-line block ×3, first 2 shown]
.LBB79_17:                              ; =>This Inner Loop Header: Depth=1
	global_load_dwordx4 v[12:15], v[8:9], off offset:-8
	v_lshl_add_u64 v[10:11], v[10:11], 0, s[16:17]
	v_lshlrev_b64 v[16:17], 2, v[10:11]
	v_cmp_le_i64_e32 vcc, s[12:13], v[16:17]
	v_lshl_add_u64 v[8:9], v[8:9], 0, s[18:19]
	s_waitcnt vmcnt(0)
	v_cmp_u_f32_e64 s[2:3], v15, v15
	v_cmp_lt_f32_e64 s[24:25], v7, |v15|
	v_cmp_u_f32_e64 s[4:5], v14, v14
	v_cmp_lt_f32_e64 s[26:27], v6, |v14|
	s_or_b64 s[2:3], s[2:3], s[24:25]
	v_cmp_u_f32_e64 s[6:7], v13, v13
	v_cmp_u_f32_e64 s[8:9], v12, v12
	v_cmp_lt_f32_e64 s[28:29], v5, |v13|
	v_cmp_lt_f32_e64 s[30:31], v3, |v12|
	v_cndmask_b32_e64 v7, v7, |v15|, s[2:3]
	s_or_b64 s[2:3], s[4:5], s[26:27]
	s_or_b64 s[8:9], s[8:9], s[30:31]
	v_cndmask_b32_e64 v6, v6, |v14|, s[2:3]
	s_or_b64 s[2:3], s[6:7], s[28:29]
	v_cndmask_b32_e64 v5, v5, |v13|, s[2:3]
	s_or_b64 s[20:21], vcc, s[20:21]
	v_cndmask_b32_e64 v3, v3, |v12|, s[8:9]
	s_andn2_b64 exec, exec, s[20:21]
	s_cbranch_execnz .LBB79_17
; %bb.18:
	s_or_b64 exec, exec, s[20:21]
	v_mov_b32_e32 v4, v3
	v_mov_b64_e32 v[2:3], v[4:5]
	v_mov_b64_e32 v[4:5], v[6:7]
.LBB79_19:
	s_or_b64 exec, exec, s[14:15]
.LBB79_20:
	v_cmp_nge_f32_e32 vcc, 0, v2
	v_and_b32_e32 v8, 63, v0
	s_nop 0
	v_cndmask_b32_e32 v1, 0, v2, vcc
	v_cmp_u_f32_e32 vcc, v3, v3
	v_cmp_lt_f32_e64 s[2:3], v1, v3
	s_or_b64 vcc, vcc, s[2:3]
	v_cndmask_b32_e32 v1, v1, v3, vcc
	v_cmp_u_f32_e32 vcc, v4, v4
	v_cmp_lt_f32_e64 s[2:3], v1, v4
	s_or_b64 vcc, vcc, s[2:3]
	;; [unrolled: 4-line block ×3, first 2 shown]
	v_cndmask_b32_e32 v2, v1, v5, vcc
	v_mbcnt_lo_u32_b32 v1, -1, 0
	v_mbcnt_hi_u32_b32 v6, -1, v1
	v_mov_b32_e32 v1, 0x80
	v_lshl_or_b32 v1, v6, 2, v1
	ds_bpermute_b32 v3, v1, v2
	v_and_b32_e32 v9, 63, v6
	s_barrier
	s_waitcnt lgkmcnt(0)
	v_cmp_u_f32_e32 vcc, v3, v3
	v_cmp_lt_f32_e64 s[2:3], v2, v3
	s_or_b64 vcc, vcc, s[2:3]
	v_cndmask_b32_e32 v3, v2, v3, vcc
	v_cmp_gt_u32_e32 vcc, 48, v9
	s_nop 1
	v_cndmask_b32_e64 v2, 0, 16, vcc
	v_add_lshl_u32 v2, v2, v6, 2
	ds_bpermute_b32 v4, v2, v3
	s_waitcnt lgkmcnt(0)
	v_cmp_u_f32_e32 vcc, v4, v4
	v_cmp_lt_f32_e64 s[2:3], v3, v4
	s_or_b64 vcc, vcc, s[2:3]
	v_cndmask_b32_e32 v4, v3, v4, vcc
	v_cmp_gt_u32_e32 vcc, 56, v9
	s_nop 1
	v_cndmask_b32_e64 v3, 0, 8, vcc
	v_add_lshl_u32 v3, v3, v6, 2
	ds_bpermute_b32 v5, v3, v4
	;; [unrolled: 10-line block ×4, first 2 shown]
	s_waitcnt lgkmcnt(0)
	v_cmp_u_f32_e32 vcc, v10, v10
	v_cmp_lt_f32_e64 s[2:3], v7, v10
	s_or_b64 vcc, vcc, s[2:3]
	v_cndmask_b32_e32 v7, v7, v10, vcc
	v_cmp_ne_u32_e32 vcc, 63, v9
	s_nop 1
	v_addc_co_u32_e32 v6, vcc, 0, v6, vcc
	v_lshlrev_b32_e32 v6, 2, v6
	ds_bpermute_b32 v9, v6, v7
	v_cmp_eq_u32_e32 vcc, 0, v8
	s_and_saveexec_b64 s[4:5], vcc
	s_cbranch_execz .LBB79_22
; %bb.21:
	s_waitcnt lgkmcnt(0)
	v_cmp_u_f32_e32 vcc, v9, v9
	v_cmp_lt_f32_e64 s[2:3], v7, v9
	s_or_b64 vcc, vcc, s[2:3]
	v_lshrrev_b32_e32 v10, 4, v0
	v_cndmask_b32_e32 v7, v7, v9, vcc
	ds_write_b32 v10, v7
.LBB79_22:
	s_or_b64 exec, exec, s[4:5]
	s_waitcnt lgkmcnt(0)
	s_barrier
	s_load_dword s2, s[0:1], 0xd4c
	v_mov_b32_e32 v7, 0xff7fffff
	s_waitcnt lgkmcnt(0)
	s_bfe_u32 s2, s2, 0xa0006
	v_cmp_gt_u32_e32 vcc, s2, v0
	s_and_saveexec_b64 s[2:3], vcc
	s_cbranch_execnz .LBB79_26
; %bb.23:
	s_or_b64 exec, exec, s[2:3]
	v_cmp_gt_u32_e32 vcc, 64, v0
	s_and_saveexec_b64 s[4:5], vcc
	s_cbranch_execnz .LBB79_27
.LBB79_24:
	s_or_b64 exec, exec, s[4:5]
	v_cmp_eq_u32_e32 vcc, 0, v0
	s_and_saveexec_b64 s[2:3], vcc
	s_cbranch_execnz .LBB79_28
.LBB79_25:
	s_endpgm
.LBB79_26:
	v_lshlrev_b32_e32 v7, 2, v8
	ds_read_b32 v7, v7
	s_or_b64 exec, exec, s[2:3]
	v_cmp_gt_u32_e32 vcc, 64, v0
	s_and_saveexec_b64 s[4:5], vcc
	s_cbranch_execz .LBB79_24
.LBB79_27:
	s_waitcnt lgkmcnt(0)
	ds_bpermute_b32 v1, v1, v7
	s_waitcnt lgkmcnt(0)
	v_cmp_u_f32_e32 vcc, v1, v1
	v_cmp_lt_f32_e64 s[2:3], v7, v1
	s_or_b64 vcc, vcc, s[2:3]
	v_cndmask_b32_e32 v1, v7, v1, vcc
	ds_bpermute_b32 v2, v2, v1
	s_waitcnt lgkmcnt(0)
	v_cmp_u_f32_e32 vcc, v2, v2
	v_cmp_lt_f32_e64 s[2:3], v1, v2
	s_or_b64 vcc, vcc, s[2:3]
	v_cndmask_b32_e32 v1, v1, v2, vcc
	;; [unrolled: 6-line block ×6, first 2 shown]
	s_or_b64 exec, exec, s[4:5]
	v_cmp_eq_u32_e32 vcc, 0, v0
	s_and_saveexec_b64 s[2:3], vcc
	s_cbranch_execz .LBB79_25
.LBB79_28:
	s_load_dword s4, s[0:1], 0xd20
	s_load_dword s5, s[0:1], 0xd38
	s_load_dwordx2 s[2:3], s[0:1], 0xd30
	v_mov_b32_e32 v0, 0
	s_waitcnt lgkmcnt(0)
	s_add_i32 s0, s4, s22
	s_mul_i32 s0, s0, s5
	s_add_i32 s0, s0, s10
	s_ashr_i32 s1, s0, 31
	s_lshl_b64 s[0:1], s[0:1], 2
	s_add_u32 s0, s2, s0
	s_addc_u32 s1, s3, s1
	global_store_dword v0, v7, s[0:1]
	s_endpgm
	.section	.rodata,"a",@progbits
	.p2align	6, 0x0
	.amdhsa_kernel _ZN2at6native12_GLOBAL__N_125multi_tensor_apply_kernelINS1_18TensorListMetadataILi1EEENS0_13LpNormFunctorIfLNS0_8NormTypeE3EN3c108BFloat16ELi1ELi1ELi0EEEJPfiEEEvT_T0_DpT1_
		.amdhsa_group_segment_fixed_size 2048
		.amdhsa_private_segment_fixed_size 0
		.amdhsa_kernarg_size 3648
		.amdhsa_user_sgpr_count 2
		.amdhsa_user_sgpr_dispatch_ptr 0
		.amdhsa_user_sgpr_queue_ptr 0
		.amdhsa_user_sgpr_kernarg_segment_ptr 1
		.amdhsa_user_sgpr_dispatch_id 0
		.amdhsa_user_sgpr_kernarg_preload_length 0
		.amdhsa_user_sgpr_kernarg_preload_offset 0
		.amdhsa_user_sgpr_private_segment_size 0
		.amdhsa_uses_dynamic_stack 0
		.amdhsa_enable_private_segment 0
		.amdhsa_system_sgpr_workgroup_id_x 1
		.amdhsa_system_sgpr_workgroup_id_y 0
		.amdhsa_system_sgpr_workgroup_id_z 0
		.amdhsa_system_sgpr_workgroup_info 0
		.amdhsa_system_vgpr_workitem_id 0
		.amdhsa_next_free_vgpr 18
		.amdhsa_next_free_sgpr 32
		.amdhsa_accum_offset 20
		.amdhsa_reserve_vcc 1
		.amdhsa_float_round_mode_32 0
		.amdhsa_float_round_mode_16_64 0
		.amdhsa_float_denorm_mode_32 3
		.amdhsa_float_denorm_mode_16_64 3
		.amdhsa_dx10_clamp 1
		.amdhsa_ieee_mode 1
		.amdhsa_fp16_overflow 0
		.amdhsa_tg_split 0
		.amdhsa_exception_fp_ieee_invalid_op 0
		.amdhsa_exception_fp_denorm_src 0
		.amdhsa_exception_fp_ieee_div_zero 0
		.amdhsa_exception_fp_ieee_overflow 0
		.amdhsa_exception_fp_ieee_underflow 0
		.amdhsa_exception_fp_ieee_inexact 0
		.amdhsa_exception_int_div_zero 0
	.end_amdhsa_kernel
	.section	.text._ZN2at6native12_GLOBAL__N_125multi_tensor_apply_kernelINS1_18TensorListMetadataILi1EEENS0_13LpNormFunctorIfLNS0_8NormTypeE3EN3c108BFloat16ELi1ELi1ELi0EEEJPfiEEEvT_T0_DpT1_,"axG",@progbits,_ZN2at6native12_GLOBAL__N_125multi_tensor_apply_kernelINS1_18TensorListMetadataILi1EEENS0_13LpNormFunctorIfLNS0_8NormTypeE3EN3c108BFloat16ELi1ELi1ELi0EEEJPfiEEEvT_T0_DpT1_,comdat
.Lfunc_end79:
	.size	_ZN2at6native12_GLOBAL__N_125multi_tensor_apply_kernelINS1_18TensorListMetadataILi1EEENS0_13LpNormFunctorIfLNS0_8NormTypeE3EN3c108BFloat16ELi1ELi1ELi0EEEJPfiEEEvT_T0_DpT1_, .Lfunc_end79-_ZN2at6native12_GLOBAL__N_125multi_tensor_apply_kernelINS1_18TensorListMetadataILi1EEENS0_13LpNormFunctorIfLNS0_8NormTypeE3EN3c108BFloat16ELi1ELi1ELi0EEEJPfiEEEvT_T0_DpT1_
                                        ; -- End function
	.set _ZN2at6native12_GLOBAL__N_125multi_tensor_apply_kernelINS1_18TensorListMetadataILi1EEENS0_13LpNormFunctorIfLNS0_8NormTypeE3EN3c108BFloat16ELi1ELi1ELi0EEEJPfiEEEvT_T0_DpT1_.num_vgpr, 18
	.set _ZN2at6native12_GLOBAL__N_125multi_tensor_apply_kernelINS1_18TensorListMetadataILi1EEENS0_13LpNormFunctorIfLNS0_8NormTypeE3EN3c108BFloat16ELi1ELi1ELi0EEEJPfiEEEvT_T0_DpT1_.num_agpr, 0
	.set _ZN2at6native12_GLOBAL__N_125multi_tensor_apply_kernelINS1_18TensorListMetadataILi1EEENS0_13LpNormFunctorIfLNS0_8NormTypeE3EN3c108BFloat16ELi1ELi1ELi0EEEJPfiEEEvT_T0_DpT1_.numbered_sgpr, 32
	.set _ZN2at6native12_GLOBAL__N_125multi_tensor_apply_kernelINS1_18TensorListMetadataILi1EEENS0_13LpNormFunctorIfLNS0_8NormTypeE3EN3c108BFloat16ELi1ELi1ELi0EEEJPfiEEEvT_T0_DpT1_.num_named_barrier, 0
	.set _ZN2at6native12_GLOBAL__N_125multi_tensor_apply_kernelINS1_18TensorListMetadataILi1EEENS0_13LpNormFunctorIfLNS0_8NormTypeE3EN3c108BFloat16ELi1ELi1ELi0EEEJPfiEEEvT_T0_DpT1_.private_seg_size, 0
	.set _ZN2at6native12_GLOBAL__N_125multi_tensor_apply_kernelINS1_18TensorListMetadataILi1EEENS0_13LpNormFunctorIfLNS0_8NormTypeE3EN3c108BFloat16ELi1ELi1ELi0EEEJPfiEEEvT_T0_DpT1_.uses_vcc, 1
	.set _ZN2at6native12_GLOBAL__N_125multi_tensor_apply_kernelINS1_18TensorListMetadataILi1EEENS0_13LpNormFunctorIfLNS0_8NormTypeE3EN3c108BFloat16ELi1ELi1ELi0EEEJPfiEEEvT_T0_DpT1_.uses_flat_scratch, 0
	.set _ZN2at6native12_GLOBAL__N_125multi_tensor_apply_kernelINS1_18TensorListMetadataILi1EEENS0_13LpNormFunctorIfLNS0_8NormTypeE3EN3c108BFloat16ELi1ELi1ELi0EEEJPfiEEEvT_T0_DpT1_.has_dyn_sized_stack, 0
	.set _ZN2at6native12_GLOBAL__N_125multi_tensor_apply_kernelINS1_18TensorListMetadataILi1EEENS0_13LpNormFunctorIfLNS0_8NormTypeE3EN3c108BFloat16ELi1ELi1ELi0EEEJPfiEEEvT_T0_DpT1_.has_recursion, 0
	.set _ZN2at6native12_GLOBAL__N_125multi_tensor_apply_kernelINS1_18TensorListMetadataILi1EEENS0_13LpNormFunctorIfLNS0_8NormTypeE3EN3c108BFloat16ELi1ELi1ELi0EEEJPfiEEEvT_T0_DpT1_.has_indirect_call, 0
	.section	.AMDGPU.csdata,"",@progbits
; Kernel info:
; codeLenInByte = 1812
; TotalNumSgprs: 38
; NumVgprs: 18
; NumAgprs: 0
; TotalNumVgprs: 18
; ScratchSize: 0
; MemoryBound: 0
; FloatMode: 240
; IeeeMode: 1
; LDSByteSize: 2048 bytes/workgroup (compile time only)
; SGPRBlocks: 4
; VGPRBlocks: 2
; NumSGPRsForWavesPerEU: 38
; NumVGPRsForWavesPerEU: 18
; AccumOffset: 20
; Occupancy: 8
; WaveLimiterHint : 0
; COMPUTE_PGM_RSRC2:SCRATCH_EN: 0
; COMPUTE_PGM_RSRC2:USER_SGPR: 2
; COMPUTE_PGM_RSRC2:TRAP_HANDLER: 0
; COMPUTE_PGM_RSRC2:TGID_X_EN: 1
; COMPUTE_PGM_RSRC2:TGID_Y_EN: 0
; COMPUTE_PGM_RSRC2:TGID_Z_EN: 0
; COMPUTE_PGM_RSRC2:TIDIG_COMP_CNT: 0
; COMPUTE_PGM_RSRC3_GFX90A:ACCUM_OFFSET: 4
; COMPUTE_PGM_RSRC3_GFX90A:TG_SPLIT: 0
	.section	.text._ZN2at6native14lpnorm_cleanupIfLNS0_8NormTypeE0EN3c108BFloat16ELb1EfEEvPKT3_NS0_19TensorListAddressesEi,"axG",@progbits,_ZN2at6native14lpnorm_cleanupIfLNS0_8NormTypeE0EN3c108BFloat16ELb1EfEEvPKT3_NS0_19TensorListAddressesEi,comdat
	.protected	_ZN2at6native14lpnorm_cleanupIfLNS0_8NormTypeE0EN3c108BFloat16ELb1EfEEvPKT3_NS0_19TensorListAddressesEi ; -- Begin function _ZN2at6native14lpnorm_cleanupIfLNS0_8NormTypeE0EN3c108BFloat16ELb1EfEEvPKT3_NS0_19TensorListAddressesEi
	.globl	_ZN2at6native14lpnorm_cleanupIfLNS0_8NormTypeE0EN3c108BFloat16ELb1EfEEvPKT3_NS0_19TensorListAddressesEi
	.p2align	8
	.type	_ZN2at6native14lpnorm_cleanupIfLNS0_8NormTypeE0EN3c108BFloat16ELb1EfEEvPKT3_NS0_19TensorListAddressesEi,@function
_ZN2at6native14lpnorm_cleanupIfLNS0_8NormTypeE0EN3c108BFloat16ELb1EfEEvPKT3_NS0_19TensorListAddressesEi: ; @_ZN2at6native14lpnorm_cleanupIfLNS0_8NormTypeE0EN3c108BFloat16ELb1EfEEvPKT3_NS0_19TensorListAddressesEi
; %bb.0:
	s_load_dword s6, s[0:1], 0xc88
	v_mov_b32_e32 v1, 0
	s_waitcnt lgkmcnt(0)
	v_cmp_gt_u32_e32 vcc, s6, v0
	s_and_saveexec_b64 s[4:5], vcc
	s_cbranch_execz .LBB80_4
; %bb.1:
	s_load_dwordx2 s[12:13], s[0:1], 0x0
	s_load_dword s3, s[0:1], 0xc9c
	s_mul_i32 s8, s6, s2
	s_mov_b32 s9, 0
	s_ashr_i32 s7, s6, 31
	s_lshl_b64 s[14:15], s[8:9], 2
	s_waitcnt lgkmcnt(0)
	s_and_b32 s10, s3, 0xffff
	v_mov_b32_e32 v1, 0
	s_add_u32 s12, s12, s14
	v_lshlrev_b32_e32 v2, 2, v0
	v_mov_b32_e32 v3, v1
	s_addc_u32 s13, s13, s15
	s_mov_b32 s11, s9
	v_lshl_add_u64 v[2:3], s[12:13], 0, v[2:3]
	s_lshl_b32 s8, s10, 2
	s_mov_b64 s[12:13], 0
	v_mov_b64_e32 v[4:5], v[0:1]
.LBB80_2:                               ; =>This Inner Loop Header: Depth=1
	global_load_dword v6, v[2:3], off
	v_lshl_add_u64 v[4:5], v[4:5], 0, s[10:11]
	v_cmp_le_u64_e32 vcc, s[6:7], v[4:5]
	v_lshl_add_u64 v[2:3], v[2:3], 0, s[8:9]
	s_or_b64 s[12:13], vcc, s[12:13]
	s_waitcnt vmcnt(0)
	v_add_f32_e32 v1, v1, v6
	s_andn2_b64 exec, exec, s[12:13]
	s_cbranch_execnz .LBB80_2
; %bb.3:
	s_or_b64 exec, exec, s[12:13]
.LBB80_4:
	s_or_b64 exec, exec, s[4:5]
	v_mbcnt_lo_u32_b32 v2, -1, 0
	v_mbcnt_hi_u32_b32 v6, -1, v2
	v_mov_b32_e32 v2, 0x80
	v_lshl_or_b32 v2, v6, 2, v2
	ds_bpermute_b32 v3, v2, v1
	v_and_b32_e32 v7, 63, v6
	v_cmp_gt_u32_e32 vcc, 48, v7
	s_waitcnt lgkmcnt(0)
	s_barrier
	v_cndmask_b32_e64 v4, 0, 16, vcc
	v_add_f32_e32 v5, v1, v3
	v_add_lshl_u32 v1, v4, v6, 2
	ds_bpermute_b32 v4, v1, v5
	v_cmp_gt_u32_e32 vcc, 56, v7
	s_waitcnt lgkmcnt(0)
	v_add_f32_e32 v5, v5, v4
	v_cndmask_b32_e64 v3, 0, 8, vcc
	v_add_lshl_u32 v3, v3, v6, 2
	ds_bpermute_b32 v8, v3, v5
	v_cmp_gt_u32_e32 vcc, 60, v7
	s_waitcnt lgkmcnt(0)
	v_add_f32_e32 v8, v5, v8
	v_cndmask_b32_e64 v4, 0, 4, vcc
	;; [unrolled: 6-line block ×3, first 2 shown]
	v_add_lshl_u32 v5, v5, v6, 2
	ds_bpermute_b32 v10, v5, v9
	v_cmp_ne_u32_e32 vcc, 63, v7
	v_and_b32_e32 v8, 63, v0
	s_waitcnt lgkmcnt(0)
	v_add_f32_e32 v7, v9, v10
	v_addc_co_u32_e32 v6, vcc, 0, v6, vcc
	v_lshlrev_b32_e32 v6, 2, v6
	ds_bpermute_b32 v9, v6, v7
	v_cmp_eq_u32_e32 vcc, 0, v8
	s_and_saveexec_b64 s[4:5], vcc
	s_cbranch_execz .LBB80_6
; %bb.5:
	s_waitcnt lgkmcnt(0)
	v_add_f32_e32 v7, v7, v9
	v_lshrrev_b32_e32 v9, 4, v0
	ds_write_b32 v9, v7
.LBB80_6:
	s_or_b64 exec, exec, s[4:5]
	s_waitcnt lgkmcnt(0)
	s_barrier
	s_load_dword s3, s[0:1], 0xc9c
	v_mov_b32_e32 v7, 0
	s_waitcnt lgkmcnt(0)
	s_bfe_u32 s3, s3, 0xa0006
	v_cmp_gt_u32_e32 vcc, s3, v0
	s_and_saveexec_b64 s[4:5], vcc
; %bb.7:
	v_lshlrev_b32_e32 v7, 2, v8
	ds_read_b32 v7, v7
; %bb.8:
	s_or_b64 exec, exec, s[4:5]
	v_cmp_gt_u32_e32 vcc, 64, v0
	s_and_saveexec_b64 s[4:5], vcc
	s_cbranch_execz .LBB80_10
; %bb.9:
	s_waitcnt lgkmcnt(0)
	ds_bpermute_b32 v2, v2, v7
	s_waitcnt lgkmcnt(0)
	v_add_f32_e32 v2, v7, v2
	ds_bpermute_b32 v1, v1, v2
	s_waitcnt lgkmcnt(0)
	v_add_f32_e32 v1, v2, v1
	;; [unrolled: 3-line block ×6, first 2 shown]
.LBB80_10:
	s_or_b64 exec, exec, s[4:5]
	s_mov_b32 s3, 0
	v_cmp_eq_u32_e32 vcc, 0, v0
	s_and_saveexec_b64 s[4:5], vcc
	s_cbranch_execz .LBB80_12
; %bb.11:
	s_lshl_b64 s[2:3], s[2:3], 3
	s_add_u32 s0, s0, s2
	s_addc_u32 s1, s1, s3
	s_load_dwordx2 s[0:1], s[0:1], 0x8
	s_waitcnt lgkmcnt(0)
	v_bfe_u32 v0, v7, 16, 1
	s_movk_i32 s4, 0x7fff
	v_add3_u32 v0, v7, v0, s4
	v_cmp_o_f32_e32 vcc, v7, v7
	v_mov_b32_e32 v1, 0x7fc0
	s_nop 0
	v_cndmask_b32_sdwa v0, v1, v0, vcc dst_sel:DWORD dst_unused:UNUSED_PAD src0_sel:DWORD src1_sel:WORD_1
	v_mov_b32_e32 v1, 0
	global_store_short v1, v0, s[0:1]
.LBB80_12:
	s_endpgm
	.section	.rodata,"a",@progbits
	.p2align	6, 0x0
	.amdhsa_kernel _ZN2at6native14lpnorm_cleanupIfLNS0_8NormTypeE0EN3c108BFloat16ELb1EfEEvPKT3_NS0_19TensorListAddressesEi
		.amdhsa_group_segment_fixed_size 2048
		.amdhsa_private_segment_fixed_size 0
		.amdhsa_kernarg_size 3472
		.amdhsa_user_sgpr_count 2
		.amdhsa_user_sgpr_dispatch_ptr 0
		.amdhsa_user_sgpr_queue_ptr 0
		.amdhsa_user_sgpr_kernarg_segment_ptr 1
		.amdhsa_user_sgpr_dispatch_id 0
		.amdhsa_user_sgpr_kernarg_preload_length 0
		.amdhsa_user_sgpr_kernarg_preload_offset 0
		.amdhsa_user_sgpr_private_segment_size 0
		.amdhsa_uses_dynamic_stack 0
		.amdhsa_enable_private_segment 0
		.amdhsa_system_sgpr_workgroup_id_x 1
		.amdhsa_system_sgpr_workgroup_id_y 0
		.amdhsa_system_sgpr_workgroup_id_z 0
		.amdhsa_system_sgpr_workgroup_info 0
		.amdhsa_system_vgpr_workitem_id 0
		.amdhsa_next_free_vgpr 11
		.amdhsa_next_free_sgpr 16
		.amdhsa_accum_offset 12
		.amdhsa_reserve_vcc 1
		.amdhsa_float_round_mode_32 0
		.amdhsa_float_round_mode_16_64 0
		.amdhsa_float_denorm_mode_32 3
		.amdhsa_float_denorm_mode_16_64 3
		.amdhsa_dx10_clamp 1
		.amdhsa_ieee_mode 1
		.amdhsa_fp16_overflow 0
		.amdhsa_tg_split 0
		.amdhsa_exception_fp_ieee_invalid_op 0
		.amdhsa_exception_fp_denorm_src 0
		.amdhsa_exception_fp_ieee_div_zero 0
		.amdhsa_exception_fp_ieee_overflow 0
		.amdhsa_exception_fp_ieee_underflow 0
		.amdhsa_exception_fp_ieee_inexact 0
		.amdhsa_exception_int_div_zero 0
	.end_amdhsa_kernel
	.section	.text._ZN2at6native14lpnorm_cleanupIfLNS0_8NormTypeE0EN3c108BFloat16ELb1EfEEvPKT3_NS0_19TensorListAddressesEi,"axG",@progbits,_ZN2at6native14lpnorm_cleanupIfLNS0_8NormTypeE0EN3c108BFloat16ELb1EfEEvPKT3_NS0_19TensorListAddressesEi,comdat
.Lfunc_end80:
	.size	_ZN2at6native14lpnorm_cleanupIfLNS0_8NormTypeE0EN3c108BFloat16ELb1EfEEvPKT3_NS0_19TensorListAddressesEi, .Lfunc_end80-_ZN2at6native14lpnorm_cleanupIfLNS0_8NormTypeE0EN3c108BFloat16ELb1EfEEvPKT3_NS0_19TensorListAddressesEi
                                        ; -- End function
	.set _ZN2at6native14lpnorm_cleanupIfLNS0_8NormTypeE0EN3c108BFloat16ELb1EfEEvPKT3_NS0_19TensorListAddressesEi.num_vgpr, 11
	.set _ZN2at6native14lpnorm_cleanupIfLNS0_8NormTypeE0EN3c108BFloat16ELb1EfEEvPKT3_NS0_19TensorListAddressesEi.num_agpr, 0
	.set _ZN2at6native14lpnorm_cleanupIfLNS0_8NormTypeE0EN3c108BFloat16ELb1EfEEvPKT3_NS0_19TensorListAddressesEi.numbered_sgpr, 16
	.set _ZN2at6native14lpnorm_cleanupIfLNS0_8NormTypeE0EN3c108BFloat16ELb1EfEEvPKT3_NS0_19TensorListAddressesEi.num_named_barrier, 0
	.set _ZN2at6native14lpnorm_cleanupIfLNS0_8NormTypeE0EN3c108BFloat16ELb1EfEEvPKT3_NS0_19TensorListAddressesEi.private_seg_size, 0
	.set _ZN2at6native14lpnorm_cleanupIfLNS0_8NormTypeE0EN3c108BFloat16ELb1EfEEvPKT3_NS0_19TensorListAddressesEi.uses_vcc, 1
	.set _ZN2at6native14lpnorm_cleanupIfLNS0_8NormTypeE0EN3c108BFloat16ELb1EfEEvPKT3_NS0_19TensorListAddressesEi.uses_flat_scratch, 0
	.set _ZN2at6native14lpnorm_cleanupIfLNS0_8NormTypeE0EN3c108BFloat16ELb1EfEEvPKT3_NS0_19TensorListAddressesEi.has_dyn_sized_stack, 0
	.set _ZN2at6native14lpnorm_cleanupIfLNS0_8NormTypeE0EN3c108BFloat16ELb1EfEEvPKT3_NS0_19TensorListAddressesEi.has_recursion, 0
	.set _ZN2at6native14lpnorm_cleanupIfLNS0_8NormTypeE0EN3c108BFloat16ELb1EfEEvPKT3_NS0_19TensorListAddressesEi.has_indirect_call, 0
	.section	.AMDGPU.csdata,"",@progbits
; Kernel info:
; codeLenInByte = 704
; TotalNumSgprs: 22
; NumVgprs: 11
; NumAgprs: 0
; TotalNumVgprs: 11
; ScratchSize: 0
; MemoryBound: 0
; FloatMode: 240
; IeeeMode: 1
; LDSByteSize: 2048 bytes/workgroup (compile time only)
; SGPRBlocks: 2
; VGPRBlocks: 1
; NumSGPRsForWavesPerEU: 22
; NumVGPRsForWavesPerEU: 11
; AccumOffset: 12
; Occupancy: 8
; WaveLimiterHint : 0
; COMPUTE_PGM_RSRC2:SCRATCH_EN: 0
; COMPUTE_PGM_RSRC2:USER_SGPR: 2
; COMPUTE_PGM_RSRC2:TRAP_HANDLER: 0
; COMPUTE_PGM_RSRC2:TGID_X_EN: 1
; COMPUTE_PGM_RSRC2:TGID_Y_EN: 0
; COMPUTE_PGM_RSRC2:TGID_Z_EN: 0
; COMPUTE_PGM_RSRC2:TIDIG_COMP_CNT: 0
; COMPUTE_PGM_RSRC3_GFX90A:ACCUM_OFFSET: 2
; COMPUTE_PGM_RSRC3_GFX90A:TG_SPLIT: 0
	.section	.text._ZN2at6native14lpnorm_cleanupIfLNS0_8NormTypeE1EN3c108BFloat16ELb1EfEEvPKT3_NS0_19TensorListAddressesEi,"axG",@progbits,_ZN2at6native14lpnorm_cleanupIfLNS0_8NormTypeE1EN3c108BFloat16ELb1EfEEvPKT3_NS0_19TensorListAddressesEi,comdat
	.protected	_ZN2at6native14lpnorm_cleanupIfLNS0_8NormTypeE1EN3c108BFloat16ELb1EfEEvPKT3_NS0_19TensorListAddressesEi ; -- Begin function _ZN2at6native14lpnorm_cleanupIfLNS0_8NormTypeE1EN3c108BFloat16ELb1EfEEvPKT3_NS0_19TensorListAddressesEi
	.globl	_ZN2at6native14lpnorm_cleanupIfLNS0_8NormTypeE1EN3c108BFloat16ELb1EfEEvPKT3_NS0_19TensorListAddressesEi
	.p2align	8
	.type	_ZN2at6native14lpnorm_cleanupIfLNS0_8NormTypeE1EN3c108BFloat16ELb1EfEEvPKT3_NS0_19TensorListAddressesEi,@function
_ZN2at6native14lpnorm_cleanupIfLNS0_8NormTypeE1EN3c108BFloat16ELb1EfEEvPKT3_NS0_19TensorListAddressesEi: ; @_ZN2at6native14lpnorm_cleanupIfLNS0_8NormTypeE1EN3c108BFloat16ELb1EfEEvPKT3_NS0_19TensorListAddressesEi
; %bb.0:
	s_load_dword s6, s[0:1], 0xc88
	v_mov_b32_e32 v1, 0
	s_waitcnt lgkmcnt(0)
	v_cmp_gt_u32_e32 vcc, s6, v0
	s_and_saveexec_b64 s[4:5], vcc
	s_cbranch_execz .LBB81_4
; %bb.1:
	s_load_dwordx2 s[12:13], s[0:1], 0x0
	s_load_dword s3, s[0:1], 0xc9c
	s_mul_i32 s8, s6, s2
	s_mov_b32 s9, 0
	s_ashr_i32 s7, s6, 31
	s_lshl_b64 s[14:15], s[8:9], 2
	s_waitcnt lgkmcnt(0)
	s_and_b32 s10, s3, 0xffff
	v_mov_b32_e32 v1, 0
	s_add_u32 s12, s12, s14
	v_lshlrev_b32_e32 v2, 2, v0
	v_mov_b32_e32 v3, v1
	s_addc_u32 s13, s13, s15
	s_mov_b32 s11, s9
	v_lshl_add_u64 v[2:3], s[12:13], 0, v[2:3]
	s_lshl_b32 s8, s10, 2
	s_mov_b64 s[12:13], 0
	v_mov_b64_e32 v[4:5], v[0:1]
.LBB81_2:                               ; =>This Inner Loop Header: Depth=1
	global_load_dword v6, v[2:3], off
	v_lshl_add_u64 v[4:5], v[4:5], 0, s[10:11]
	v_cmp_le_u64_e32 vcc, s[6:7], v[4:5]
	v_lshl_add_u64 v[2:3], v[2:3], 0, s[8:9]
	s_or_b64 s[12:13], vcc, s[12:13]
	s_waitcnt vmcnt(0)
	v_add_f32_e32 v1, v1, v6
	s_andn2_b64 exec, exec, s[12:13]
	s_cbranch_execnz .LBB81_2
; %bb.3:
	s_or_b64 exec, exec, s[12:13]
.LBB81_4:
	s_or_b64 exec, exec, s[4:5]
	v_mbcnt_lo_u32_b32 v2, -1, 0
	v_mbcnt_hi_u32_b32 v6, -1, v2
	v_mov_b32_e32 v2, 0x80
	v_lshl_or_b32 v2, v6, 2, v2
	ds_bpermute_b32 v3, v2, v1
	v_and_b32_e32 v7, 63, v6
	v_cmp_gt_u32_e32 vcc, 48, v7
	s_waitcnt lgkmcnt(0)
	s_barrier
	v_cndmask_b32_e64 v4, 0, 16, vcc
	v_add_f32_e32 v5, v1, v3
	v_add_lshl_u32 v1, v4, v6, 2
	ds_bpermute_b32 v4, v1, v5
	v_cmp_gt_u32_e32 vcc, 56, v7
	s_waitcnt lgkmcnt(0)
	v_add_f32_e32 v5, v5, v4
	v_cndmask_b32_e64 v3, 0, 8, vcc
	v_add_lshl_u32 v3, v3, v6, 2
	ds_bpermute_b32 v8, v3, v5
	v_cmp_gt_u32_e32 vcc, 60, v7
	s_waitcnt lgkmcnt(0)
	v_add_f32_e32 v8, v5, v8
	v_cndmask_b32_e64 v4, 0, 4, vcc
	;; [unrolled: 6-line block ×3, first 2 shown]
	v_add_lshl_u32 v5, v5, v6, 2
	ds_bpermute_b32 v10, v5, v9
	v_cmp_ne_u32_e32 vcc, 63, v7
	v_and_b32_e32 v8, 63, v0
	s_waitcnt lgkmcnt(0)
	v_add_f32_e32 v7, v9, v10
	v_addc_co_u32_e32 v6, vcc, 0, v6, vcc
	v_lshlrev_b32_e32 v6, 2, v6
	ds_bpermute_b32 v9, v6, v7
	v_cmp_eq_u32_e32 vcc, 0, v8
	s_and_saveexec_b64 s[4:5], vcc
	s_cbranch_execz .LBB81_6
; %bb.5:
	s_waitcnt lgkmcnt(0)
	v_add_f32_e32 v7, v7, v9
	v_lshrrev_b32_e32 v9, 4, v0
	ds_write_b32 v9, v7
.LBB81_6:
	s_or_b64 exec, exec, s[4:5]
	s_waitcnt lgkmcnt(0)
	s_barrier
	s_load_dword s3, s[0:1], 0xc9c
	v_mov_b32_e32 v7, 0
	s_waitcnt lgkmcnt(0)
	s_bfe_u32 s3, s3, 0xa0006
	v_cmp_gt_u32_e32 vcc, s3, v0
	s_and_saveexec_b64 s[4:5], vcc
; %bb.7:
	v_lshlrev_b32_e32 v7, 2, v8
	ds_read_b32 v7, v7
; %bb.8:
	s_or_b64 exec, exec, s[4:5]
	v_cmp_gt_u32_e32 vcc, 64, v0
	s_and_saveexec_b64 s[4:5], vcc
	s_cbranch_execz .LBB81_10
; %bb.9:
	s_waitcnt lgkmcnt(0)
	ds_bpermute_b32 v2, v2, v7
	s_waitcnt lgkmcnt(0)
	v_add_f32_e32 v2, v7, v2
	ds_bpermute_b32 v1, v1, v2
	s_waitcnt lgkmcnt(0)
	v_add_f32_e32 v1, v2, v1
	;; [unrolled: 3-line block ×6, first 2 shown]
.LBB81_10:
	s_or_b64 exec, exec, s[4:5]
	s_mov_b32 s3, 0
	v_cmp_eq_u32_e32 vcc, 0, v0
	s_and_saveexec_b64 s[4:5], vcc
	s_cbranch_execz .LBB81_12
; %bb.11:
	s_lshl_b64 s[2:3], s[2:3], 3
	s_add_u32 s0, s0, s2
	s_addc_u32 s1, s1, s3
	s_load_dwordx2 s[0:1], s[0:1], 0x8
	s_waitcnt lgkmcnt(0)
	v_bfe_u32 v0, v7, 16, 1
	s_movk_i32 s4, 0x7fff
	v_add3_u32 v0, v7, v0, s4
	v_cmp_o_f32_e32 vcc, v7, v7
	v_mov_b32_e32 v1, 0x7fc0
	s_nop 0
	v_cndmask_b32_sdwa v0, v1, v0, vcc dst_sel:DWORD dst_unused:UNUSED_PAD src0_sel:DWORD src1_sel:WORD_1
	v_mov_b32_e32 v1, 0
	global_store_short v1, v0, s[0:1]
.LBB81_12:
	s_endpgm
	.section	.rodata,"a",@progbits
	.p2align	6, 0x0
	.amdhsa_kernel _ZN2at6native14lpnorm_cleanupIfLNS0_8NormTypeE1EN3c108BFloat16ELb1EfEEvPKT3_NS0_19TensorListAddressesEi
		.amdhsa_group_segment_fixed_size 2048
		.amdhsa_private_segment_fixed_size 0
		.amdhsa_kernarg_size 3472
		.amdhsa_user_sgpr_count 2
		.amdhsa_user_sgpr_dispatch_ptr 0
		.amdhsa_user_sgpr_queue_ptr 0
		.amdhsa_user_sgpr_kernarg_segment_ptr 1
		.amdhsa_user_sgpr_dispatch_id 0
		.amdhsa_user_sgpr_kernarg_preload_length 0
		.amdhsa_user_sgpr_kernarg_preload_offset 0
		.amdhsa_user_sgpr_private_segment_size 0
		.amdhsa_uses_dynamic_stack 0
		.amdhsa_enable_private_segment 0
		.amdhsa_system_sgpr_workgroup_id_x 1
		.amdhsa_system_sgpr_workgroup_id_y 0
		.amdhsa_system_sgpr_workgroup_id_z 0
		.amdhsa_system_sgpr_workgroup_info 0
		.amdhsa_system_vgpr_workitem_id 0
		.amdhsa_next_free_vgpr 11
		.amdhsa_next_free_sgpr 16
		.amdhsa_accum_offset 12
		.amdhsa_reserve_vcc 1
		.amdhsa_float_round_mode_32 0
		.amdhsa_float_round_mode_16_64 0
		.amdhsa_float_denorm_mode_32 3
		.amdhsa_float_denorm_mode_16_64 3
		.amdhsa_dx10_clamp 1
		.amdhsa_ieee_mode 1
		.amdhsa_fp16_overflow 0
		.amdhsa_tg_split 0
		.amdhsa_exception_fp_ieee_invalid_op 0
		.amdhsa_exception_fp_denorm_src 0
		.amdhsa_exception_fp_ieee_div_zero 0
		.amdhsa_exception_fp_ieee_overflow 0
		.amdhsa_exception_fp_ieee_underflow 0
		.amdhsa_exception_fp_ieee_inexact 0
		.amdhsa_exception_int_div_zero 0
	.end_amdhsa_kernel
	.section	.text._ZN2at6native14lpnorm_cleanupIfLNS0_8NormTypeE1EN3c108BFloat16ELb1EfEEvPKT3_NS0_19TensorListAddressesEi,"axG",@progbits,_ZN2at6native14lpnorm_cleanupIfLNS0_8NormTypeE1EN3c108BFloat16ELb1EfEEvPKT3_NS0_19TensorListAddressesEi,comdat
.Lfunc_end81:
	.size	_ZN2at6native14lpnorm_cleanupIfLNS0_8NormTypeE1EN3c108BFloat16ELb1EfEEvPKT3_NS0_19TensorListAddressesEi, .Lfunc_end81-_ZN2at6native14lpnorm_cleanupIfLNS0_8NormTypeE1EN3c108BFloat16ELb1EfEEvPKT3_NS0_19TensorListAddressesEi
                                        ; -- End function
	.set _ZN2at6native14lpnorm_cleanupIfLNS0_8NormTypeE1EN3c108BFloat16ELb1EfEEvPKT3_NS0_19TensorListAddressesEi.num_vgpr, 11
	.set _ZN2at6native14lpnorm_cleanupIfLNS0_8NormTypeE1EN3c108BFloat16ELb1EfEEvPKT3_NS0_19TensorListAddressesEi.num_agpr, 0
	.set _ZN2at6native14lpnorm_cleanupIfLNS0_8NormTypeE1EN3c108BFloat16ELb1EfEEvPKT3_NS0_19TensorListAddressesEi.numbered_sgpr, 16
	.set _ZN2at6native14lpnorm_cleanupIfLNS0_8NormTypeE1EN3c108BFloat16ELb1EfEEvPKT3_NS0_19TensorListAddressesEi.num_named_barrier, 0
	.set _ZN2at6native14lpnorm_cleanupIfLNS0_8NormTypeE1EN3c108BFloat16ELb1EfEEvPKT3_NS0_19TensorListAddressesEi.private_seg_size, 0
	.set _ZN2at6native14lpnorm_cleanupIfLNS0_8NormTypeE1EN3c108BFloat16ELb1EfEEvPKT3_NS0_19TensorListAddressesEi.uses_vcc, 1
	.set _ZN2at6native14lpnorm_cleanupIfLNS0_8NormTypeE1EN3c108BFloat16ELb1EfEEvPKT3_NS0_19TensorListAddressesEi.uses_flat_scratch, 0
	.set _ZN2at6native14lpnorm_cleanupIfLNS0_8NormTypeE1EN3c108BFloat16ELb1EfEEvPKT3_NS0_19TensorListAddressesEi.has_dyn_sized_stack, 0
	.set _ZN2at6native14lpnorm_cleanupIfLNS0_8NormTypeE1EN3c108BFloat16ELb1EfEEvPKT3_NS0_19TensorListAddressesEi.has_recursion, 0
	.set _ZN2at6native14lpnorm_cleanupIfLNS0_8NormTypeE1EN3c108BFloat16ELb1EfEEvPKT3_NS0_19TensorListAddressesEi.has_indirect_call, 0
	.section	.AMDGPU.csdata,"",@progbits
; Kernel info:
; codeLenInByte = 704
; TotalNumSgprs: 22
; NumVgprs: 11
; NumAgprs: 0
; TotalNumVgprs: 11
; ScratchSize: 0
; MemoryBound: 0
; FloatMode: 240
; IeeeMode: 1
; LDSByteSize: 2048 bytes/workgroup (compile time only)
; SGPRBlocks: 2
; VGPRBlocks: 1
; NumSGPRsForWavesPerEU: 22
; NumVGPRsForWavesPerEU: 11
; AccumOffset: 12
; Occupancy: 8
; WaveLimiterHint : 0
; COMPUTE_PGM_RSRC2:SCRATCH_EN: 0
; COMPUTE_PGM_RSRC2:USER_SGPR: 2
; COMPUTE_PGM_RSRC2:TRAP_HANDLER: 0
; COMPUTE_PGM_RSRC2:TGID_X_EN: 1
; COMPUTE_PGM_RSRC2:TGID_Y_EN: 0
; COMPUTE_PGM_RSRC2:TGID_Z_EN: 0
; COMPUTE_PGM_RSRC2:TIDIG_COMP_CNT: 0
; COMPUTE_PGM_RSRC3_GFX90A:ACCUM_OFFSET: 2
; COMPUTE_PGM_RSRC3_GFX90A:TG_SPLIT: 0
	.section	.text._ZN2at6native14lpnorm_cleanupIfLNS0_8NormTypeE2EN3c108BFloat16ELb1EfEEvPKT3_NS0_19TensorListAddressesEi,"axG",@progbits,_ZN2at6native14lpnorm_cleanupIfLNS0_8NormTypeE2EN3c108BFloat16ELb1EfEEvPKT3_NS0_19TensorListAddressesEi,comdat
	.protected	_ZN2at6native14lpnorm_cleanupIfLNS0_8NormTypeE2EN3c108BFloat16ELb1EfEEvPKT3_NS0_19TensorListAddressesEi ; -- Begin function _ZN2at6native14lpnorm_cleanupIfLNS0_8NormTypeE2EN3c108BFloat16ELb1EfEEvPKT3_NS0_19TensorListAddressesEi
	.globl	_ZN2at6native14lpnorm_cleanupIfLNS0_8NormTypeE2EN3c108BFloat16ELb1EfEEvPKT3_NS0_19TensorListAddressesEi
	.p2align	8
	.type	_ZN2at6native14lpnorm_cleanupIfLNS0_8NormTypeE2EN3c108BFloat16ELb1EfEEvPKT3_NS0_19TensorListAddressesEi,@function
_ZN2at6native14lpnorm_cleanupIfLNS0_8NormTypeE2EN3c108BFloat16ELb1EfEEvPKT3_NS0_19TensorListAddressesEi: ; @_ZN2at6native14lpnorm_cleanupIfLNS0_8NormTypeE2EN3c108BFloat16ELb1EfEEvPKT3_NS0_19TensorListAddressesEi
; %bb.0:
	s_load_dword s6, s[0:1], 0xc88
	v_mov_b32_e32 v1, 0
	s_waitcnt lgkmcnt(0)
	v_cmp_gt_u32_e32 vcc, s6, v0
	s_and_saveexec_b64 s[4:5], vcc
	s_cbranch_execz .LBB82_4
; %bb.1:
	s_load_dwordx2 s[12:13], s[0:1], 0x0
	s_load_dword s3, s[0:1], 0xc9c
	s_mul_i32 s8, s6, s2
	s_mov_b32 s9, 0
	s_ashr_i32 s7, s6, 31
	s_lshl_b64 s[14:15], s[8:9], 2
	s_waitcnt lgkmcnt(0)
	s_and_b32 s10, s3, 0xffff
	v_mov_b32_e32 v1, 0
	s_add_u32 s12, s12, s14
	v_lshlrev_b32_e32 v2, 2, v0
	v_mov_b32_e32 v3, v1
	s_addc_u32 s13, s13, s15
	s_mov_b32 s11, s9
	v_lshl_add_u64 v[2:3], s[12:13], 0, v[2:3]
	s_lshl_b32 s8, s10, 2
	s_mov_b64 s[12:13], 0
	v_mov_b64_e32 v[4:5], v[0:1]
.LBB82_2:                               ; =>This Inner Loop Header: Depth=1
	global_load_dword v6, v[2:3], off
	v_lshl_add_u64 v[4:5], v[4:5], 0, s[10:11]
	v_cmp_le_u64_e32 vcc, s[6:7], v[4:5]
	v_lshl_add_u64 v[2:3], v[2:3], 0, s[8:9]
	s_or_b64 s[12:13], vcc, s[12:13]
	s_waitcnt vmcnt(0)
	v_add_f32_e32 v1, v1, v6
	s_andn2_b64 exec, exec, s[12:13]
	s_cbranch_execnz .LBB82_2
; %bb.3:
	s_or_b64 exec, exec, s[12:13]
.LBB82_4:
	s_or_b64 exec, exec, s[4:5]
	v_mbcnt_lo_u32_b32 v2, -1, 0
	v_mbcnt_hi_u32_b32 v6, -1, v2
	v_mov_b32_e32 v2, 0x80
	v_lshl_or_b32 v2, v6, 2, v2
	ds_bpermute_b32 v3, v2, v1
	v_and_b32_e32 v7, 63, v6
	v_cmp_gt_u32_e32 vcc, 48, v7
	s_waitcnt lgkmcnt(0)
	s_barrier
	v_cndmask_b32_e64 v4, 0, 16, vcc
	v_add_f32_e32 v5, v1, v3
	v_add_lshl_u32 v1, v4, v6, 2
	ds_bpermute_b32 v4, v1, v5
	v_cmp_gt_u32_e32 vcc, 56, v7
	s_waitcnt lgkmcnt(0)
	v_add_f32_e32 v5, v5, v4
	v_cndmask_b32_e64 v3, 0, 8, vcc
	v_add_lshl_u32 v3, v3, v6, 2
	ds_bpermute_b32 v8, v3, v5
	v_cmp_gt_u32_e32 vcc, 60, v7
	s_waitcnt lgkmcnt(0)
	v_add_f32_e32 v8, v5, v8
	v_cndmask_b32_e64 v4, 0, 4, vcc
	;; [unrolled: 6-line block ×3, first 2 shown]
	v_add_lshl_u32 v5, v5, v6, 2
	ds_bpermute_b32 v10, v5, v9
	v_cmp_ne_u32_e32 vcc, 63, v7
	v_and_b32_e32 v8, 63, v0
	s_nop 0
	v_addc_co_u32_e32 v7, vcc, 0, v6, vcc
	s_waitcnt lgkmcnt(0)
	v_add_f32_e32 v6, v9, v10
	v_lshlrev_b32_e32 v7, 2, v7
	ds_bpermute_b32 v9, v7, v6
	v_cmp_eq_u32_e32 vcc, 0, v8
	s_and_saveexec_b64 s[4:5], vcc
	s_cbranch_execz .LBB82_6
; %bb.5:
	s_waitcnt lgkmcnt(0)
	v_add_f32_e32 v6, v6, v9
	v_lshrrev_b32_e32 v9, 4, v0
	ds_write_b32 v9, v6
.LBB82_6:
	s_or_b64 exec, exec, s[4:5]
	s_waitcnt lgkmcnt(0)
	s_barrier
	s_load_dword s3, s[0:1], 0xc9c
	v_mov_b32_e32 v6, 0
	s_waitcnt lgkmcnt(0)
	s_bfe_u32 s3, s3, 0xa0006
	v_cmp_gt_u32_e32 vcc, s3, v0
	s_and_saveexec_b64 s[4:5], vcc
; %bb.7:
	v_lshlrev_b32_e32 v6, 2, v8
	ds_read_b32 v6, v6
; %bb.8:
	s_or_b64 exec, exec, s[4:5]
	v_cmp_gt_u32_e32 vcc, 64, v0
	s_and_saveexec_b64 s[4:5], vcc
	s_cbranch_execz .LBB82_10
; %bb.9:
	s_waitcnt lgkmcnt(0)
	ds_bpermute_b32 v2, v2, v6
	s_waitcnt lgkmcnt(0)
	v_add_f32_e32 v2, v6, v2
	ds_bpermute_b32 v1, v1, v2
	s_waitcnt lgkmcnt(0)
	v_add_f32_e32 v1, v2, v1
	;; [unrolled: 3-line block ×6, first 2 shown]
.LBB82_10:
	s_or_b64 exec, exec, s[4:5]
	s_mov_b32 s3, 0
	v_cmp_eq_u32_e32 vcc, 0, v0
	s_and_saveexec_b64 s[4:5], vcc
	s_cbranch_execz .LBB82_12
; %bb.11:
	s_mov_b32 s4, 0xf800000
	s_waitcnt lgkmcnt(0)
	v_mul_f32_e32 v0, 0x4f800000, v6
	v_cmp_gt_f32_e32 vcc, s4, v6
	s_lshl_b64 s[2:3], s[2:3], 3
	s_add_u32 s0, s0, s2
	v_cndmask_b32_e32 v0, v6, v0, vcc
	v_sqrt_f32_e32 v1, v0
	s_addc_u32 s1, s1, s3
	s_load_dwordx2 s[0:1], s[0:1], 0x8
	v_add_u32_e32 v2, -1, v1
	v_fma_f32 v3, -v2, v1, v0
	v_cmp_ge_f32_e64 s[4:5], 0, v3
	v_add_u32_e32 v3, 1, v1
	s_nop 0
	v_cndmask_b32_e64 v2, v1, v2, s[4:5]
	v_fma_f32 v1, -v3, v1, v0
	v_cmp_lt_f32_e64 s[4:5], 0, v1
	s_nop 1
	v_cndmask_b32_e64 v1, v2, v3, s[4:5]
	v_mul_f32_e32 v2, 0x37800000, v1
	v_cndmask_b32_e32 v1, v1, v2, vcc
	v_mov_b32_e32 v2, 0x260
	v_cmp_class_f32_e32 vcc, v0, v2
	s_movk_i32 s4, 0x7fff
	s_nop 0
	v_cndmask_b32_e32 v0, v1, v0, vcc
	v_bfe_u32 v1, v0, 16, 1
	v_add3_u32 v0, v0, v1, s4
	v_cmp_le_f32_e32 vcc, 0, v6
	v_mov_b32_e32 v1, 0x7fc0
	s_nop 0
	v_cndmask_b32_sdwa v0, v1, v0, vcc dst_sel:DWORD dst_unused:UNUSED_PAD src0_sel:DWORD src1_sel:WORD_1
	v_mov_b32_e32 v1, 0
	s_waitcnt lgkmcnt(0)
	global_store_short v1, v0, s[0:1]
.LBB82_12:
	s_endpgm
	.section	.rodata,"a",@progbits
	.p2align	6, 0x0
	.amdhsa_kernel _ZN2at6native14lpnorm_cleanupIfLNS0_8NormTypeE2EN3c108BFloat16ELb1EfEEvPKT3_NS0_19TensorListAddressesEi
		.amdhsa_group_segment_fixed_size 2048
		.amdhsa_private_segment_fixed_size 0
		.amdhsa_kernarg_size 3472
		.amdhsa_user_sgpr_count 2
		.amdhsa_user_sgpr_dispatch_ptr 0
		.amdhsa_user_sgpr_queue_ptr 0
		.amdhsa_user_sgpr_kernarg_segment_ptr 1
		.amdhsa_user_sgpr_dispatch_id 0
		.amdhsa_user_sgpr_kernarg_preload_length 0
		.amdhsa_user_sgpr_kernarg_preload_offset 0
		.amdhsa_user_sgpr_private_segment_size 0
		.amdhsa_uses_dynamic_stack 0
		.amdhsa_enable_private_segment 0
		.amdhsa_system_sgpr_workgroup_id_x 1
		.amdhsa_system_sgpr_workgroup_id_y 0
		.amdhsa_system_sgpr_workgroup_id_z 0
		.amdhsa_system_sgpr_workgroup_info 0
		.amdhsa_system_vgpr_workitem_id 0
		.amdhsa_next_free_vgpr 11
		.amdhsa_next_free_sgpr 16
		.amdhsa_accum_offset 12
		.amdhsa_reserve_vcc 1
		.amdhsa_float_round_mode_32 0
		.amdhsa_float_round_mode_16_64 0
		.amdhsa_float_denorm_mode_32 3
		.amdhsa_float_denorm_mode_16_64 3
		.amdhsa_dx10_clamp 1
		.amdhsa_ieee_mode 1
		.amdhsa_fp16_overflow 0
		.amdhsa_tg_split 0
		.amdhsa_exception_fp_ieee_invalid_op 0
		.amdhsa_exception_fp_denorm_src 0
		.amdhsa_exception_fp_ieee_div_zero 0
		.amdhsa_exception_fp_ieee_overflow 0
		.amdhsa_exception_fp_ieee_underflow 0
		.amdhsa_exception_fp_ieee_inexact 0
		.amdhsa_exception_int_div_zero 0
	.end_amdhsa_kernel
	.section	.text._ZN2at6native14lpnorm_cleanupIfLNS0_8NormTypeE2EN3c108BFloat16ELb1EfEEvPKT3_NS0_19TensorListAddressesEi,"axG",@progbits,_ZN2at6native14lpnorm_cleanupIfLNS0_8NormTypeE2EN3c108BFloat16ELb1EfEEvPKT3_NS0_19TensorListAddressesEi,comdat
.Lfunc_end82:
	.size	_ZN2at6native14lpnorm_cleanupIfLNS0_8NormTypeE2EN3c108BFloat16ELb1EfEEvPKT3_NS0_19TensorListAddressesEi, .Lfunc_end82-_ZN2at6native14lpnorm_cleanupIfLNS0_8NormTypeE2EN3c108BFloat16ELb1EfEEvPKT3_NS0_19TensorListAddressesEi
                                        ; -- End function
	.set _ZN2at6native14lpnorm_cleanupIfLNS0_8NormTypeE2EN3c108BFloat16ELb1EfEEvPKT3_NS0_19TensorListAddressesEi.num_vgpr, 11
	.set _ZN2at6native14lpnorm_cleanupIfLNS0_8NormTypeE2EN3c108BFloat16ELb1EfEEvPKT3_NS0_19TensorListAddressesEi.num_agpr, 0
	.set _ZN2at6native14lpnorm_cleanupIfLNS0_8NormTypeE2EN3c108BFloat16ELb1EfEEvPKT3_NS0_19TensorListAddressesEi.numbered_sgpr, 16
	.set _ZN2at6native14lpnorm_cleanupIfLNS0_8NormTypeE2EN3c108BFloat16ELb1EfEEvPKT3_NS0_19TensorListAddressesEi.num_named_barrier, 0
	.set _ZN2at6native14lpnorm_cleanupIfLNS0_8NormTypeE2EN3c108BFloat16ELb1EfEEvPKT3_NS0_19TensorListAddressesEi.private_seg_size, 0
	.set _ZN2at6native14lpnorm_cleanupIfLNS0_8NormTypeE2EN3c108BFloat16ELb1EfEEvPKT3_NS0_19TensorListAddressesEi.uses_vcc, 1
	.set _ZN2at6native14lpnorm_cleanupIfLNS0_8NormTypeE2EN3c108BFloat16ELb1EfEEvPKT3_NS0_19TensorListAddressesEi.uses_flat_scratch, 0
	.set _ZN2at6native14lpnorm_cleanupIfLNS0_8NormTypeE2EN3c108BFloat16ELb1EfEEvPKT3_NS0_19TensorListAddressesEi.has_dyn_sized_stack, 0
	.set _ZN2at6native14lpnorm_cleanupIfLNS0_8NormTypeE2EN3c108BFloat16ELb1EfEEvPKT3_NS0_19TensorListAddressesEi.has_recursion, 0
	.set _ZN2at6native14lpnorm_cleanupIfLNS0_8NormTypeE2EN3c108BFloat16ELb1EfEEvPKT3_NS0_19TensorListAddressesEi.has_indirect_call, 0
	.section	.AMDGPU.csdata,"",@progbits
; Kernel info:
; codeLenInByte = 836
; TotalNumSgprs: 22
; NumVgprs: 11
; NumAgprs: 0
; TotalNumVgprs: 11
; ScratchSize: 0
; MemoryBound: 0
; FloatMode: 240
; IeeeMode: 1
; LDSByteSize: 2048 bytes/workgroup (compile time only)
; SGPRBlocks: 2
; VGPRBlocks: 1
; NumSGPRsForWavesPerEU: 22
; NumVGPRsForWavesPerEU: 11
; AccumOffset: 12
; Occupancy: 8
; WaveLimiterHint : 0
; COMPUTE_PGM_RSRC2:SCRATCH_EN: 0
; COMPUTE_PGM_RSRC2:USER_SGPR: 2
; COMPUTE_PGM_RSRC2:TRAP_HANDLER: 0
; COMPUTE_PGM_RSRC2:TGID_X_EN: 1
; COMPUTE_PGM_RSRC2:TGID_Y_EN: 0
; COMPUTE_PGM_RSRC2:TGID_Z_EN: 0
; COMPUTE_PGM_RSRC2:TIDIG_COMP_CNT: 0
; COMPUTE_PGM_RSRC3_GFX90A:ACCUM_OFFSET: 2
; COMPUTE_PGM_RSRC3_GFX90A:TG_SPLIT: 0
	.section	.text._ZN2at6native14lpnorm_cleanupIfLNS0_8NormTypeE3EN3c108BFloat16ELb1EfEEvPKT3_NS0_19TensorListAddressesEi,"axG",@progbits,_ZN2at6native14lpnorm_cleanupIfLNS0_8NormTypeE3EN3c108BFloat16ELb1EfEEvPKT3_NS0_19TensorListAddressesEi,comdat
	.protected	_ZN2at6native14lpnorm_cleanupIfLNS0_8NormTypeE3EN3c108BFloat16ELb1EfEEvPKT3_NS0_19TensorListAddressesEi ; -- Begin function _ZN2at6native14lpnorm_cleanupIfLNS0_8NormTypeE3EN3c108BFloat16ELb1EfEEvPKT3_NS0_19TensorListAddressesEi
	.globl	_ZN2at6native14lpnorm_cleanupIfLNS0_8NormTypeE3EN3c108BFloat16ELb1EfEEvPKT3_NS0_19TensorListAddressesEi
	.p2align	8
	.type	_ZN2at6native14lpnorm_cleanupIfLNS0_8NormTypeE3EN3c108BFloat16ELb1EfEEvPKT3_NS0_19TensorListAddressesEi,@function
_ZN2at6native14lpnorm_cleanupIfLNS0_8NormTypeE3EN3c108BFloat16ELb1EfEEvPKT3_NS0_19TensorListAddressesEi: ; @_ZN2at6native14lpnorm_cleanupIfLNS0_8NormTypeE3EN3c108BFloat16ELb1EfEEvPKT3_NS0_19TensorListAddressesEi
; %bb.0:
	s_load_dword s10, s[0:1], 0xc88
	v_mov_b32_e32 v1, 0
	s_waitcnt lgkmcnt(0)
	v_cmp_gt_u32_e32 vcc, s10, v0
	s_and_saveexec_b64 s[8:9], vcc
	s_cbranch_execz .LBB83_4
; %bb.1:
	s_load_dwordx2 s[4:5], s[0:1], 0x0
	s_load_dword s3, s[0:1], 0xc9c
	s_mul_i32 s12, s10, s2
	s_mov_b32 s13, 0
	s_ashr_i32 s11, s10, 31
	s_lshl_b64 s[6:7], s[12:13], 2
	s_waitcnt lgkmcnt(0)
	s_and_b32 s14, s3, 0xffff
	v_mov_b32_e32 v1, 0
	s_add_u32 s4, s4, s6
	v_lshlrev_b32_e32 v2, 2, v0
	v_mov_b32_e32 v3, v1
	s_addc_u32 s5, s5, s7
	s_mov_b32 s15, s13
	v_lshl_add_u64 v[2:3], s[4:5], 0, v[2:3]
	s_lshl_b32 s12, s14, 2
	s_mov_b64 s[16:17], 0
	v_mov_b64_e32 v[4:5], v[0:1]
.LBB83_2:                               ; =>This Inner Loop Header: Depth=1
	global_load_dword v6, v[2:3], off
	v_lshl_add_u64 v[4:5], v[4:5], 0, s[14:15]
	v_cmp_le_u64_e32 vcc, s[10:11], v[4:5]
	v_lshl_add_u64 v[2:3], v[2:3], 0, s[12:13]
	s_waitcnt vmcnt(0)
	v_cmp_u_f32_e64 s[4:5], v6, v6
	v_cmp_lt_f32_e64 s[6:7], v1, v6
	s_or_b64 s[4:5], s[4:5], s[6:7]
	s_or_b64 s[16:17], vcc, s[16:17]
	v_cndmask_b32_e64 v1, v1, v6, s[4:5]
	s_andn2_b64 exec, exec, s[16:17]
	s_cbranch_execnz .LBB83_2
; %bb.3:
	s_or_b64 exec, exec, s[16:17]
.LBB83_4:
	s_or_b64 exec, exec, s[8:9]
	v_mbcnt_lo_u32_b32 v2, -1, 0
	v_mbcnt_hi_u32_b32 v6, -1, v2
	v_mov_b32_e32 v2, 0x80
	v_lshl_or_b32 v2, v6, 2, v2
	ds_bpermute_b32 v3, v2, v1
	v_and_b32_e32 v9, 63, v6
	s_waitcnt lgkmcnt(0)
	s_barrier
	v_cmp_u_f32_e32 vcc, v3, v3
	v_cmp_lt_f32_e64 s[4:5], v1, v3
	s_or_b64 vcc, vcc, s[4:5]
	v_cndmask_b32_e32 v3, v1, v3, vcc
	v_cmp_gt_u32_e32 vcc, 48, v9
	s_nop 1
	v_cndmask_b32_e64 v1, 0, 16, vcc
	v_add_lshl_u32 v1, v1, v6, 2
	ds_bpermute_b32 v4, v1, v3
	s_waitcnt lgkmcnt(0)
	v_cmp_u_f32_e32 vcc, v4, v4
	v_cmp_lt_f32_e64 s[4:5], v3, v4
	s_or_b64 vcc, vcc, s[4:5]
	v_cndmask_b32_e32 v4, v3, v4, vcc
	v_cmp_gt_u32_e32 vcc, 56, v9
	s_nop 1
	v_cndmask_b32_e64 v3, 0, 8, vcc
	v_add_lshl_u32 v3, v3, v6, 2
	ds_bpermute_b32 v5, v3, v4
	s_waitcnt lgkmcnt(0)
	;; [unrolled: 10-line block ×3, first 2 shown]
	v_cmp_u_f32_e32 vcc, v7, v7
	v_cmp_lt_f32_e64 s[4:5], v5, v7
	s_or_b64 vcc, vcc, s[4:5]
	v_cndmask_b32_e32 v8, v5, v7, vcc
	v_cmp_gt_u32_e32 vcc, 62, v9
	v_and_b32_e32 v7, 63, v0
	s_nop 0
	v_cndmask_b32_e64 v5, 0, 2, vcc
	v_add_lshl_u32 v5, v5, v6, 2
	ds_bpermute_b32 v10, v5, v8
	s_waitcnt lgkmcnt(0)
	v_cmp_u_f32_e32 vcc, v10, v10
	v_cmp_lt_f32_e64 s[4:5], v8, v10
	s_or_b64 vcc, vcc, s[4:5]
	v_cndmask_b32_e32 v8, v8, v10, vcc
	v_cmp_ne_u32_e32 vcc, 63, v9
	s_nop 1
	v_addc_co_u32_e32 v6, vcc, 0, v6, vcc
	v_lshlrev_b32_e32 v6, 2, v6
	ds_bpermute_b32 v9, v6, v8
	v_cmp_eq_u32_e32 vcc, 0, v7
	s_and_saveexec_b64 s[6:7], vcc
	s_cbranch_execz .LBB83_6
; %bb.5:
	s_waitcnt lgkmcnt(0)
	v_cmp_u_f32_e32 vcc, v9, v9
	v_cmp_lt_f32_e64 s[4:5], v8, v9
	s_or_b64 vcc, vcc, s[4:5]
	v_cndmask_b32_e32 v8, v8, v9, vcc
	v_lshrrev_b32_e32 v9, 4, v0
	ds_write_b32 v9, v8
.LBB83_6:
	s_or_b64 exec, exec, s[6:7]
	s_waitcnt lgkmcnt(0)
	s_barrier
	s_load_dword s3, s[0:1], 0xc9c
	v_mov_b32_e32 v8, 0xff7fffff
	s_waitcnt lgkmcnt(0)
	s_bfe_u32 s3, s3, 0xa0006
	v_cmp_gt_u32_e32 vcc, s3, v0
	s_and_saveexec_b64 s[4:5], vcc
; %bb.7:
	v_lshlrev_b32_e32 v7, 2, v7
	ds_read_b32 v8, v7
; %bb.8:
	s_or_b64 exec, exec, s[4:5]
	v_cmp_gt_u32_e32 vcc, 64, v0
	s_and_saveexec_b64 s[6:7], vcc
	s_cbranch_execz .LBB83_10
; %bb.9:
	s_waitcnt lgkmcnt(0)
	ds_bpermute_b32 v2, v2, v8
	s_waitcnt lgkmcnt(0)
	v_cmp_u_f32_e32 vcc, v2, v2
	v_cmp_lt_f32_e64 s[4:5], v8, v2
	s_or_b64 vcc, vcc, s[4:5]
	v_cndmask_b32_e32 v2, v8, v2, vcc
	ds_bpermute_b32 v1, v1, v2
	s_waitcnt lgkmcnt(0)
	v_cmp_u_f32_e32 vcc, v1, v1
	v_cmp_lt_f32_e64 s[4:5], v2, v1
	s_or_b64 vcc, vcc, s[4:5]
	v_cndmask_b32_e32 v1, v2, v1, vcc
	;; [unrolled: 6-line block ×6, first 2 shown]
.LBB83_10:
	s_or_b64 exec, exec, s[6:7]
	s_mov_b32 s3, 0
	v_cmp_eq_u32_e32 vcc, 0, v0
	s_and_saveexec_b64 s[4:5], vcc
	s_cbranch_execz .LBB83_12
; %bb.11:
	s_lshl_b64 s[2:3], s[2:3], 3
	s_add_u32 s0, s0, s2
	s_addc_u32 s1, s1, s3
	s_load_dwordx2 s[0:1], s[0:1], 0x8
	s_waitcnt lgkmcnt(0)
	v_bfe_u32 v0, v8, 16, 1
	s_movk_i32 s4, 0x7fff
	v_add3_u32 v0, v8, v0, s4
	v_cmp_o_f32_e32 vcc, v8, v8
	v_mov_b32_e32 v1, 0x7fc0
	s_nop 0
	v_cndmask_b32_sdwa v0, v1, v0, vcc dst_sel:DWORD dst_unused:UNUSED_PAD src0_sel:DWORD src1_sel:WORD_1
	v_mov_b32_e32 v1, 0
	global_store_short v1, v0, s[0:1]
.LBB83_12:
	s_endpgm
	.section	.rodata,"a",@progbits
	.p2align	6, 0x0
	.amdhsa_kernel _ZN2at6native14lpnorm_cleanupIfLNS0_8NormTypeE3EN3c108BFloat16ELb1EfEEvPKT3_NS0_19TensorListAddressesEi
		.amdhsa_group_segment_fixed_size 2048
		.amdhsa_private_segment_fixed_size 0
		.amdhsa_kernarg_size 3472
		.amdhsa_user_sgpr_count 2
		.amdhsa_user_sgpr_dispatch_ptr 0
		.amdhsa_user_sgpr_queue_ptr 0
		.amdhsa_user_sgpr_kernarg_segment_ptr 1
		.amdhsa_user_sgpr_dispatch_id 0
		.amdhsa_user_sgpr_kernarg_preload_length 0
		.amdhsa_user_sgpr_kernarg_preload_offset 0
		.amdhsa_user_sgpr_private_segment_size 0
		.amdhsa_uses_dynamic_stack 0
		.amdhsa_enable_private_segment 0
		.amdhsa_system_sgpr_workgroup_id_x 1
		.amdhsa_system_sgpr_workgroup_id_y 0
		.amdhsa_system_sgpr_workgroup_id_z 0
		.amdhsa_system_sgpr_workgroup_info 0
		.amdhsa_system_vgpr_workitem_id 0
		.amdhsa_next_free_vgpr 11
		.amdhsa_next_free_sgpr 18
		.amdhsa_accum_offset 12
		.amdhsa_reserve_vcc 1
		.amdhsa_float_round_mode_32 0
		.amdhsa_float_round_mode_16_64 0
		.amdhsa_float_denorm_mode_32 3
		.amdhsa_float_denorm_mode_16_64 3
		.amdhsa_dx10_clamp 1
		.amdhsa_ieee_mode 1
		.amdhsa_fp16_overflow 0
		.amdhsa_tg_split 0
		.amdhsa_exception_fp_ieee_invalid_op 0
		.amdhsa_exception_fp_denorm_src 0
		.amdhsa_exception_fp_ieee_div_zero 0
		.amdhsa_exception_fp_ieee_overflow 0
		.amdhsa_exception_fp_ieee_underflow 0
		.amdhsa_exception_fp_ieee_inexact 0
		.amdhsa_exception_int_div_zero 0
	.end_amdhsa_kernel
	.section	.text._ZN2at6native14lpnorm_cleanupIfLNS0_8NormTypeE3EN3c108BFloat16ELb1EfEEvPKT3_NS0_19TensorListAddressesEi,"axG",@progbits,_ZN2at6native14lpnorm_cleanupIfLNS0_8NormTypeE3EN3c108BFloat16ELb1EfEEvPKT3_NS0_19TensorListAddressesEi,comdat
.Lfunc_end83:
	.size	_ZN2at6native14lpnorm_cleanupIfLNS0_8NormTypeE3EN3c108BFloat16ELb1EfEEvPKT3_NS0_19TensorListAddressesEi, .Lfunc_end83-_ZN2at6native14lpnorm_cleanupIfLNS0_8NormTypeE3EN3c108BFloat16ELb1EfEEvPKT3_NS0_19TensorListAddressesEi
                                        ; -- End function
	.set _ZN2at6native14lpnorm_cleanupIfLNS0_8NormTypeE3EN3c108BFloat16ELb1EfEEvPKT3_NS0_19TensorListAddressesEi.num_vgpr, 11
	.set _ZN2at6native14lpnorm_cleanupIfLNS0_8NormTypeE3EN3c108BFloat16ELb1EfEEvPKT3_NS0_19TensorListAddressesEi.num_agpr, 0
	.set _ZN2at6native14lpnorm_cleanupIfLNS0_8NormTypeE3EN3c108BFloat16ELb1EfEEvPKT3_NS0_19TensorListAddressesEi.numbered_sgpr, 18
	.set _ZN2at6native14lpnorm_cleanupIfLNS0_8NormTypeE3EN3c108BFloat16ELb1EfEEvPKT3_NS0_19TensorListAddressesEi.num_named_barrier, 0
	.set _ZN2at6native14lpnorm_cleanupIfLNS0_8NormTypeE3EN3c108BFloat16ELb1EfEEvPKT3_NS0_19TensorListAddressesEi.private_seg_size, 0
	.set _ZN2at6native14lpnorm_cleanupIfLNS0_8NormTypeE3EN3c108BFloat16ELb1EfEEvPKT3_NS0_19TensorListAddressesEi.uses_vcc, 1
	.set _ZN2at6native14lpnorm_cleanupIfLNS0_8NormTypeE3EN3c108BFloat16ELb1EfEEvPKT3_NS0_19TensorListAddressesEi.uses_flat_scratch, 0
	.set _ZN2at6native14lpnorm_cleanupIfLNS0_8NormTypeE3EN3c108BFloat16ELb1EfEEvPKT3_NS0_19TensorListAddressesEi.has_dyn_sized_stack, 0
	.set _ZN2at6native14lpnorm_cleanupIfLNS0_8NormTypeE3EN3c108BFloat16ELb1EfEEvPKT3_NS0_19TensorListAddressesEi.has_recursion, 0
	.set _ZN2at6native14lpnorm_cleanupIfLNS0_8NormTypeE3EN3c108BFloat16ELb1EfEEvPKT3_NS0_19TensorListAddressesEi.has_indirect_call, 0
	.section	.AMDGPU.csdata,"",@progbits
; Kernel info:
; codeLenInByte = 944
; TotalNumSgprs: 24
; NumVgprs: 11
; NumAgprs: 0
; TotalNumVgprs: 11
; ScratchSize: 0
; MemoryBound: 0
; FloatMode: 240
; IeeeMode: 1
; LDSByteSize: 2048 bytes/workgroup (compile time only)
; SGPRBlocks: 2
; VGPRBlocks: 1
; NumSGPRsForWavesPerEU: 24
; NumVGPRsForWavesPerEU: 11
; AccumOffset: 12
; Occupancy: 8
; WaveLimiterHint : 0
; COMPUTE_PGM_RSRC2:SCRATCH_EN: 0
; COMPUTE_PGM_RSRC2:USER_SGPR: 2
; COMPUTE_PGM_RSRC2:TRAP_HANDLER: 0
; COMPUTE_PGM_RSRC2:TGID_X_EN: 1
; COMPUTE_PGM_RSRC2:TGID_Y_EN: 0
; COMPUTE_PGM_RSRC2:TGID_Z_EN: 0
; COMPUTE_PGM_RSRC2:TIDIG_COMP_CNT: 0
; COMPUTE_PGM_RSRC3_GFX90A:ACCUM_OFFSET: 2
; COMPUTE_PGM_RSRC3_GFX90A:TG_SPLIT: 0
	.section	.text._ZN2at6native12_GLOBAL__N_125multi_tensor_apply_kernelINS1_18TensorListMetadataILi1EEENS0_13LpNormFunctorIN3c104HalfELNS0_8NormTypeE0EdLi1ELi1ELi0EEEJPdiEEEvT_T0_DpT1_,"axG",@progbits,_ZN2at6native12_GLOBAL__N_125multi_tensor_apply_kernelINS1_18TensorListMetadataILi1EEENS0_13LpNormFunctorIN3c104HalfELNS0_8NormTypeE0EdLi1ELi1ELi0EEEJPdiEEEvT_T0_DpT1_,comdat
	.globl	_ZN2at6native12_GLOBAL__N_125multi_tensor_apply_kernelINS1_18TensorListMetadataILi1EEENS0_13LpNormFunctorIN3c104HalfELNS0_8NormTypeE0EdLi1ELi1ELi0EEEJPdiEEEvT_T0_DpT1_ ; -- Begin function _ZN2at6native12_GLOBAL__N_125multi_tensor_apply_kernelINS1_18TensorListMetadataILi1EEENS0_13LpNormFunctorIN3c104HalfELNS0_8NormTypeE0EdLi1ELi1ELi0EEEJPdiEEEvT_T0_DpT1_
	.p2align	8
	.type	_ZN2at6native12_GLOBAL__N_125multi_tensor_apply_kernelINS1_18TensorListMetadataILi1EEENS0_13LpNormFunctorIN3c104HalfELNS0_8NormTypeE0EdLi1ELi1ELi0EEEJPdiEEEvT_T0_DpT1_,@function
_ZN2at6native12_GLOBAL__N_125multi_tensor_apply_kernelINS1_18TensorListMetadataILi1EEENS0_13LpNormFunctorIN3c104HalfELNS0_8NormTypeE0EdLi1ELi1ELi0EEEJPdiEEEvT_T0_DpT1_: ; @_ZN2at6native12_GLOBAL__N_125multi_tensor_apply_kernelINS1_18TensorListMetadataILi1EEENS0_13LpNormFunctorIN3c104HalfELNS0_8NormTypeE0EdLi1ELi1ELi0EEEJPdiEEEvT_T0_DpT1_
; %bb.0:
	v_mov_b32_e32 v1, s2
	global_load_ubyte v1, v1, s[0:1] offset:1760
	s_add_u32 s3, s0, s2
	s_mul_hi_u32 s4, s2, 3
	s_mul_i32 s2, s2, 3
	s_addc_u32 s5, s1, 0
	s_add_u32 s2, s3, s2
	s_addc_u32 s3, s5, s4
	s_load_dword s6, s[2:3], 0x820
	s_mov_b32 s15, 0
	s_waitcnt vmcnt(0)
	v_readfirstlane_b32 s2, v1
	s_and_b32 s18, s2, 0xff
	s_lshl_b32 s7, s18, 3
	s_load_dwordx2 s[2:3], s[0:1], s7 offset:0x370
	s_load_dwordx2 s[4:5], s[0:1], s7 offset:0x0
	s_waitcnt lgkmcnt(0)
	s_ashr_i32 s7, s6, 31
	s_lshl_b64 s[10:11], s[6:7], 16
	s_lshl_b64 s[8:9], s[6:7], 17
	s_add_u32 s12, s4, s8
	s_addc_u32 s13, s5, s9
	s_sub_u32 s10, s2, s10
	s_subb_u32 s11, s3, s11
	s_and_b32 s14, s2, 3
	s_and_b32 s2, s12, 7
	s_mov_b32 s3, s15
	s_or_b64 s[2:3], s[14:15], s[2:3]
	s_cmp_eq_u64 s[2:3], 0
	s_cbranch_scc1 .LBB84_12
; %bb.1:
	v_cmp_lt_i64_e64 s[2:3], s[10:11], 1
	s_and_b64 vcc, exec, s[2:3]
	s_cbranch_vccnz .LBB84_13
; %bb.2:
	v_mov_b64_e32 v[2:3], 0x10000
	v_cmp_lt_i64_e32 vcc, s[10:11], v[2:3]
	s_and_b64 s[2:3], vcc, exec
	s_load_dword s2, s[0:1], 0xd4c
	v_mov_b32_e32 v11, 0
	v_mov_b32_e32 v10, v11
	s_cselect_b32 s15, s11, 0
	s_cselect_b32 s14, s10, 0x10000
	s_waitcnt lgkmcnt(0)
	s_and_b32 s16, s2, 0xffff
	v_mov_b32_e32 v12, v11
	v_mov_b32_e32 v13, v11
	;; [unrolled: 1-line block ×6, first 2 shown]
	v_mov_b64_e32 v[2:3], v[10:11]
	s_mov_b32 s7, 0x10000
	s_lshl_b32 s19, s16, 2
	v_lshl_add_u32 v18, s16, 1, v0
	v_mad_u64_u32 v[20:21], s[2:3], s16, 3, v[0:1]
	v_add_u32_e32 v22, s16, v0
	s_mov_b64 s[16:17], 0
	v_mov_b32_e32 v1, 0x3ff00000
	v_mov_b64_e32 v[4:5], v[12:13]
	v_mov_b64_e32 v[6:7], v[14:15]
	;; [unrolled: 1-line block ×3, first 2 shown]
	s_branch .LBB84_4
.LBB84_3:                               ;   in Loop: Header=BB84_4 Depth=1
	s_or_b64 exec, exec, s[2:3]
	s_add_u32 s16, s16, s19
	s_addc_u32 s17, s17, 0
	v_mov_b64_e32 v[12:13], s[14:15]
	v_cmp_lt_i64_e32 vcc, s[16:17], v[12:13]
	s_cbranch_vccz .LBB84_14
.LBB84_4:                               ; =>This Inner Loop Header: Depth=1
	v_add_u32_e32 v10, s16, v0
	v_cmp_gt_i64_e32 vcc, s[10:11], v[10:11]
	v_cmp_gt_u32_e64 s[2:3], s7, v10
	s_and_b64 s[20:21], s[2:3], vcc
	s_and_saveexec_b64 s[2:3], s[20:21]
	s_cbranch_execz .LBB84_6
; %bb.5:                                ;   in Loop: Header=BB84_4 Depth=1
	v_lshl_add_u64 v[12:13], v[10:11], 1, s[12:13]
	global_load_ushort v10, v[12:13], off
	v_mov_b32_e32 v12, v11
	s_waitcnt vmcnt(0)
	v_cmp_neq_f16_e32 vcc, 0, v10
	s_nop 1
	v_cndmask_b32_e32 v13, 0, v1, vcc
	v_add_f64 v[2:3], v[2:3], v[12:13]
.LBB84_6:                               ;   in Loop: Header=BB84_4 Depth=1
	s_or_b64 exec, exec, s[2:3]
	v_add_u32_e32 v10, s16, v22
	v_cmp_gt_i64_e32 vcc, s[10:11], v[10:11]
	v_cmp_gt_u32_e64 s[2:3], s7, v10
	s_and_b64 s[20:21], s[2:3], vcc
	s_and_saveexec_b64 s[2:3], s[20:21]
	s_cbranch_execz .LBB84_8
; %bb.7:                                ;   in Loop: Header=BB84_4 Depth=1
	v_lshl_add_u64 v[12:13], v[10:11], 1, s[12:13]
	global_load_ushort v10, v[12:13], off
	v_mov_b32_e32 v12, v11
	s_waitcnt vmcnt(0)
	v_cmp_neq_f16_e32 vcc, 0, v10
	s_nop 1
	v_cndmask_b32_e32 v13, 0, v1, vcc
	v_add_f64 v[4:5], v[4:5], v[12:13]
.LBB84_8:                               ;   in Loop: Header=BB84_4 Depth=1
	s_or_b64 exec, exec, s[2:3]
	v_add_u32_e32 v10, s16, v18
	v_cmp_gt_i64_e32 vcc, s[10:11], v[10:11]
	v_cmp_gt_u32_e64 s[2:3], s7, v10
	s_and_b64 s[20:21], s[2:3], vcc
	s_and_saveexec_b64 s[2:3], s[20:21]
	s_cbranch_execz .LBB84_10
; %bb.9:                                ;   in Loop: Header=BB84_4 Depth=1
	v_lshl_add_u64 v[12:13], v[10:11], 1, s[12:13]
	global_load_ushort v10, v[12:13], off
	v_mov_b32_e32 v12, v11
	s_waitcnt vmcnt(0)
	v_cmp_neq_f16_e32 vcc, 0, v10
	s_nop 1
	v_cndmask_b32_e32 v13, 0, v1, vcc
	v_add_f64 v[6:7], v[6:7], v[12:13]
.LBB84_10:                              ;   in Loop: Header=BB84_4 Depth=1
	s_or_b64 exec, exec, s[2:3]
	v_add_u32_e32 v10, s16, v20
	v_cmp_gt_i64_e32 vcc, s[10:11], v[10:11]
	v_cmp_gt_u32_e64 s[2:3], s7, v10
	s_and_b64 s[20:21], s[2:3], vcc
	s_and_saveexec_b64 s[2:3], s[20:21]
	s_cbranch_execz .LBB84_3
; %bb.11:                               ;   in Loop: Header=BB84_4 Depth=1
	v_lshl_add_u64 v[12:13], v[10:11], 1, s[12:13]
	global_load_ushort v10, v[12:13], off
	v_mov_b32_e32 v12, v11
	s_waitcnt vmcnt(0)
	v_cmp_neq_f16_e32 vcc, 0, v10
	s_nop 1
	v_cndmask_b32_e32 v13, 0, v1, vcc
	v_add_f64 v[8:9], v[8:9], v[12:13]
	s_branch .LBB84_3
.LBB84_12:
                                        ; implicit-def: $vgpr2_vgpr3_vgpr4_vgpr5_vgpr6_vgpr7_vgpr8_vgpr9
	s_branch .LBB84_15
.LBB84_13:
	v_mov_b32_e32 v2, 0
	v_mov_b32_e32 v3, v2
	;; [unrolled: 1-line block ×8, first 2 shown]
.LBB84_14:
	s_cbranch_execnz .LBB84_20
.LBB84_15:
	v_mov_b64_e32 v[4:5], 0x10000
	v_cmp_lt_i64_e32 vcc, s[10:11], v[4:5]
	v_mov_b32_e32 v2, 0
	s_and_b64 s[2:3], vcc, exec
	s_cselect_b32 s11, s11, 0
	s_cselect_b32 s10, s10, 0x10000
	v_lshlrev_b32_e32 v4, 2, v0
	v_mov_b32_e32 v5, v2
	s_mov_b32 s13, 0
	v_cmp_gt_i64_e32 vcc, s[10:11], v[4:5]
	v_mov_b32_e32 v3, v2
	v_mov_b32_e32 v4, v2
	;; [unrolled: 1-line block ×6, first 2 shown]
	s_and_saveexec_b64 s[14:15], vcc
	s_cbranch_execz .LBB84_19
; %bb.16:
	s_load_dword s2, s[0:1], 0xd4c
	v_lshlrev_b32_e32 v4, 3, v0
	v_mov_b32_e32 v5, v2
	v_mov_b32_e32 v1, v2
	s_mov_b64 s[16:17], 0
	s_waitcnt lgkmcnt(0)
	s_and_b32 s12, s2, 0xffff
	s_add_u32 s2, s4, s8
	s_addc_u32 s3, s5, s9
	v_lshl_add_u64 v[4:5], s[2:3], 0, v[4:5]
	s_lshl_b32 s8, s12, 3
	v_lshl_add_u64 v[12:13], v[4:5], 0, 4
	s_mov_b32 s9, s13
	v_mov_b64_e32 v[4:5], 0
	v_mov_b32_e32 v16, 0x3ff00000
	v_mov_b64_e32 v[14:15], v[0:1]
	v_mov_b64_e32 v[6:7], 0
	v_mov_b64_e32 v[8:9], 0
	v_mov_b64_e32 v[10:11], 0
.LBB84_17:                              ; =>This Inner Loop Header: Depth=1
	global_load_dwordx2 v[18:19], v[12:13], off offset:-4
	v_lshl_add_u64 v[14:15], v[14:15], 0, s[12:13]
	v_lshlrev_b64 v[20:21], 2, v[14:15]
	v_cmp_le_i64_e32 vcc, s[10:11], v[20:21]
	s_or_b64 s[16:17], vcc, s[16:17]
	v_lshl_add_u64 v[12:13], v[12:13], 0, s[8:9]
	s_waitcnt vmcnt(0)
	v_cmp_neq_f16_e32 vcc, 0, v18
	s_nop 1
	v_cndmask_b32_e32 v3, 0, v16, vcc
	v_cmp_neq_f16_sdwa vcc, v18, v2 src0_sel:WORD_1 src1_sel:DWORD
	v_cmp_neq_f16_e64 s[2:3], 0, v19
	v_add_f64 v[4:5], v[4:5], v[2:3]
	v_cndmask_b32_e32 v3, 0, v16, vcc
	v_cmp_neq_f16_sdwa s[4:5], v19, v2 src0_sel:WORD_1 src1_sel:DWORD
	v_add_f64 v[6:7], v[6:7], v[2:3]
	v_cndmask_b32_e64 v3, 0, v16, s[2:3]
	v_add_f64 v[8:9], v[8:9], v[2:3]
	v_cndmask_b32_e64 v3, 0, v16, s[4:5]
	v_add_f64 v[10:11], v[10:11], v[2:3]
	s_andn2_b64 exec, exec, s[16:17]
	s_cbranch_execnz .LBB84_17
; %bb.18:
	s_or_b64 exec, exec, s[16:17]
	v_mov_b64_e32 v[2:3], v[4:5]
	v_mov_b64_e32 v[4:5], v[6:7]
	;; [unrolled: 1-line block ×4, first 2 shown]
.LBB84_19:
	s_or_b64 exec, exec, s[14:15]
.LBB84_20:
	v_add_f64 v[2:3], v[2:3], 0
	v_add_f64 v[2:3], v[4:5], v[2:3]
	v_mbcnt_lo_u32_b32 v1, -1, 0
	v_add_f64 v[2:3], v[6:7], v[2:3]
	v_mbcnt_hi_u32_b32 v10, -1, v1
	v_mov_b32_e32 v1, 0x80
	v_add_f64 v[2:3], v[8:9], v[2:3]
	v_lshl_or_b32 v1, v10, 2, v1
	ds_bpermute_b32 v4, v1, v2
	ds_bpermute_b32 v5, v1, v3
	v_and_b32_e32 v12, 63, v10
	v_cmp_gt_u32_e32 vcc, 48, v12
	v_and_b32_e32 v11, 63, v0
	s_waitcnt lgkmcnt(0)
	v_add_f64 v[2:3], v[2:3], v[4:5]
	v_cndmask_b32_e64 v4, 0, 16, vcc
	v_add_lshl_u32 v6, v4, v10, 2
	ds_bpermute_b32 v4, v6, v2
	ds_bpermute_b32 v5, v6, v3
	v_cmp_gt_u32_e32 vcc, 56, v12
	s_barrier
	s_waitcnt lgkmcnt(0)
	v_add_f64 v[2:3], v[2:3], v[4:5]
	v_cndmask_b32_e64 v4, 0, 8, vcc
	v_add_lshl_u32 v7, v4, v10, 2
	ds_bpermute_b32 v4, v7, v2
	ds_bpermute_b32 v5, v7, v3
	v_cmp_gt_u32_e32 vcc, 60, v12
	s_waitcnt lgkmcnt(0)
	v_add_f64 v[2:3], v[2:3], v[4:5]
	v_cndmask_b32_e64 v4, 0, 4, vcc
	v_add_lshl_u32 v8, v4, v10, 2
	ds_bpermute_b32 v4, v8, v2
	ds_bpermute_b32 v5, v8, v3
	v_cmp_gt_u32_e32 vcc, 62, v12
	s_waitcnt lgkmcnt(0)
	v_add_f64 v[2:3], v[2:3], v[4:5]
	v_cndmask_b32_e64 v4, 0, 2, vcc
	v_add_lshl_u32 v9, v4, v10, 2
	ds_bpermute_b32 v4, v9, v2
	ds_bpermute_b32 v5, v9, v3
	v_cmp_ne_u32_e32 vcc, 63, v12
	s_waitcnt lgkmcnt(0)
	v_add_f64 v[2:3], v[2:3], v[4:5]
	v_addc_co_u32_e32 v4, vcc, 0, v10, vcc
	v_lshlrev_b32_e32 v10, 2, v4
	ds_bpermute_b32 v4, v10, v2
	ds_bpermute_b32 v5, v10, v3
	v_cmp_eq_u32_e32 vcc, 0, v11
	s_and_saveexec_b64 s[2:3], vcc
	s_cbranch_execz .LBB84_22
; %bb.21:
	v_lshrrev_b32_e32 v12, 3, v0
	s_waitcnt lgkmcnt(0)
	v_add_f64 v[2:3], v[2:3], v[4:5]
	ds_write_b64 v12, v[2:3]
.LBB84_22:
	s_or_b64 exec, exec, s[2:3]
	s_waitcnt lgkmcnt(0)
	s_barrier
	s_load_dword s2, s[0:1], 0xd4c
	v_mov_b64_e32 v[2:3], 0
	s_waitcnt lgkmcnt(0)
	s_bfe_u32 s2, s2, 0xa0006
	v_cmp_gt_u32_e32 vcc, s2, v0
	s_and_saveexec_b64 s[2:3], vcc
	s_cbranch_execnz .LBB84_26
; %bb.23:
	s_or_b64 exec, exec, s[2:3]
	v_cmp_gt_u32_e32 vcc, 64, v0
	s_and_saveexec_b64 s[2:3], vcc
	s_cbranch_execnz .LBB84_27
.LBB84_24:
	s_or_b64 exec, exec, s[2:3]
	v_cmp_eq_u32_e32 vcc, 0, v0
	s_and_saveexec_b64 s[2:3], vcc
	s_cbranch_execnz .LBB84_28
.LBB84_25:
	s_endpgm
.LBB84_26:
	v_lshlrev_b32_e32 v2, 3, v11
	ds_read_b64 v[2:3], v2
	s_or_b64 exec, exec, s[2:3]
	v_cmp_gt_u32_e32 vcc, 64, v0
	s_and_saveexec_b64 s[2:3], vcc
	s_cbranch_execz .LBB84_24
.LBB84_27:
	s_waitcnt lgkmcnt(0)
	ds_bpermute_b32 v4, v1, v2
	ds_bpermute_b32 v5, v1, v3
	s_waitcnt lgkmcnt(0)
	v_add_f64 v[2:3], v[2:3], v[4:5]
	ds_bpermute_b32 v4, v6, v2
	ds_bpermute_b32 v5, v6, v3
	s_waitcnt lgkmcnt(0)
	v_add_f64 v[2:3], v[2:3], v[4:5]
	ds_bpermute_b32 v4, v7, v2
	ds_bpermute_b32 v5, v7, v3
	s_waitcnt lgkmcnt(0)
	v_add_f64 v[2:3], v[2:3], v[4:5]
	ds_bpermute_b32 v4, v8, v2
	ds_bpermute_b32 v5, v8, v3
	s_waitcnt lgkmcnt(0)
	v_add_f64 v[2:3], v[2:3], v[4:5]
	ds_bpermute_b32 v4, v9, v2
	ds_bpermute_b32 v5, v9, v3
	s_waitcnt lgkmcnt(0)
	v_add_f64 v[2:3], v[2:3], v[4:5]
	ds_bpermute_b32 v4, v10, v2
	ds_bpermute_b32 v5, v10, v3
	s_waitcnt lgkmcnt(0)
	v_add_f64 v[2:3], v[2:3], v[4:5]
	s_or_b64 exec, exec, s[2:3]
	v_cmp_eq_u32_e32 vcc, 0, v0
	s_and_saveexec_b64 s[2:3], vcc
	s_cbranch_execz .LBB84_25
.LBB84_28:
	s_load_dword s4, s[0:1], 0xd20
	s_load_dword s5, s[0:1], 0xd38
	s_load_dwordx2 s[2:3], s[0:1], 0xd30
	v_mov_b32_e32 v0, 0
	s_waitcnt lgkmcnt(0)
	s_add_i32 s0, s4, s18
	s_mul_i32 s0, s0, s5
	s_add_i32 s0, s0, s6
	s_ashr_i32 s1, s0, 31
	s_lshl_b64 s[0:1], s[0:1], 3
	s_add_u32 s0, s2, s0
	s_addc_u32 s1, s3, s1
	global_store_dwordx2 v0, v[2:3], s[0:1]
	s_endpgm
	.section	.rodata,"a",@progbits
	.p2align	6, 0x0
	.amdhsa_kernel _ZN2at6native12_GLOBAL__N_125multi_tensor_apply_kernelINS1_18TensorListMetadataILi1EEENS0_13LpNormFunctorIN3c104HalfELNS0_8NormTypeE0EdLi1ELi1ELi0EEEJPdiEEEvT_T0_DpT1_
		.amdhsa_group_segment_fixed_size 4096
		.amdhsa_private_segment_fixed_size 0
		.amdhsa_kernarg_size 3648
		.amdhsa_user_sgpr_count 2
		.amdhsa_user_sgpr_dispatch_ptr 0
		.amdhsa_user_sgpr_queue_ptr 0
		.amdhsa_user_sgpr_kernarg_segment_ptr 1
		.amdhsa_user_sgpr_dispatch_id 0
		.amdhsa_user_sgpr_kernarg_preload_length 0
		.amdhsa_user_sgpr_kernarg_preload_offset 0
		.amdhsa_user_sgpr_private_segment_size 0
		.amdhsa_uses_dynamic_stack 0
		.amdhsa_enable_private_segment 0
		.amdhsa_system_sgpr_workgroup_id_x 1
		.amdhsa_system_sgpr_workgroup_id_y 0
		.amdhsa_system_sgpr_workgroup_id_z 0
		.amdhsa_system_sgpr_workgroup_info 0
		.amdhsa_system_vgpr_workitem_id 0
		.amdhsa_next_free_vgpr 23
		.amdhsa_next_free_sgpr 22
		.amdhsa_accum_offset 24
		.amdhsa_reserve_vcc 1
		.amdhsa_float_round_mode_32 0
		.amdhsa_float_round_mode_16_64 0
		.amdhsa_float_denorm_mode_32 3
		.amdhsa_float_denorm_mode_16_64 3
		.amdhsa_dx10_clamp 1
		.amdhsa_ieee_mode 1
		.amdhsa_fp16_overflow 0
		.amdhsa_tg_split 0
		.amdhsa_exception_fp_ieee_invalid_op 0
		.amdhsa_exception_fp_denorm_src 0
		.amdhsa_exception_fp_ieee_div_zero 0
		.amdhsa_exception_fp_ieee_overflow 0
		.amdhsa_exception_fp_ieee_underflow 0
		.amdhsa_exception_fp_ieee_inexact 0
		.amdhsa_exception_int_div_zero 0
	.end_amdhsa_kernel
	.section	.text._ZN2at6native12_GLOBAL__N_125multi_tensor_apply_kernelINS1_18TensorListMetadataILi1EEENS0_13LpNormFunctorIN3c104HalfELNS0_8NormTypeE0EdLi1ELi1ELi0EEEJPdiEEEvT_T0_DpT1_,"axG",@progbits,_ZN2at6native12_GLOBAL__N_125multi_tensor_apply_kernelINS1_18TensorListMetadataILi1EEENS0_13LpNormFunctorIN3c104HalfELNS0_8NormTypeE0EdLi1ELi1ELi0EEEJPdiEEEvT_T0_DpT1_,comdat
.Lfunc_end84:
	.size	_ZN2at6native12_GLOBAL__N_125multi_tensor_apply_kernelINS1_18TensorListMetadataILi1EEENS0_13LpNormFunctorIN3c104HalfELNS0_8NormTypeE0EdLi1ELi1ELi0EEEJPdiEEEvT_T0_DpT1_, .Lfunc_end84-_ZN2at6native12_GLOBAL__N_125multi_tensor_apply_kernelINS1_18TensorListMetadataILi1EEENS0_13LpNormFunctorIN3c104HalfELNS0_8NormTypeE0EdLi1ELi1ELi0EEEJPdiEEEvT_T0_DpT1_
                                        ; -- End function
	.set _ZN2at6native12_GLOBAL__N_125multi_tensor_apply_kernelINS1_18TensorListMetadataILi1EEENS0_13LpNormFunctorIN3c104HalfELNS0_8NormTypeE0EdLi1ELi1ELi0EEEJPdiEEEvT_T0_DpT1_.num_vgpr, 23
	.set _ZN2at6native12_GLOBAL__N_125multi_tensor_apply_kernelINS1_18TensorListMetadataILi1EEENS0_13LpNormFunctorIN3c104HalfELNS0_8NormTypeE0EdLi1ELi1ELi0EEEJPdiEEEvT_T0_DpT1_.num_agpr, 0
	.set _ZN2at6native12_GLOBAL__N_125multi_tensor_apply_kernelINS1_18TensorListMetadataILi1EEENS0_13LpNormFunctorIN3c104HalfELNS0_8NormTypeE0EdLi1ELi1ELi0EEEJPdiEEEvT_T0_DpT1_.numbered_sgpr, 22
	.set _ZN2at6native12_GLOBAL__N_125multi_tensor_apply_kernelINS1_18TensorListMetadataILi1EEENS0_13LpNormFunctorIN3c104HalfELNS0_8NormTypeE0EdLi1ELi1ELi0EEEJPdiEEEvT_T0_DpT1_.num_named_barrier, 0
	.set _ZN2at6native12_GLOBAL__N_125multi_tensor_apply_kernelINS1_18TensorListMetadataILi1EEENS0_13LpNormFunctorIN3c104HalfELNS0_8NormTypeE0EdLi1ELi1ELi0EEEJPdiEEEvT_T0_DpT1_.private_seg_size, 0
	.set _ZN2at6native12_GLOBAL__N_125multi_tensor_apply_kernelINS1_18TensorListMetadataILi1EEENS0_13LpNormFunctorIN3c104HalfELNS0_8NormTypeE0EdLi1ELi1ELi0EEEJPdiEEEvT_T0_DpT1_.uses_vcc, 1
	.set _ZN2at6native12_GLOBAL__N_125multi_tensor_apply_kernelINS1_18TensorListMetadataILi1EEENS0_13LpNormFunctorIN3c104HalfELNS0_8NormTypeE0EdLi1ELi1ELi0EEEJPdiEEEvT_T0_DpT1_.uses_flat_scratch, 0
	.set _ZN2at6native12_GLOBAL__N_125multi_tensor_apply_kernelINS1_18TensorListMetadataILi1EEENS0_13LpNormFunctorIN3c104HalfELNS0_8NormTypeE0EdLi1ELi1ELi0EEEJPdiEEEvT_T0_DpT1_.has_dyn_sized_stack, 0
	.set _ZN2at6native12_GLOBAL__N_125multi_tensor_apply_kernelINS1_18TensorListMetadataILi1EEENS0_13LpNormFunctorIN3c104HalfELNS0_8NormTypeE0EdLi1ELi1ELi0EEEJPdiEEEvT_T0_DpT1_.has_recursion, 0
	.set _ZN2at6native12_GLOBAL__N_125multi_tensor_apply_kernelINS1_18TensorListMetadataILi1EEENS0_13LpNormFunctorIN3c104HalfELNS0_8NormTypeE0EdLi1ELi1ELi0EEEJPdiEEEvT_T0_DpT1_.has_indirect_call, 0
	.section	.AMDGPU.csdata,"",@progbits
; Kernel info:
; codeLenInByte = 1740
; TotalNumSgprs: 28
; NumVgprs: 23
; NumAgprs: 0
; TotalNumVgprs: 23
; ScratchSize: 0
; MemoryBound: 0
; FloatMode: 240
; IeeeMode: 1
; LDSByteSize: 4096 bytes/workgroup (compile time only)
; SGPRBlocks: 3
; VGPRBlocks: 2
; NumSGPRsForWavesPerEU: 28
; NumVGPRsForWavesPerEU: 23
; AccumOffset: 24
; Occupancy: 8
; WaveLimiterHint : 0
; COMPUTE_PGM_RSRC2:SCRATCH_EN: 0
; COMPUTE_PGM_RSRC2:USER_SGPR: 2
; COMPUTE_PGM_RSRC2:TRAP_HANDLER: 0
; COMPUTE_PGM_RSRC2:TGID_X_EN: 1
; COMPUTE_PGM_RSRC2:TGID_Y_EN: 0
; COMPUTE_PGM_RSRC2:TGID_Z_EN: 0
; COMPUTE_PGM_RSRC2:TIDIG_COMP_CNT: 0
; COMPUTE_PGM_RSRC3_GFX90A:ACCUM_OFFSET: 5
; COMPUTE_PGM_RSRC3_GFX90A:TG_SPLIT: 0
	.section	.text._ZN2at6native12_GLOBAL__N_125multi_tensor_apply_kernelINS1_18TensorListMetadataILi1EEENS0_13LpNormFunctorIN3c104HalfELNS0_8NormTypeE1EdLi1ELi1ELi0EEEJPdiEEEvT_T0_DpT1_,"axG",@progbits,_ZN2at6native12_GLOBAL__N_125multi_tensor_apply_kernelINS1_18TensorListMetadataILi1EEENS0_13LpNormFunctorIN3c104HalfELNS0_8NormTypeE1EdLi1ELi1ELi0EEEJPdiEEEvT_T0_DpT1_,comdat
	.globl	_ZN2at6native12_GLOBAL__N_125multi_tensor_apply_kernelINS1_18TensorListMetadataILi1EEENS0_13LpNormFunctorIN3c104HalfELNS0_8NormTypeE1EdLi1ELi1ELi0EEEJPdiEEEvT_T0_DpT1_ ; -- Begin function _ZN2at6native12_GLOBAL__N_125multi_tensor_apply_kernelINS1_18TensorListMetadataILi1EEENS0_13LpNormFunctorIN3c104HalfELNS0_8NormTypeE1EdLi1ELi1ELi0EEEJPdiEEEvT_T0_DpT1_
	.p2align	8
	.type	_ZN2at6native12_GLOBAL__N_125multi_tensor_apply_kernelINS1_18TensorListMetadataILi1EEENS0_13LpNormFunctorIN3c104HalfELNS0_8NormTypeE1EdLi1ELi1ELi0EEEJPdiEEEvT_T0_DpT1_,@function
_ZN2at6native12_GLOBAL__N_125multi_tensor_apply_kernelINS1_18TensorListMetadataILi1EEENS0_13LpNormFunctorIN3c104HalfELNS0_8NormTypeE1EdLi1ELi1ELi0EEEJPdiEEEvT_T0_DpT1_: ; @_ZN2at6native12_GLOBAL__N_125multi_tensor_apply_kernelINS1_18TensorListMetadataILi1EEENS0_13LpNormFunctorIN3c104HalfELNS0_8NormTypeE1EdLi1ELi1ELi0EEEJPdiEEEvT_T0_DpT1_
; %bb.0:
	v_mov_b32_e32 v1, s2
	global_load_ubyte v1, v1, s[0:1] offset:1760
	s_add_u32 s3, s0, s2
	s_mul_hi_u32 s4, s2, 3
	s_mul_i32 s2, s2, 3
	s_addc_u32 s5, s1, 0
	s_add_u32 s2, s3, s2
	s_addc_u32 s3, s5, s4
	s_load_dword s4, s[2:3], 0x820
	s_mov_b32 s15, 0
	s_waitcnt vmcnt(0)
	v_readfirstlane_b32 s2, v1
	s_and_b32 s18, s2, 0xff
	s_lshl_b32 s5, s18, 3
	s_load_dwordx2 s[2:3], s[0:1], s5 offset:0x370
	s_load_dwordx2 s[6:7], s[0:1], s5 offset:0x0
	s_waitcnt lgkmcnt(0)
	s_ashr_i32 s5, s4, 31
	s_lshl_b64 s[10:11], s[4:5], 16
	s_lshl_b64 s[8:9], s[4:5], 17
	s_add_u32 s12, s6, s8
	s_addc_u32 s13, s7, s9
	s_sub_u32 s10, s2, s10
	s_subb_u32 s11, s3, s11
	s_and_b32 s14, s2, 3
	s_and_b32 s2, s12, 7
	s_mov_b32 s3, s15
	s_or_b64 s[2:3], s[14:15], s[2:3]
	s_cmp_eq_u64 s[2:3], 0
	s_cbranch_scc1 .LBB85_12
; %bb.1:
	v_cmp_lt_i64_e64 s[2:3], s[10:11], 1
	s_and_b64 vcc, exec, s[2:3]
	s_cbranch_vccnz .LBB85_13
; %bb.2:
	v_mov_b64_e32 v[2:3], 0x10000
	v_cmp_lt_i64_e32 vcc, s[10:11], v[2:3]
	s_and_b64 s[2:3], vcc, exec
	s_load_dword s2, s[0:1], 0xd4c
	v_mov_b32_e32 v11, 0
	v_mov_b32_e32 v10, v11
	s_cselect_b32 s15, s11, 0
	s_cselect_b32 s14, s10, 0x10000
	s_waitcnt lgkmcnt(0)
	s_and_b32 s16, s2, 0xffff
	v_mov_b32_e32 v12, v11
	v_mov_b32_e32 v13, v11
	;; [unrolled: 1-line block ×6, first 2 shown]
	v_mov_b64_e32 v[2:3], v[10:11]
	s_mov_b32 s5, 0x10000
	s_lshl_b32 s19, s16, 2
	v_lshl_add_u32 v18, s16, 1, v0
	v_mad_u64_u32 v[20:21], s[2:3], s16, 3, v[0:1]
	v_add_u32_e32 v22, s16, v0
	s_mov_b64 s[16:17], 0
	v_mov_b64_e32 v[4:5], v[12:13]
	v_mov_b64_e32 v[6:7], v[14:15]
	;; [unrolled: 1-line block ×3, first 2 shown]
	s_branch .LBB85_4
.LBB85_3:                               ;   in Loop: Header=BB85_4 Depth=1
	s_or_b64 exec, exec, s[2:3]
	s_add_u32 s16, s16, s19
	s_addc_u32 s17, s17, 0
	v_mov_b64_e32 v[12:13], s[14:15]
	v_cmp_lt_i64_e32 vcc, s[16:17], v[12:13]
	s_cbranch_vccz .LBB85_14
.LBB85_4:                               ; =>This Inner Loop Header: Depth=1
	v_add_u32_e32 v10, s16, v0
	v_cmp_gt_i64_e32 vcc, s[10:11], v[10:11]
	v_cmp_gt_u32_e64 s[2:3], s5, v10
	s_and_b64 s[20:21], s[2:3], vcc
	s_and_saveexec_b64 s[2:3], s[20:21]
	s_cbranch_execz .LBB85_6
; %bb.5:                                ;   in Loop: Header=BB85_4 Depth=1
	v_lshl_add_u64 v[12:13], v[10:11], 1, s[12:13]
	global_load_ushort v1, v[12:13], off
	s_waitcnt vmcnt(0)
	v_and_b32_e32 v1, 0x7fff, v1
	v_cvt_f32_f16_e32 v1, v1
	v_cvt_f64_f32_e32 v[12:13], v1
	v_add_f64 v[2:3], v[2:3], v[12:13]
.LBB85_6:                               ;   in Loop: Header=BB85_4 Depth=1
	s_or_b64 exec, exec, s[2:3]
	v_add_u32_e32 v10, s16, v22
	v_cmp_gt_i64_e32 vcc, s[10:11], v[10:11]
	v_cmp_gt_u32_e64 s[2:3], s5, v10
	s_and_b64 s[20:21], s[2:3], vcc
	s_and_saveexec_b64 s[2:3], s[20:21]
	s_cbranch_execz .LBB85_8
; %bb.7:                                ;   in Loop: Header=BB85_4 Depth=1
	v_lshl_add_u64 v[12:13], v[10:11], 1, s[12:13]
	global_load_ushort v1, v[12:13], off
	s_waitcnt vmcnt(0)
	v_and_b32_e32 v1, 0x7fff, v1
	v_cvt_f32_f16_e32 v1, v1
	v_cvt_f64_f32_e32 v[12:13], v1
	v_add_f64 v[4:5], v[4:5], v[12:13]
.LBB85_8:                               ;   in Loop: Header=BB85_4 Depth=1
	s_or_b64 exec, exec, s[2:3]
	v_add_u32_e32 v10, s16, v18
	v_cmp_gt_i64_e32 vcc, s[10:11], v[10:11]
	v_cmp_gt_u32_e64 s[2:3], s5, v10
	s_and_b64 s[20:21], s[2:3], vcc
	s_and_saveexec_b64 s[2:3], s[20:21]
	s_cbranch_execz .LBB85_10
; %bb.9:                                ;   in Loop: Header=BB85_4 Depth=1
	v_lshl_add_u64 v[12:13], v[10:11], 1, s[12:13]
	global_load_ushort v1, v[12:13], off
	s_waitcnt vmcnt(0)
	v_and_b32_e32 v1, 0x7fff, v1
	v_cvt_f32_f16_e32 v1, v1
	v_cvt_f64_f32_e32 v[12:13], v1
	v_add_f64 v[6:7], v[6:7], v[12:13]
.LBB85_10:                              ;   in Loop: Header=BB85_4 Depth=1
	s_or_b64 exec, exec, s[2:3]
	v_add_u32_e32 v10, s16, v20
	v_cmp_gt_i64_e32 vcc, s[10:11], v[10:11]
	v_cmp_gt_u32_e64 s[2:3], s5, v10
	s_and_b64 s[20:21], s[2:3], vcc
	s_and_saveexec_b64 s[2:3], s[20:21]
	s_cbranch_execz .LBB85_3
; %bb.11:                               ;   in Loop: Header=BB85_4 Depth=1
	v_lshl_add_u64 v[12:13], v[10:11], 1, s[12:13]
	global_load_ushort v1, v[12:13], off
	s_waitcnt vmcnt(0)
	v_and_b32_e32 v1, 0x7fff, v1
	v_cvt_f32_f16_e32 v1, v1
	v_cvt_f64_f32_e32 v[12:13], v1
	v_add_f64 v[8:9], v[8:9], v[12:13]
	s_branch .LBB85_3
.LBB85_12:
                                        ; implicit-def: $vgpr2_vgpr3_vgpr4_vgpr5_vgpr6_vgpr7_vgpr8_vgpr9
	s_branch .LBB85_15
.LBB85_13:
	v_mov_b32_e32 v2, 0
	v_mov_b32_e32 v3, v2
	;; [unrolled: 1-line block ×8, first 2 shown]
.LBB85_14:
	s_cbranch_execnz .LBB85_20
.LBB85_15:
	v_mov_b64_e32 v[4:5], 0x10000
	v_cmp_lt_i64_e32 vcc, s[10:11], v[4:5]
	s_and_b64 s[12:13], vcc, exec
	v_mov_b32_e32 v3, 0
	s_cselect_b32 s11, s11, 0
	s_cselect_b32 s10, s10, 0x10000
	v_lshlrev_b32_e32 v2, 2, v0
	s_mov_b32 s3, 0
	v_cmp_gt_i64_e32 vcc, s[10:11], v[2:3]
	v_mov_b32_e32 v2, v3
	v_mov_b32_e32 v4, v3
	;; [unrolled: 1-line block ×7, first 2 shown]
	s_and_saveexec_b64 s[12:13], vcc
	s_cbranch_execz .LBB85_19
; %bb.16:
	s_load_dword s2, s[0:1], 0xd4c
	v_lshlrev_b32_e32 v2, 3, v0
	v_mov_b32_e32 v1, v3
	s_mov_b32 s15, s3
	s_movk_i32 s5, 0x7fff
	s_waitcnt lgkmcnt(0)
	s_and_b32 s2, s2, 0xffff
	s_add_u32 s6, s6, s8
	s_addc_u32 s7, s7, s9
	v_lshl_add_u64 v[2:3], s[6:7], 0, v[2:3]
	s_lshl_b32 s14, s2, 3
	v_lshl_add_u64 v[10:11], v[2:3], 0, 4
	v_mov_b64_e32 v[2:3], 0
	s_mov_b64 s[6:7], 0
	v_mov_b64_e32 v[12:13], v[0:1]
	v_mov_b64_e32 v[4:5], 0
	;; [unrolled: 1-line block ×4, first 2 shown]
.LBB85_17:                              ; =>This Inner Loop Header: Depth=1
	global_load_dwordx2 v[14:15], v[10:11], off offset:-4
	v_lshl_add_u64 v[12:13], v[12:13], 0, s[2:3]
	v_lshlrev_b64 v[16:17], 2, v[12:13]
	v_cmp_le_i64_e32 vcc, s[10:11], v[16:17]
	v_lshl_add_u64 v[10:11], v[10:11], 0, s[14:15]
	s_or_b64 s[6:7], vcc, s[6:7]
	s_waitcnt vmcnt(0)
	v_and_b32_e32 v1, 0x7fff, v14
	v_and_b32_sdwa v14, s5, v14 dst_sel:DWORD dst_unused:UNUSED_PAD src0_sel:DWORD src1_sel:WORD_1
	v_and_b32_e32 v16, 0x7fff, v15
	v_and_b32_sdwa v15, s5, v15 dst_sel:DWORD dst_unused:UNUSED_PAD src0_sel:DWORD src1_sel:WORD_1
	v_cvt_f32_f16_e32 v1, v1
	v_cvt_f32_f16_e32 v17, v14
	;; [unrolled: 1-line block ×4, first 2 shown]
	v_cvt_f64_f32_e32 v[14:15], v1
	v_cvt_f64_f32_e32 v[16:17], v17
	;; [unrolled: 1-line block ×4, first 2 shown]
	v_add_f64 v[2:3], v[2:3], v[14:15]
	v_add_f64 v[4:5], v[4:5], v[16:17]
	;; [unrolled: 1-line block ×4, first 2 shown]
	s_andn2_b64 exec, exec, s[6:7]
	s_cbranch_execnz .LBB85_17
; %bb.18:
	s_or_b64 exec, exec, s[6:7]
.LBB85_19:
	s_or_b64 exec, exec, s[12:13]
.LBB85_20:
	v_add_f64 v[2:3], v[2:3], 0
	v_add_f64 v[2:3], v[4:5], v[2:3]
	v_mbcnt_lo_u32_b32 v1, -1, 0
	v_add_f64 v[2:3], v[6:7], v[2:3]
	v_mbcnt_hi_u32_b32 v10, -1, v1
	v_mov_b32_e32 v1, 0x80
	v_add_f64 v[2:3], v[8:9], v[2:3]
	v_lshl_or_b32 v1, v10, 2, v1
	ds_bpermute_b32 v4, v1, v2
	ds_bpermute_b32 v5, v1, v3
	v_and_b32_e32 v12, 63, v10
	v_cmp_gt_u32_e32 vcc, 48, v12
	v_and_b32_e32 v11, 63, v0
	s_waitcnt lgkmcnt(0)
	v_add_f64 v[2:3], v[2:3], v[4:5]
	v_cndmask_b32_e64 v4, 0, 16, vcc
	v_add_lshl_u32 v6, v4, v10, 2
	ds_bpermute_b32 v4, v6, v2
	ds_bpermute_b32 v5, v6, v3
	v_cmp_gt_u32_e32 vcc, 56, v12
	s_barrier
	s_waitcnt lgkmcnt(0)
	v_add_f64 v[2:3], v[2:3], v[4:5]
	v_cndmask_b32_e64 v4, 0, 8, vcc
	v_add_lshl_u32 v7, v4, v10, 2
	ds_bpermute_b32 v4, v7, v2
	ds_bpermute_b32 v5, v7, v3
	v_cmp_gt_u32_e32 vcc, 60, v12
	s_waitcnt lgkmcnt(0)
	v_add_f64 v[2:3], v[2:3], v[4:5]
	v_cndmask_b32_e64 v4, 0, 4, vcc
	v_add_lshl_u32 v8, v4, v10, 2
	ds_bpermute_b32 v4, v8, v2
	ds_bpermute_b32 v5, v8, v3
	v_cmp_gt_u32_e32 vcc, 62, v12
	s_waitcnt lgkmcnt(0)
	v_add_f64 v[2:3], v[2:3], v[4:5]
	v_cndmask_b32_e64 v4, 0, 2, vcc
	v_add_lshl_u32 v9, v4, v10, 2
	ds_bpermute_b32 v4, v9, v2
	ds_bpermute_b32 v5, v9, v3
	v_cmp_ne_u32_e32 vcc, 63, v12
	s_waitcnt lgkmcnt(0)
	v_add_f64 v[2:3], v[2:3], v[4:5]
	v_addc_co_u32_e32 v4, vcc, 0, v10, vcc
	v_lshlrev_b32_e32 v10, 2, v4
	ds_bpermute_b32 v4, v10, v2
	ds_bpermute_b32 v5, v10, v3
	v_cmp_eq_u32_e32 vcc, 0, v11
	s_and_saveexec_b64 s[2:3], vcc
	s_cbranch_execz .LBB85_22
; %bb.21:
	v_lshrrev_b32_e32 v12, 3, v0
	s_waitcnt lgkmcnt(0)
	v_add_f64 v[2:3], v[2:3], v[4:5]
	ds_write_b64 v12, v[2:3]
.LBB85_22:
	s_or_b64 exec, exec, s[2:3]
	s_waitcnt lgkmcnt(0)
	s_barrier
	s_load_dword s2, s[0:1], 0xd4c
	v_mov_b64_e32 v[2:3], 0
	s_waitcnt lgkmcnt(0)
	s_bfe_u32 s2, s2, 0xa0006
	v_cmp_gt_u32_e32 vcc, s2, v0
	s_and_saveexec_b64 s[2:3], vcc
	s_cbranch_execnz .LBB85_26
; %bb.23:
	s_or_b64 exec, exec, s[2:3]
	v_cmp_gt_u32_e32 vcc, 64, v0
	s_and_saveexec_b64 s[2:3], vcc
	s_cbranch_execnz .LBB85_27
.LBB85_24:
	s_or_b64 exec, exec, s[2:3]
	v_cmp_eq_u32_e32 vcc, 0, v0
	s_and_saveexec_b64 s[2:3], vcc
	s_cbranch_execnz .LBB85_28
.LBB85_25:
	s_endpgm
.LBB85_26:
	v_lshlrev_b32_e32 v2, 3, v11
	ds_read_b64 v[2:3], v2
	s_or_b64 exec, exec, s[2:3]
	v_cmp_gt_u32_e32 vcc, 64, v0
	s_and_saveexec_b64 s[2:3], vcc
	s_cbranch_execz .LBB85_24
.LBB85_27:
	s_waitcnt lgkmcnt(0)
	ds_bpermute_b32 v4, v1, v2
	ds_bpermute_b32 v5, v1, v3
	s_waitcnt lgkmcnt(0)
	v_add_f64 v[2:3], v[2:3], v[4:5]
	ds_bpermute_b32 v4, v6, v2
	ds_bpermute_b32 v5, v6, v3
	s_waitcnt lgkmcnt(0)
	v_add_f64 v[2:3], v[2:3], v[4:5]
	ds_bpermute_b32 v4, v7, v2
	ds_bpermute_b32 v5, v7, v3
	s_waitcnt lgkmcnt(0)
	v_add_f64 v[2:3], v[2:3], v[4:5]
	ds_bpermute_b32 v4, v8, v2
	ds_bpermute_b32 v5, v8, v3
	s_waitcnt lgkmcnt(0)
	v_add_f64 v[2:3], v[2:3], v[4:5]
	ds_bpermute_b32 v4, v9, v2
	ds_bpermute_b32 v5, v9, v3
	s_waitcnt lgkmcnt(0)
	v_add_f64 v[2:3], v[2:3], v[4:5]
	ds_bpermute_b32 v4, v10, v2
	ds_bpermute_b32 v5, v10, v3
	s_waitcnt lgkmcnt(0)
	v_add_f64 v[2:3], v[2:3], v[4:5]
	s_or_b64 exec, exec, s[2:3]
	v_cmp_eq_u32_e32 vcc, 0, v0
	s_and_saveexec_b64 s[2:3], vcc
	s_cbranch_execz .LBB85_25
.LBB85_28:
	s_load_dword s5, s[0:1], 0xd20
	s_load_dword s6, s[0:1], 0xd38
	s_load_dwordx2 s[2:3], s[0:1], 0xd30
	v_mov_b32_e32 v0, 0
	s_waitcnt lgkmcnt(0)
	s_add_i32 s0, s5, s18
	s_mul_i32 s0, s0, s6
	s_add_i32 s0, s0, s4
	s_ashr_i32 s1, s0, 31
	s_lshl_b64 s[0:1], s[0:1], 3
	s_add_u32 s0, s2, s0
	s_addc_u32 s1, s3, s1
	global_store_dwordx2 v0, v[2:3], s[0:1]
	s_endpgm
	.section	.rodata,"a",@progbits
	.p2align	6, 0x0
	.amdhsa_kernel _ZN2at6native12_GLOBAL__N_125multi_tensor_apply_kernelINS1_18TensorListMetadataILi1EEENS0_13LpNormFunctorIN3c104HalfELNS0_8NormTypeE1EdLi1ELi1ELi0EEEJPdiEEEvT_T0_DpT1_
		.amdhsa_group_segment_fixed_size 4096
		.amdhsa_private_segment_fixed_size 0
		.amdhsa_kernarg_size 3648
		.amdhsa_user_sgpr_count 2
		.amdhsa_user_sgpr_dispatch_ptr 0
		.amdhsa_user_sgpr_queue_ptr 0
		.amdhsa_user_sgpr_kernarg_segment_ptr 1
		.amdhsa_user_sgpr_dispatch_id 0
		.amdhsa_user_sgpr_kernarg_preload_length 0
		.amdhsa_user_sgpr_kernarg_preload_offset 0
		.amdhsa_user_sgpr_private_segment_size 0
		.amdhsa_uses_dynamic_stack 0
		.amdhsa_enable_private_segment 0
		.amdhsa_system_sgpr_workgroup_id_x 1
		.amdhsa_system_sgpr_workgroup_id_y 0
		.amdhsa_system_sgpr_workgroup_id_z 0
		.amdhsa_system_sgpr_workgroup_info 0
		.amdhsa_system_vgpr_workitem_id 0
		.amdhsa_next_free_vgpr 23
		.amdhsa_next_free_sgpr 22
		.amdhsa_accum_offset 24
		.amdhsa_reserve_vcc 1
		.amdhsa_float_round_mode_32 0
		.amdhsa_float_round_mode_16_64 0
		.amdhsa_float_denorm_mode_32 3
		.amdhsa_float_denorm_mode_16_64 3
		.amdhsa_dx10_clamp 1
		.amdhsa_ieee_mode 1
		.amdhsa_fp16_overflow 0
		.amdhsa_tg_split 0
		.amdhsa_exception_fp_ieee_invalid_op 0
		.amdhsa_exception_fp_denorm_src 0
		.amdhsa_exception_fp_ieee_div_zero 0
		.amdhsa_exception_fp_ieee_overflow 0
		.amdhsa_exception_fp_ieee_underflow 0
		.amdhsa_exception_fp_ieee_inexact 0
		.amdhsa_exception_int_div_zero 0
	.end_amdhsa_kernel
	.section	.text._ZN2at6native12_GLOBAL__N_125multi_tensor_apply_kernelINS1_18TensorListMetadataILi1EEENS0_13LpNormFunctorIN3c104HalfELNS0_8NormTypeE1EdLi1ELi1ELi0EEEJPdiEEEvT_T0_DpT1_,"axG",@progbits,_ZN2at6native12_GLOBAL__N_125multi_tensor_apply_kernelINS1_18TensorListMetadataILi1EEENS0_13LpNormFunctorIN3c104HalfELNS0_8NormTypeE1EdLi1ELi1ELi0EEEJPdiEEEvT_T0_DpT1_,comdat
.Lfunc_end85:
	.size	_ZN2at6native12_GLOBAL__N_125multi_tensor_apply_kernelINS1_18TensorListMetadataILi1EEENS0_13LpNormFunctorIN3c104HalfELNS0_8NormTypeE1EdLi1ELi1ELi0EEEJPdiEEEvT_T0_DpT1_, .Lfunc_end85-_ZN2at6native12_GLOBAL__N_125multi_tensor_apply_kernelINS1_18TensorListMetadataILi1EEENS0_13LpNormFunctorIN3c104HalfELNS0_8NormTypeE1EdLi1ELi1ELi0EEEJPdiEEEvT_T0_DpT1_
                                        ; -- End function
	.set _ZN2at6native12_GLOBAL__N_125multi_tensor_apply_kernelINS1_18TensorListMetadataILi1EEENS0_13LpNormFunctorIN3c104HalfELNS0_8NormTypeE1EdLi1ELi1ELi0EEEJPdiEEEvT_T0_DpT1_.num_vgpr, 23
	.set _ZN2at6native12_GLOBAL__N_125multi_tensor_apply_kernelINS1_18TensorListMetadataILi1EEENS0_13LpNormFunctorIN3c104HalfELNS0_8NormTypeE1EdLi1ELi1ELi0EEEJPdiEEEvT_T0_DpT1_.num_agpr, 0
	.set _ZN2at6native12_GLOBAL__N_125multi_tensor_apply_kernelINS1_18TensorListMetadataILi1EEENS0_13LpNormFunctorIN3c104HalfELNS0_8NormTypeE1EdLi1ELi1ELi0EEEJPdiEEEvT_T0_DpT1_.numbered_sgpr, 22
	.set _ZN2at6native12_GLOBAL__N_125multi_tensor_apply_kernelINS1_18TensorListMetadataILi1EEENS0_13LpNormFunctorIN3c104HalfELNS0_8NormTypeE1EdLi1ELi1ELi0EEEJPdiEEEvT_T0_DpT1_.num_named_barrier, 0
	.set _ZN2at6native12_GLOBAL__N_125multi_tensor_apply_kernelINS1_18TensorListMetadataILi1EEENS0_13LpNormFunctorIN3c104HalfELNS0_8NormTypeE1EdLi1ELi1ELi0EEEJPdiEEEvT_T0_DpT1_.private_seg_size, 0
	.set _ZN2at6native12_GLOBAL__N_125multi_tensor_apply_kernelINS1_18TensorListMetadataILi1EEENS0_13LpNormFunctorIN3c104HalfELNS0_8NormTypeE1EdLi1ELi1ELi0EEEJPdiEEEvT_T0_DpT1_.uses_vcc, 1
	.set _ZN2at6native12_GLOBAL__N_125multi_tensor_apply_kernelINS1_18TensorListMetadataILi1EEENS0_13LpNormFunctorIN3c104HalfELNS0_8NormTypeE1EdLi1ELi1ELi0EEEJPdiEEEvT_T0_DpT1_.uses_flat_scratch, 0
	.set _ZN2at6native12_GLOBAL__N_125multi_tensor_apply_kernelINS1_18TensorListMetadataILi1EEENS0_13LpNormFunctorIN3c104HalfELNS0_8NormTypeE1EdLi1ELi1ELi0EEEJPdiEEEvT_T0_DpT1_.has_dyn_sized_stack, 0
	.set _ZN2at6native12_GLOBAL__N_125multi_tensor_apply_kernelINS1_18TensorListMetadataILi1EEENS0_13LpNormFunctorIN3c104HalfELNS0_8NormTypeE1EdLi1ELi1ELi0EEEJPdiEEEvT_T0_DpT1_.has_recursion, 0
	.set _ZN2at6native12_GLOBAL__N_125multi_tensor_apply_kernelINS1_18TensorListMetadataILi1EEENS0_13LpNormFunctorIN3c104HalfELNS0_8NormTypeE1EdLi1ELi1ELi0EEEJPdiEEEvT_T0_DpT1_.has_indirect_call, 0
	.section	.AMDGPU.csdata,"",@progbits
; Kernel info:
; codeLenInByte = 1716
; TotalNumSgprs: 28
; NumVgprs: 23
; NumAgprs: 0
; TotalNumVgprs: 23
; ScratchSize: 0
; MemoryBound: 0
; FloatMode: 240
; IeeeMode: 1
; LDSByteSize: 4096 bytes/workgroup (compile time only)
; SGPRBlocks: 3
; VGPRBlocks: 2
; NumSGPRsForWavesPerEU: 28
; NumVGPRsForWavesPerEU: 23
; AccumOffset: 24
; Occupancy: 8
; WaveLimiterHint : 0
; COMPUTE_PGM_RSRC2:SCRATCH_EN: 0
; COMPUTE_PGM_RSRC2:USER_SGPR: 2
; COMPUTE_PGM_RSRC2:TRAP_HANDLER: 0
; COMPUTE_PGM_RSRC2:TGID_X_EN: 1
; COMPUTE_PGM_RSRC2:TGID_Y_EN: 0
; COMPUTE_PGM_RSRC2:TGID_Z_EN: 0
; COMPUTE_PGM_RSRC2:TIDIG_COMP_CNT: 0
; COMPUTE_PGM_RSRC3_GFX90A:ACCUM_OFFSET: 5
; COMPUTE_PGM_RSRC3_GFX90A:TG_SPLIT: 0
	.section	.text._ZN2at6native12_GLOBAL__N_125multi_tensor_apply_kernelINS1_18TensorListMetadataILi1EEENS0_13LpNormFunctorIN3c104HalfELNS0_8NormTypeE2EdLi1ELi1ELi0EEEJPdiEEEvT_T0_DpT1_,"axG",@progbits,_ZN2at6native12_GLOBAL__N_125multi_tensor_apply_kernelINS1_18TensorListMetadataILi1EEENS0_13LpNormFunctorIN3c104HalfELNS0_8NormTypeE2EdLi1ELi1ELi0EEEJPdiEEEvT_T0_DpT1_,comdat
	.globl	_ZN2at6native12_GLOBAL__N_125multi_tensor_apply_kernelINS1_18TensorListMetadataILi1EEENS0_13LpNormFunctorIN3c104HalfELNS0_8NormTypeE2EdLi1ELi1ELi0EEEJPdiEEEvT_T0_DpT1_ ; -- Begin function _ZN2at6native12_GLOBAL__N_125multi_tensor_apply_kernelINS1_18TensorListMetadataILi1EEENS0_13LpNormFunctorIN3c104HalfELNS0_8NormTypeE2EdLi1ELi1ELi0EEEJPdiEEEvT_T0_DpT1_
	.p2align	8
	.type	_ZN2at6native12_GLOBAL__N_125multi_tensor_apply_kernelINS1_18TensorListMetadataILi1EEENS0_13LpNormFunctorIN3c104HalfELNS0_8NormTypeE2EdLi1ELi1ELi0EEEJPdiEEEvT_T0_DpT1_,@function
_ZN2at6native12_GLOBAL__N_125multi_tensor_apply_kernelINS1_18TensorListMetadataILi1EEENS0_13LpNormFunctorIN3c104HalfELNS0_8NormTypeE2EdLi1ELi1ELi0EEEJPdiEEEvT_T0_DpT1_: ; @_ZN2at6native12_GLOBAL__N_125multi_tensor_apply_kernelINS1_18TensorListMetadataILi1EEENS0_13LpNormFunctorIN3c104HalfELNS0_8NormTypeE2EdLi1ELi1ELi0EEEJPdiEEEvT_T0_DpT1_
; %bb.0:
	v_mov_b32_e32 v1, s2
	global_load_ubyte v1, v1, s[0:1] offset:1760
	s_add_u32 s3, s0, s2
	s_mul_hi_u32 s4, s2, 3
	s_mul_i32 s2, s2, 3
	s_addc_u32 s5, s1, 0
	s_add_u32 s2, s3, s2
	s_addc_u32 s3, s5, s4
	s_load_dword s4, s[2:3], 0x820
	s_mov_b32 s15, 0
	s_waitcnt vmcnt(0)
	v_readfirstlane_b32 s2, v1
	s_and_b32 s18, s2, 0xff
	s_lshl_b32 s5, s18, 3
	s_load_dwordx2 s[2:3], s[0:1], s5 offset:0x370
	s_load_dwordx2 s[6:7], s[0:1], s5 offset:0x0
	s_waitcnt lgkmcnt(0)
	s_ashr_i32 s5, s4, 31
	s_lshl_b64 s[10:11], s[4:5], 16
	s_lshl_b64 s[8:9], s[4:5], 17
	s_add_u32 s12, s6, s8
	s_addc_u32 s13, s7, s9
	s_sub_u32 s10, s2, s10
	s_subb_u32 s11, s3, s11
	s_and_b32 s14, s2, 3
	s_and_b32 s2, s12, 7
	s_mov_b32 s3, s15
	s_or_b64 s[2:3], s[14:15], s[2:3]
	s_cmp_eq_u64 s[2:3], 0
	s_cbranch_scc1 .LBB86_12
; %bb.1:
	v_cmp_lt_i64_e64 s[2:3], s[10:11], 1
	s_and_b64 vcc, exec, s[2:3]
	s_cbranch_vccnz .LBB86_13
; %bb.2:
	v_mov_b64_e32 v[2:3], 0x10000
	v_cmp_lt_i64_e32 vcc, s[10:11], v[2:3]
	s_and_b64 s[2:3], vcc, exec
	s_load_dword s2, s[0:1], 0xd4c
	v_mov_b32_e32 v11, 0
	v_mov_b32_e32 v10, v11
	s_cselect_b32 s15, s11, 0
	s_cselect_b32 s14, s10, 0x10000
	s_waitcnt lgkmcnt(0)
	s_and_b32 s16, s2, 0xffff
	v_mov_b32_e32 v12, v11
	v_mov_b32_e32 v13, v11
	;; [unrolled: 1-line block ×6, first 2 shown]
	v_mov_b64_e32 v[2:3], v[10:11]
	s_mov_b32 s5, 0x10000
	s_lshl_b32 s19, s16, 2
	v_lshl_add_u32 v18, s16, 1, v0
	v_mad_u64_u32 v[20:21], s[2:3], s16, 3, v[0:1]
	v_add_u32_e32 v22, s16, v0
	s_mov_b64 s[16:17], 0
	v_mov_b64_e32 v[4:5], v[12:13]
	v_mov_b64_e32 v[6:7], v[14:15]
	;; [unrolled: 1-line block ×3, first 2 shown]
	s_branch .LBB86_4
.LBB86_3:                               ;   in Loop: Header=BB86_4 Depth=1
	s_or_b64 exec, exec, s[2:3]
	s_add_u32 s16, s16, s19
	s_addc_u32 s17, s17, 0
	v_mov_b64_e32 v[12:13], s[14:15]
	v_cmp_lt_i64_e32 vcc, s[16:17], v[12:13]
	s_cbranch_vccz .LBB86_14
.LBB86_4:                               ; =>This Inner Loop Header: Depth=1
	v_add_u32_e32 v10, s16, v0
	v_cmp_gt_i64_e32 vcc, s[10:11], v[10:11]
	v_cmp_gt_u32_e64 s[2:3], s5, v10
	s_and_b64 s[20:21], s[2:3], vcc
	s_and_saveexec_b64 s[2:3], s[20:21]
	s_cbranch_execz .LBB86_6
; %bb.5:                                ;   in Loop: Header=BB86_4 Depth=1
	v_lshl_add_u64 v[12:13], v[10:11], 1, s[12:13]
	global_load_ushort v1, v[12:13], off
	s_waitcnt vmcnt(0)
	v_cvt_f32_f16_e32 v1, v1
	v_cvt_f64_f32_e32 v[12:13], v1
	v_fmac_f64_e32 v[2:3], v[12:13], v[12:13]
.LBB86_6:                               ;   in Loop: Header=BB86_4 Depth=1
	s_or_b64 exec, exec, s[2:3]
	v_add_u32_e32 v10, s16, v22
	v_cmp_gt_i64_e32 vcc, s[10:11], v[10:11]
	v_cmp_gt_u32_e64 s[2:3], s5, v10
	s_and_b64 s[20:21], s[2:3], vcc
	s_and_saveexec_b64 s[2:3], s[20:21]
	s_cbranch_execz .LBB86_8
; %bb.7:                                ;   in Loop: Header=BB86_4 Depth=1
	v_lshl_add_u64 v[12:13], v[10:11], 1, s[12:13]
	global_load_ushort v1, v[12:13], off
	s_waitcnt vmcnt(0)
	v_cvt_f32_f16_e32 v1, v1
	v_cvt_f64_f32_e32 v[12:13], v1
	v_fmac_f64_e32 v[4:5], v[12:13], v[12:13]
.LBB86_8:                               ;   in Loop: Header=BB86_4 Depth=1
	s_or_b64 exec, exec, s[2:3]
	v_add_u32_e32 v10, s16, v18
	v_cmp_gt_i64_e32 vcc, s[10:11], v[10:11]
	v_cmp_gt_u32_e64 s[2:3], s5, v10
	s_and_b64 s[20:21], s[2:3], vcc
	s_and_saveexec_b64 s[2:3], s[20:21]
	s_cbranch_execz .LBB86_10
; %bb.9:                                ;   in Loop: Header=BB86_4 Depth=1
	v_lshl_add_u64 v[12:13], v[10:11], 1, s[12:13]
	global_load_ushort v1, v[12:13], off
	s_waitcnt vmcnt(0)
	v_cvt_f32_f16_e32 v1, v1
	v_cvt_f64_f32_e32 v[12:13], v1
	v_fmac_f64_e32 v[6:7], v[12:13], v[12:13]
.LBB86_10:                              ;   in Loop: Header=BB86_4 Depth=1
	s_or_b64 exec, exec, s[2:3]
	v_add_u32_e32 v10, s16, v20
	v_cmp_gt_i64_e32 vcc, s[10:11], v[10:11]
	v_cmp_gt_u32_e64 s[2:3], s5, v10
	s_and_b64 s[20:21], s[2:3], vcc
	s_and_saveexec_b64 s[2:3], s[20:21]
	s_cbranch_execz .LBB86_3
; %bb.11:                               ;   in Loop: Header=BB86_4 Depth=1
	v_lshl_add_u64 v[12:13], v[10:11], 1, s[12:13]
	global_load_ushort v1, v[12:13], off
	s_waitcnt vmcnt(0)
	v_cvt_f32_f16_e32 v1, v1
	v_cvt_f64_f32_e32 v[12:13], v1
	v_fmac_f64_e32 v[8:9], v[12:13], v[12:13]
	s_branch .LBB86_3
.LBB86_12:
                                        ; implicit-def: $vgpr2_vgpr3_vgpr4_vgpr5_vgpr6_vgpr7_vgpr8_vgpr9
	s_branch .LBB86_15
.LBB86_13:
	v_mov_b32_e32 v2, 0
	v_mov_b32_e32 v3, v2
	v_mov_b32_e32 v4, v2
	v_mov_b32_e32 v5, v2
	v_mov_b32_e32 v6, v2
	v_mov_b32_e32 v7, v2
	v_mov_b32_e32 v8, v2
	v_mov_b32_e32 v9, v2
.LBB86_14:
	s_cbranch_execnz .LBB86_20
.LBB86_15:
	v_mov_b64_e32 v[4:5], 0x10000
	v_cmp_lt_i64_e32 vcc, s[10:11], v[4:5]
	s_and_b64 s[12:13], vcc, exec
	v_mov_b32_e32 v3, 0
	s_cselect_b32 s11, s11, 0
	s_cselect_b32 s10, s10, 0x10000
	v_lshlrev_b32_e32 v2, 2, v0
	s_mov_b32 s3, 0
	v_cmp_gt_i64_e32 vcc, s[10:11], v[2:3]
	v_mov_b32_e32 v2, v3
	v_mov_b32_e32 v4, v3
	;; [unrolled: 1-line block ×7, first 2 shown]
	s_and_saveexec_b64 s[12:13], vcc
	s_cbranch_execz .LBB86_19
; %bb.16:
	s_load_dword s2, s[0:1], 0xd4c
	v_lshlrev_b32_e32 v2, 3, v0
	v_mov_b32_e32 v1, v3
	s_mov_b32 s15, s3
	v_mov_b64_e32 v[12:13], v[0:1]
	s_waitcnt lgkmcnt(0)
	s_and_b32 s2, s2, 0xffff
	s_add_u32 s6, s6, s8
	s_addc_u32 s7, s7, s9
	v_lshl_add_u64 v[2:3], s[6:7], 0, v[2:3]
	s_lshl_b32 s14, s2, 3
	v_lshl_add_u64 v[10:11], v[2:3], 0, 4
	v_mov_b64_e32 v[2:3], 0
	s_mov_b64 s[6:7], 0
	v_mov_b64_e32 v[4:5], 0
	v_mov_b64_e32 v[6:7], 0
	;; [unrolled: 1-line block ×3, first 2 shown]
.LBB86_17:                              ; =>This Inner Loop Header: Depth=1
	global_load_dwordx2 v[14:15], v[10:11], off offset:-4
	v_lshl_add_u64 v[12:13], v[12:13], 0, s[2:3]
	v_lshlrev_b64 v[16:17], 2, v[12:13]
	v_cmp_le_i64_e32 vcc, s[10:11], v[16:17]
	v_lshl_add_u64 v[10:11], v[10:11], 0, s[14:15]
	s_or_b64 s[6:7], vcc, s[6:7]
	s_waitcnt vmcnt(0)
	v_cvt_f32_f16_e32 v1, v14
	v_cvt_f32_f16_sdwa v16, v14 dst_sel:DWORD dst_unused:UNUSED_PAD src0_sel:WORD_1
	v_cvt_f32_f16_e32 v18, v15
	v_cvt_f32_f16_sdwa v20, v15 dst_sel:DWORD dst_unused:UNUSED_PAD src0_sel:WORD_1
	v_cvt_f64_f32_e32 v[14:15], v1
	v_cvt_f64_f32_e32 v[16:17], v16
	;; [unrolled: 1-line block ×4, first 2 shown]
	v_fmac_f64_e32 v[2:3], v[14:15], v[14:15]
	v_fmac_f64_e32 v[4:5], v[16:17], v[16:17]
	;; [unrolled: 1-line block ×4, first 2 shown]
	s_andn2_b64 exec, exec, s[6:7]
	s_cbranch_execnz .LBB86_17
; %bb.18:
	s_or_b64 exec, exec, s[6:7]
.LBB86_19:
	s_or_b64 exec, exec, s[12:13]
.LBB86_20:
	v_add_f64 v[2:3], v[2:3], 0
	v_add_f64 v[2:3], v[4:5], v[2:3]
	v_mbcnt_lo_u32_b32 v1, -1, 0
	v_add_f64 v[2:3], v[6:7], v[2:3]
	v_mbcnt_hi_u32_b32 v10, -1, v1
	v_mov_b32_e32 v1, 0x80
	v_add_f64 v[2:3], v[8:9], v[2:3]
	v_lshl_or_b32 v1, v10, 2, v1
	ds_bpermute_b32 v4, v1, v2
	ds_bpermute_b32 v5, v1, v3
	v_and_b32_e32 v12, 63, v10
	v_cmp_gt_u32_e32 vcc, 48, v12
	v_and_b32_e32 v11, 63, v0
	s_waitcnt lgkmcnt(0)
	v_add_f64 v[2:3], v[2:3], v[4:5]
	v_cndmask_b32_e64 v4, 0, 16, vcc
	v_add_lshl_u32 v6, v4, v10, 2
	ds_bpermute_b32 v4, v6, v2
	ds_bpermute_b32 v5, v6, v3
	v_cmp_gt_u32_e32 vcc, 56, v12
	s_barrier
	s_waitcnt lgkmcnt(0)
	v_add_f64 v[2:3], v[2:3], v[4:5]
	v_cndmask_b32_e64 v4, 0, 8, vcc
	v_add_lshl_u32 v7, v4, v10, 2
	ds_bpermute_b32 v4, v7, v2
	ds_bpermute_b32 v5, v7, v3
	v_cmp_gt_u32_e32 vcc, 60, v12
	s_waitcnt lgkmcnt(0)
	v_add_f64 v[2:3], v[2:3], v[4:5]
	v_cndmask_b32_e64 v4, 0, 4, vcc
	v_add_lshl_u32 v8, v4, v10, 2
	ds_bpermute_b32 v4, v8, v2
	ds_bpermute_b32 v5, v8, v3
	v_cmp_gt_u32_e32 vcc, 62, v12
	s_waitcnt lgkmcnt(0)
	v_add_f64 v[2:3], v[2:3], v[4:5]
	v_cndmask_b32_e64 v4, 0, 2, vcc
	v_add_lshl_u32 v9, v4, v10, 2
	ds_bpermute_b32 v4, v9, v2
	ds_bpermute_b32 v5, v9, v3
	v_cmp_ne_u32_e32 vcc, 63, v12
	s_waitcnt lgkmcnt(0)
	v_add_f64 v[2:3], v[2:3], v[4:5]
	v_addc_co_u32_e32 v4, vcc, 0, v10, vcc
	v_lshlrev_b32_e32 v10, 2, v4
	ds_bpermute_b32 v4, v10, v2
	ds_bpermute_b32 v5, v10, v3
	v_cmp_eq_u32_e32 vcc, 0, v11
	s_and_saveexec_b64 s[2:3], vcc
	s_cbranch_execz .LBB86_22
; %bb.21:
	v_lshrrev_b32_e32 v12, 3, v0
	s_waitcnt lgkmcnt(0)
	v_add_f64 v[2:3], v[2:3], v[4:5]
	ds_write_b64 v12, v[2:3]
.LBB86_22:
	s_or_b64 exec, exec, s[2:3]
	s_waitcnt lgkmcnt(0)
	s_barrier
	s_load_dword s2, s[0:1], 0xd4c
	v_mov_b64_e32 v[2:3], 0
	s_waitcnt lgkmcnt(0)
	s_bfe_u32 s2, s2, 0xa0006
	v_cmp_gt_u32_e32 vcc, s2, v0
	s_and_saveexec_b64 s[2:3], vcc
	s_cbranch_execnz .LBB86_26
; %bb.23:
	s_or_b64 exec, exec, s[2:3]
	v_cmp_gt_u32_e32 vcc, 64, v0
	s_and_saveexec_b64 s[2:3], vcc
	s_cbranch_execnz .LBB86_27
.LBB86_24:
	s_or_b64 exec, exec, s[2:3]
	v_cmp_eq_u32_e32 vcc, 0, v0
	s_and_saveexec_b64 s[2:3], vcc
	s_cbranch_execnz .LBB86_28
.LBB86_25:
	s_endpgm
.LBB86_26:
	v_lshlrev_b32_e32 v2, 3, v11
	ds_read_b64 v[2:3], v2
	s_or_b64 exec, exec, s[2:3]
	v_cmp_gt_u32_e32 vcc, 64, v0
	s_and_saveexec_b64 s[2:3], vcc
	s_cbranch_execz .LBB86_24
.LBB86_27:
	s_waitcnt lgkmcnt(0)
	ds_bpermute_b32 v4, v1, v2
	ds_bpermute_b32 v5, v1, v3
	s_waitcnt lgkmcnt(0)
	v_add_f64 v[2:3], v[2:3], v[4:5]
	ds_bpermute_b32 v4, v6, v2
	ds_bpermute_b32 v5, v6, v3
	s_waitcnt lgkmcnt(0)
	v_add_f64 v[2:3], v[2:3], v[4:5]
	;; [unrolled: 4-line block ×6, first 2 shown]
	s_or_b64 exec, exec, s[2:3]
	v_cmp_eq_u32_e32 vcc, 0, v0
	s_and_saveexec_b64 s[2:3], vcc
	s_cbranch_execz .LBB86_25
.LBB86_28:
	s_load_dword s5, s[0:1], 0xd20
	s_load_dword s6, s[0:1], 0xd38
	s_load_dwordx2 s[2:3], s[0:1], 0xd30
	v_mov_b32_e32 v0, 0
	s_waitcnt lgkmcnt(0)
	s_add_i32 s0, s5, s18
	s_mul_i32 s0, s0, s6
	s_add_i32 s0, s0, s4
	s_ashr_i32 s1, s0, 31
	s_lshl_b64 s[0:1], s[0:1], 3
	s_add_u32 s0, s2, s0
	s_addc_u32 s1, s3, s1
	global_store_dwordx2 v0, v[2:3], s[0:1]
	s_endpgm
	.section	.rodata,"a",@progbits
	.p2align	6, 0x0
	.amdhsa_kernel _ZN2at6native12_GLOBAL__N_125multi_tensor_apply_kernelINS1_18TensorListMetadataILi1EEENS0_13LpNormFunctorIN3c104HalfELNS0_8NormTypeE2EdLi1ELi1ELi0EEEJPdiEEEvT_T0_DpT1_
		.amdhsa_group_segment_fixed_size 4096
		.amdhsa_private_segment_fixed_size 0
		.amdhsa_kernarg_size 3648
		.amdhsa_user_sgpr_count 2
		.amdhsa_user_sgpr_dispatch_ptr 0
		.amdhsa_user_sgpr_queue_ptr 0
		.amdhsa_user_sgpr_kernarg_segment_ptr 1
		.amdhsa_user_sgpr_dispatch_id 0
		.amdhsa_user_sgpr_kernarg_preload_length 0
		.amdhsa_user_sgpr_kernarg_preload_offset 0
		.amdhsa_user_sgpr_private_segment_size 0
		.amdhsa_uses_dynamic_stack 0
		.amdhsa_enable_private_segment 0
		.amdhsa_system_sgpr_workgroup_id_x 1
		.amdhsa_system_sgpr_workgroup_id_y 0
		.amdhsa_system_sgpr_workgroup_id_z 0
		.amdhsa_system_sgpr_workgroup_info 0
		.amdhsa_system_vgpr_workitem_id 0
		.amdhsa_next_free_vgpr 23
		.amdhsa_next_free_sgpr 22
		.amdhsa_accum_offset 24
		.amdhsa_reserve_vcc 1
		.amdhsa_float_round_mode_32 0
		.amdhsa_float_round_mode_16_64 0
		.amdhsa_float_denorm_mode_32 3
		.amdhsa_float_denorm_mode_16_64 3
		.amdhsa_dx10_clamp 1
		.amdhsa_ieee_mode 1
		.amdhsa_fp16_overflow 0
		.amdhsa_tg_split 0
		.amdhsa_exception_fp_ieee_invalid_op 0
		.amdhsa_exception_fp_denorm_src 0
		.amdhsa_exception_fp_ieee_div_zero 0
		.amdhsa_exception_fp_ieee_overflow 0
		.amdhsa_exception_fp_ieee_underflow 0
		.amdhsa_exception_fp_ieee_inexact 0
		.amdhsa_exception_int_div_zero 0
	.end_amdhsa_kernel
	.section	.text._ZN2at6native12_GLOBAL__N_125multi_tensor_apply_kernelINS1_18TensorListMetadataILi1EEENS0_13LpNormFunctorIN3c104HalfELNS0_8NormTypeE2EdLi1ELi1ELi0EEEJPdiEEEvT_T0_DpT1_,"axG",@progbits,_ZN2at6native12_GLOBAL__N_125multi_tensor_apply_kernelINS1_18TensorListMetadataILi1EEENS0_13LpNormFunctorIN3c104HalfELNS0_8NormTypeE2EdLi1ELi1ELi0EEEJPdiEEEvT_T0_DpT1_,comdat
.Lfunc_end86:
	.size	_ZN2at6native12_GLOBAL__N_125multi_tensor_apply_kernelINS1_18TensorListMetadataILi1EEENS0_13LpNormFunctorIN3c104HalfELNS0_8NormTypeE2EdLi1ELi1ELi0EEEJPdiEEEvT_T0_DpT1_, .Lfunc_end86-_ZN2at6native12_GLOBAL__N_125multi_tensor_apply_kernelINS1_18TensorListMetadataILi1EEENS0_13LpNormFunctorIN3c104HalfELNS0_8NormTypeE2EdLi1ELi1ELi0EEEJPdiEEEvT_T0_DpT1_
                                        ; -- End function
	.set _ZN2at6native12_GLOBAL__N_125multi_tensor_apply_kernelINS1_18TensorListMetadataILi1EEENS0_13LpNormFunctorIN3c104HalfELNS0_8NormTypeE2EdLi1ELi1ELi0EEEJPdiEEEvT_T0_DpT1_.num_vgpr, 23
	.set _ZN2at6native12_GLOBAL__N_125multi_tensor_apply_kernelINS1_18TensorListMetadataILi1EEENS0_13LpNormFunctorIN3c104HalfELNS0_8NormTypeE2EdLi1ELi1ELi0EEEJPdiEEEvT_T0_DpT1_.num_agpr, 0
	.set _ZN2at6native12_GLOBAL__N_125multi_tensor_apply_kernelINS1_18TensorListMetadataILi1EEENS0_13LpNormFunctorIN3c104HalfELNS0_8NormTypeE2EdLi1ELi1ELi0EEEJPdiEEEvT_T0_DpT1_.numbered_sgpr, 22
	.set _ZN2at6native12_GLOBAL__N_125multi_tensor_apply_kernelINS1_18TensorListMetadataILi1EEENS0_13LpNormFunctorIN3c104HalfELNS0_8NormTypeE2EdLi1ELi1ELi0EEEJPdiEEEvT_T0_DpT1_.num_named_barrier, 0
	.set _ZN2at6native12_GLOBAL__N_125multi_tensor_apply_kernelINS1_18TensorListMetadataILi1EEENS0_13LpNormFunctorIN3c104HalfELNS0_8NormTypeE2EdLi1ELi1ELi0EEEJPdiEEEvT_T0_DpT1_.private_seg_size, 0
	.set _ZN2at6native12_GLOBAL__N_125multi_tensor_apply_kernelINS1_18TensorListMetadataILi1EEENS0_13LpNormFunctorIN3c104HalfELNS0_8NormTypeE2EdLi1ELi1ELi0EEEJPdiEEEvT_T0_DpT1_.uses_vcc, 1
	.set _ZN2at6native12_GLOBAL__N_125multi_tensor_apply_kernelINS1_18TensorListMetadataILi1EEENS0_13LpNormFunctorIN3c104HalfELNS0_8NormTypeE2EdLi1ELi1ELi0EEEJPdiEEEvT_T0_DpT1_.uses_flat_scratch, 0
	.set _ZN2at6native12_GLOBAL__N_125multi_tensor_apply_kernelINS1_18TensorListMetadataILi1EEENS0_13LpNormFunctorIN3c104HalfELNS0_8NormTypeE2EdLi1ELi1ELi0EEEJPdiEEEvT_T0_DpT1_.has_dyn_sized_stack, 0
	.set _ZN2at6native12_GLOBAL__N_125multi_tensor_apply_kernelINS1_18TensorListMetadataILi1EEENS0_13LpNormFunctorIN3c104HalfELNS0_8NormTypeE2EdLi1ELi1ELi0EEEJPdiEEEvT_T0_DpT1_.has_recursion, 0
	.set _ZN2at6native12_GLOBAL__N_125multi_tensor_apply_kernelINS1_18TensorListMetadataILi1EEENS0_13LpNormFunctorIN3c104HalfELNS0_8NormTypeE2EdLi1ELi1ELi0EEEJPdiEEEvT_T0_DpT1_.has_indirect_call, 0
	.section	.AMDGPU.csdata,"",@progbits
; Kernel info:
; codeLenInByte = 1624
; TotalNumSgprs: 28
; NumVgprs: 23
; NumAgprs: 0
; TotalNumVgprs: 23
; ScratchSize: 0
; MemoryBound: 0
; FloatMode: 240
; IeeeMode: 1
; LDSByteSize: 4096 bytes/workgroup (compile time only)
; SGPRBlocks: 3
; VGPRBlocks: 2
; NumSGPRsForWavesPerEU: 28
; NumVGPRsForWavesPerEU: 23
; AccumOffset: 24
; Occupancy: 8
; WaveLimiterHint : 0
; COMPUTE_PGM_RSRC2:SCRATCH_EN: 0
; COMPUTE_PGM_RSRC2:USER_SGPR: 2
; COMPUTE_PGM_RSRC2:TRAP_HANDLER: 0
; COMPUTE_PGM_RSRC2:TGID_X_EN: 1
; COMPUTE_PGM_RSRC2:TGID_Y_EN: 0
; COMPUTE_PGM_RSRC2:TGID_Z_EN: 0
; COMPUTE_PGM_RSRC2:TIDIG_COMP_CNT: 0
; COMPUTE_PGM_RSRC3_GFX90A:ACCUM_OFFSET: 5
; COMPUTE_PGM_RSRC3_GFX90A:TG_SPLIT: 0
	.section	.text._ZN2at6native12_GLOBAL__N_125multi_tensor_apply_kernelINS1_18TensorListMetadataILi1EEENS0_13LpNormFunctorIN3c104HalfELNS0_8NormTypeE3EdLi1ELi1ELi0EEEJPdiEEEvT_T0_DpT1_,"axG",@progbits,_ZN2at6native12_GLOBAL__N_125multi_tensor_apply_kernelINS1_18TensorListMetadataILi1EEENS0_13LpNormFunctorIN3c104HalfELNS0_8NormTypeE3EdLi1ELi1ELi0EEEJPdiEEEvT_T0_DpT1_,comdat
	.globl	_ZN2at6native12_GLOBAL__N_125multi_tensor_apply_kernelINS1_18TensorListMetadataILi1EEENS0_13LpNormFunctorIN3c104HalfELNS0_8NormTypeE3EdLi1ELi1ELi0EEEJPdiEEEvT_T0_DpT1_ ; -- Begin function _ZN2at6native12_GLOBAL__N_125multi_tensor_apply_kernelINS1_18TensorListMetadataILi1EEENS0_13LpNormFunctorIN3c104HalfELNS0_8NormTypeE3EdLi1ELi1ELi0EEEJPdiEEEvT_T0_DpT1_
	.p2align	8
	.type	_ZN2at6native12_GLOBAL__N_125multi_tensor_apply_kernelINS1_18TensorListMetadataILi1EEENS0_13LpNormFunctorIN3c104HalfELNS0_8NormTypeE3EdLi1ELi1ELi0EEEJPdiEEEvT_T0_DpT1_,@function
_ZN2at6native12_GLOBAL__N_125multi_tensor_apply_kernelINS1_18TensorListMetadataILi1EEENS0_13LpNormFunctorIN3c104HalfELNS0_8NormTypeE3EdLi1ELi1ELi0EEEJPdiEEEvT_T0_DpT1_: ; @_ZN2at6native12_GLOBAL__N_125multi_tensor_apply_kernelINS1_18TensorListMetadataILi1EEENS0_13LpNormFunctorIN3c104HalfELNS0_8NormTypeE3EdLi1ELi1ELi0EEEJPdiEEEvT_T0_DpT1_
; %bb.0:
	v_mov_b32_e32 v1, s2
	global_load_ubyte v1, v1, s[0:1] offset:1760
	s_add_u32 s3, s0, s2
	s_mul_hi_u32 s4, s2, 3
	s_mul_i32 s2, s2, 3
	s_addc_u32 s5, s1, 0
	s_add_u32 s2, s3, s2
	s_addc_u32 s3, s5, s4
	s_load_dword s14, s[2:3], 0x820
	s_mov_b32 s13, 0
	s_waitcnt lgkmcnt(0)
	s_ashr_i32 s15, s14, 31
	s_lshl_b64 s[8:9], s[14:15], 16
	s_waitcnt vmcnt(0)
	v_readfirstlane_b32 s2, v1
	s_and_b32 s26, s2, 0xff
	s_lshl_b32 s6, s26, 3
	s_load_dwordx2 s[2:3], s[0:1], s6 offset:0x370
	s_load_dwordx2 s[4:5], s[0:1], s6 offset:0x0
	s_lshl_b64 s[6:7], s[14:15], 17
	s_waitcnt lgkmcnt(0)
	s_add_u32 s10, s4, s6
	s_addc_u32 s11, s5, s7
	s_sub_u32 s8, s2, s8
	s_subb_u32 s9, s3, s9
	s_and_b32 s12, s2, 3
	s_and_b32 s2, s10, 7
	s_mov_b32 s3, s13
	s_or_b64 s[2:3], s[12:13], s[2:3]
	s_cmp_eq_u64 s[2:3], 0
	s_cbranch_scc1 .LBB87_12
; %bb.1:
	v_cmp_lt_i64_e64 s[2:3], s[8:9], 1
	s_and_b64 vcc, exec, s[2:3]
	s_cbranch_vccnz .LBB87_13
; %bb.2:
	v_mov_b64_e32 v[2:3], 0x10000
	v_cmp_lt_i64_e32 vcc, s[8:9], v[2:3]
	s_and_b64 s[2:3], vcc, exec
	s_load_dword s2, s[0:1], 0xd4c
	v_mov_b32_e32 v11, 0
	v_mov_b32_e32 v10, v11
	s_cselect_b32 s13, s9, 0
	s_cselect_b32 s12, s8, 0x10000
	s_waitcnt lgkmcnt(0)
	s_and_b32 s16, s2, 0xffff
	v_mov_b32_e32 v12, v11
	v_mov_b32_e32 v13, v11
	;; [unrolled: 1-line block ×6, first 2 shown]
	v_mov_b64_e32 v[2:3], v[10:11]
	s_mov_b32 s15, 0x10000
	s_lshl_b32 s20, s16, 2
	v_lshl_add_u32 v18, s16, 1, v0
	v_mad_u64_u32 v[20:21], s[2:3], s16, 3, v[0:1]
	v_add_u32_e32 v22, s16, v0
	s_mov_b64 s[16:17], 0
	v_mov_b64_e32 v[4:5], v[12:13]
	v_mov_b64_e32 v[6:7], v[14:15]
	;; [unrolled: 1-line block ×3, first 2 shown]
	s_branch .LBB87_4
.LBB87_3:                               ;   in Loop: Header=BB87_4 Depth=1
	s_or_b64 exec, exec, s[18:19]
	s_add_u32 s16, s16, s20
	s_addc_u32 s17, s17, 0
	v_mov_b64_e32 v[12:13], s[12:13]
	v_cmp_lt_i64_e32 vcc, s[16:17], v[12:13]
	s_cbranch_vccz .LBB87_14
.LBB87_4:                               ; =>This Inner Loop Header: Depth=1
	v_add_u32_e32 v10, s16, v0
	v_cmp_gt_i64_e32 vcc, s[8:9], v[10:11]
	v_cmp_gt_u32_e64 s[2:3], s15, v10
	s_and_b64 s[2:3], s[2:3], vcc
	s_and_saveexec_b64 s[18:19], s[2:3]
	s_cbranch_execz .LBB87_6
; %bb.5:                                ;   in Loop: Header=BB87_4 Depth=1
	v_lshl_add_u64 v[12:13], v[10:11], 1, s[10:11]
	global_load_ushort v1, v[12:13], off
	s_waitcnt vmcnt(0)
	v_and_b32_e32 v10, 0x7fff, v1
	v_cvt_f32_f16_e32 v10, v10
	v_cmp_u_f16_e32 vcc, v1, v1
	v_cvt_f64_f32_e32 v[12:13], v10
	v_cmp_lt_f64_e64 s[2:3], v[2:3], v[12:13]
	s_or_b64 vcc, vcc, s[2:3]
	v_cndmask_b32_e32 v3, v3, v13, vcc
	v_cndmask_b32_e32 v2, v2, v12, vcc
.LBB87_6:                               ;   in Loop: Header=BB87_4 Depth=1
	s_or_b64 exec, exec, s[18:19]
	v_add_u32_e32 v10, s16, v22
	v_cmp_gt_i64_e32 vcc, s[8:9], v[10:11]
	v_cmp_gt_u32_e64 s[2:3], s15, v10
	s_and_b64 s[2:3], s[2:3], vcc
	s_and_saveexec_b64 s[18:19], s[2:3]
	s_cbranch_execz .LBB87_8
; %bb.7:                                ;   in Loop: Header=BB87_4 Depth=1
	v_lshl_add_u64 v[12:13], v[10:11], 1, s[10:11]
	global_load_ushort v1, v[12:13], off
	s_waitcnt vmcnt(0)
	v_and_b32_e32 v10, 0x7fff, v1
	v_cvt_f32_f16_e32 v10, v10
	v_cmp_u_f16_e32 vcc, v1, v1
	v_cvt_f64_f32_e32 v[12:13], v10
	v_cmp_lt_f64_e64 s[2:3], v[4:5], v[12:13]
	s_or_b64 vcc, vcc, s[2:3]
	v_cndmask_b32_e32 v5, v5, v13, vcc
	v_cndmask_b32_e32 v4, v4, v12, vcc
.LBB87_8:                               ;   in Loop: Header=BB87_4 Depth=1
	s_or_b64 exec, exec, s[18:19]
	v_add_u32_e32 v10, s16, v18
	v_cmp_gt_i64_e32 vcc, s[8:9], v[10:11]
	v_cmp_gt_u32_e64 s[2:3], s15, v10
	s_and_b64 s[2:3], s[2:3], vcc
	s_and_saveexec_b64 s[18:19], s[2:3]
	s_cbranch_execz .LBB87_10
; %bb.9:                                ;   in Loop: Header=BB87_4 Depth=1
	v_lshl_add_u64 v[12:13], v[10:11], 1, s[10:11]
	global_load_ushort v1, v[12:13], off
	s_waitcnt vmcnt(0)
	v_and_b32_e32 v10, 0x7fff, v1
	v_cvt_f32_f16_e32 v10, v10
	v_cmp_u_f16_e32 vcc, v1, v1
	v_cvt_f64_f32_e32 v[12:13], v10
	v_cmp_lt_f64_e64 s[2:3], v[6:7], v[12:13]
	s_or_b64 vcc, vcc, s[2:3]
	v_cndmask_b32_e32 v7, v7, v13, vcc
	v_cndmask_b32_e32 v6, v6, v12, vcc
.LBB87_10:                              ;   in Loop: Header=BB87_4 Depth=1
	s_or_b64 exec, exec, s[18:19]
	v_add_u32_e32 v10, s16, v20
	v_cmp_gt_i64_e32 vcc, s[8:9], v[10:11]
	v_cmp_gt_u32_e64 s[2:3], s15, v10
	s_and_b64 s[2:3], s[2:3], vcc
	s_and_saveexec_b64 s[18:19], s[2:3]
	s_cbranch_execz .LBB87_3
; %bb.11:                               ;   in Loop: Header=BB87_4 Depth=1
	v_lshl_add_u64 v[12:13], v[10:11], 1, s[10:11]
	global_load_ushort v1, v[12:13], off
	s_waitcnt vmcnt(0)
	v_and_b32_e32 v10, 0x7fff, v1
	v_cvt_f32_f16_e32 v10, v10
	v_cmp_u_f16_e32 vcc, v1, v1
	v_cvt_f64_f32_e32 v[12:13], v10
	v_cmp_lt_f64_e64 s[2:3], v[8:9], v[12:13]
	s_or_b64 vcc, vcc, s[2:3]
	v_cndmask_b32_e32 v9, v9, v13, vcc
	v_cndmask_b32_e32 v8, v8, v12, vcc
	s_branch .LBB87_3
.LBB87_12:
                                        ; implicit-def: $vgpr2_vgpr3_vgpr4_vgpr5_vgpr6_vgpr7_vgpr8_vgpr9
	s_branch .LBB87_15
.LBB87_13:
	v_mov_b32_e32 v2, 0
	v_mov_b32_e32 v3, v2
	;; [unrolled: 1-line block ×8, first 2 shown]
.LBB87_14:
	s_cbranch_execnz .LBB87_20
.LBB87_15:
	v_mov_b64_e32 v[4:5], 0x10000
	v_cmp_lt_i64_e32 vcc, s[8:9], v[4:5]
	s_and_b64 s[2:3], vcc, exec
	v_mov_b32_e32 v3, 0
	s_cselect_b32 s19, s9, 0
	s_cselect_b32 s18, s8, 0x10000
	v_lshlrev_b32_e32 v2, 2, v0
	s_mov_b32 s17, 0
	v_cmp_gt_i64_e32 vcc, s[18:19], v[2:3]
	v_mov_b32_e32 v2, v3
	v_mov_b32_e32 v4, v3
	;; [unrolled: 1-line block ×7, first 2 shown]
	s_and_saveexec_b64 s[20:21], vcc
	s_cbranch_execz .LBB87_19
; %bb.16:
	s_load_dword s2, s[0:1], 0xd4c
	v_lshlrev_b32_e32 v2, 3, v0
	v_mov_b32_e32 v1, v3
	s_mov_b32 s23, s17
	s_mov_b64 s[24:25], 0
	s_waitcnt lgkmcnt(0)
	s_and_b32 s16, s2, 0xffff
	s_add_u32 s2, s4, s6
	s_addc_u32 s3, s5, s7
	v_lshl_add_u64 v[2:3], s[2:3], 0, v[2:3]
	s_lshl_b32 s22, s16, 3
	v_lshl_add_u64 v[10:11], v[2:3], 0, 4
	v_mov_b64_e32 v[2:3], 0
	s_movk_i32 s15, 0x7fff
	v_mov_b64_e32 v[12:13], v[0:1]
	v_mov_b64_e32 v[4:5], 0
	;; [unrolled: 1-line block ×4, first 2 shown]
.LBB87_17:                              ; =>This Inner Loop Header: Depth=1
	global_load_dwordx2 v[14:15], v[10:11], off offset:-4
	v_lshl_add_u64 v[12:13], v[12:13], 0, s[16:17]
	v_lshlrev_b64 v[16:17], 2, v[12:13]
	v_cmp_le_i64_e32 vcc, s[18:19], v[16:17]
	v_lshl_add_u64 v[10:11], v[10:11], 0, s[22:23]
	s_waitcnt vmcnt(0)
	v_and_b32_e32 v1, 0x7fff, v14
	v_cmp_u_f16_e64 s[2:3], v14, v14
	v_and_b32_sdwa v16, s15, v14 dst_sel:DWORD dst_unused:UNUSED_PAD src0_sel:DWORD src1_sel:WORD_1
	v_cmp_u_f16_sdwa s[28:29], v14, v14 src0_sel:WORD_1 src1_sel:WORD_1
	v_and_b32_e32 v14, 0x7fff, v15
	v_and_b32_sdwa v17, s15, v15 dst_sel:DWORD dst_unused:UNUSED_PAD src0_sel:DWORD src1_sel:WORD_1
	v_cvt_f32_f16_e32 v1, v1
	v_cvt_f32_f16_e32 v16, v16
	;; [unrolled: 1-line block ×4, first 2 shown]
	v_cmp_u_f16_e64 s[4:5], v15, v15
	v_cmp_u_f16_sdwa s[30:31], v15, v15 src0_sel:WORD_1 src1_sel:WORD_1
	v_cvt_f64_f32_e32 v[14:15], v1
	v_cvt_f64_f32_e32 v[16:17], v16
	v_cvt_f64_f32_e32 v[18:19], v18
	v_cvt_f64_f32_e32 v[20:21], v20
	v_cmp_lt_f64_e64 s[6:7], v[2:3], v[14:15]
	v_cmp_lt_f64_e64 s[8:9], v[4:5], v[16:17]
	;; [unrolled: 1-line block ×4, first 2 shown]
	s_or_b64 s[2:3], s[2:3], s[6:7]
	s_or_b64 s[6:7], s[28:29], s[8:9]
	;; [unrolled: 1-line block ×4, first 2 shown]
	v_cndmask_b32_e64 v3, v3, v15, s[2:3]
	v_cndmask_b32_e64 v5, v5, v17, s[6:7]
	;; [unrolled: 1-line block ×7, first 2 shown]
	s_or_b64 s[24:25], vcc, s[24:25]
	v_cndmask_b32_e64 v8, v8, v20, s[8:9]
	s_andn2_b64 exec, exec, s[24:25]
	s_cbranch_execnz .LBB87_17
; %bb.18:
	s_or_b64 exec, exec, s[24:25]
.LBB87_19:
	s_or_b64 exec, exec, s[20:21]
.LBB87_20:
	v_cmp_nge_f64_e32 vcc, 0, v[2:3]
	v_mbcnt_lo_u32_b32 v1, -1, 0
	v_mbcnt_hi_u32_b32 v10, -1, v1
	v_cndmask_b32_e32 v3, 0, v3, vcc
	v_cndmask_b32_e32 v2, 0, v2, vcc
	v_cmp_u_f64_e32 vcc, v[4:5], v[4:5]
	v_cmp_lt_f64_e64 s[2:3], v[2:3], v[4:5]
	s_or_b64 vcc, vcc, s[2:3]
	v_cndmask_b32_e32 v3, v3, v5, vcc
	v_cndmask_b32_e32 v2, v2, v4, vcc
	v_cmp_u_f64_e32 vcc, v[6:7], v[6:7]
	v_cmp_lt_f64_e64 s[2:3], v[2:3], v[6:7]
	s_or_b64 vcc, vcc, s[2:3]
	;; [unrolled: 5-line block ×3, first 2 shown]
	v_mov_b32_e32 v1, 0x80
	v_cndmask_b32_e32 v3, v3, v9, vcc
	v_cndmask_b32_e32 v2, v2, v8, vcc
	v_lshl_or_b32 v1, v10, 2, v1
	ds_bpermute_b32 v4, v1, v2
	ds_bpermute_b32 v5, v1, v3
	v_and_b32_e32 v12, 63, v10
	v_and_b32_e32 v11, 63, v0
	s_waitcnt lgkmcnt(0)
	s_barrier
	v_cmp_u_f64_e32 vcc, v[4:5], v[4:5]
	v_cmp_lt_f64_e64 s[2:3], v[2:3], v[4:5]
	s_or_b64 vcc, vcc, s[2:3]
	v_cndmask_b32_e32 v3, v3, v5, vcc
	v_cndmask_b32_e32 v2, v2, v4, vcc
	v_cmp_gt_u32_e32 vcc, 48, v12
	s_nop 1
	v_cndmask_b32_e64 v4, 0, 16, vcc
	v_add_lshl_u32 v6, v4, v10, 2
	ds_bpermute_b32 v4, v6, v2
	ds_bpermute_b32 v5, v6, v3
	s_waitcnt lgkmcnt(0)
	v_cmp_u_f64_e32 vcc, v[4:5], v[4:5]
	v_cmp_lt_f64_e64 s[2:3], v[2:3], v[4:5]
	s_or_b64 vcc, vcc, s[2:3]
	v_cndmask_b32_e32 v3, v3, v5, vcc
	v_cndmask_b32_e32 v2, v2, v4, vcc
	v_cmp_gt_u32_e32 vcc, 56, v12
	s_nop 1
	v_cndmask_b32_e64 v4, 0, 8, vcc
	v_add_lshl_u32 v7, v4, v10, 2
	ds_bpermute_b32 v4, v7, v2
	ds_bpermute_b32 v5, v7, v3
	s_waitcnt lgkmcnt(0)
	;; [unrolled: 12-line block ×4, first 2 shown]
	v_cmp_u_f64_e32 vcc, v[4:5], v[4:5]
	v_cmp_lt_f64_e64 s[2:3], v[2:3], v[4:5]
	s_or_b64 vcc, vcc, s[2:3]
	v_cndmask_b32_e32 v3, v3, v5, vcc
	v_cndmask_b32_e32 v2, v2, v4, vcc
	v_cmp_ne_u32_e32 vcc, 63, v12
	s_nop 1
	v_addc_co_u32_e32 v4, vcc, 0, v10, vcc
	v_lshlrev_b32_e32 v10, 2, v4
	ds_bpermute_b32 v4, v10, v2
	ds_bpermute_b32 v5, v10, v3
	v_cmp_eq_u32_e32 vcc, 0, v11
	s_and_saveexec_b64 s[4:5], vcc
	s_cbranch_execz .LBB87_22
; %bb.21:
	s_waitcnt lgkmcnt(0)
	v_cmp_u_f64_e32 vcc, v[4:5], v[4:5]
	v_cmp_lt_f64_e64 s[2:3], v[2:3], v[4:5]
	s_or_b64 vcc, vcc, s[2:3]
	v_lshrrev_b32_e32 v12, 3, v0
	v_cndmask_b32_e32 v3, v3, v5, vcc
	v_cndmask_b32_e32 v2, v2, v4, vcc
	ds_write_b64 v12, v[2:3]
.LBB87_22:
	s_or_b64 exec, exec, s[4:5]
	s_waitcnt lgkmcnt(0)
	s_barrier
	s_load_dword s2, s[0:1], 0xd4c
	v_mov_b32_e32 v2, -1
	v_mov_b32_e32 v3, 0xffefffff
	s_waitcnt lgkmcnt(0)
	s_bfe_u32 s2, s2, 0xa0006
	v_cmp_gt_u32_e32 vcc, s2, v0
	s_and_saveexec_b64 s[2:3], vcc
	s_cbranch_execnz .LBB87_26
; %bb.23:
	s_or_b64 exec, exec, s[2:3]
	v_cmp_gt_u32_e32 vcc, 64, v0
	s_and_saveexec_b64 s[4:5], vcc
	s_cbranch_execnz .LBB87_27
.LBB87_24:
	s_or_b64 exec, exec, s[4:5]
	v_cmp_eq_u32_e32 vcc, 0, v0
	s_and_saveexec_b64 s[2:3], vcc
	s_cbranch_execnz .LBB87_28
.LBB87_25:
	s_endpgm
.LBB87_26:
	v_lshlrev_b32_e32 v2, 3, v11
	ds_read_b64 v[2:3], v2
	s_or_b64 exec, exec, s[2:3]
	v_cmp_gt_u32_e32 vcc, 64, v0
	s_and_saveexec_b64 s[4:5], vcc
	s_cbranch_execz .LBB87_24
.LBB87_27:
	s_waitcnt lgkmcnt(0)
	ds_bpermute_b32 v4, v1, v2
	ds_bpermute_b32 v5, v1, v3
	s_waitcnt lgkmcnt(0)
	v_cmp_u_f64_e32 vcc, v[4:5], v[4:5]
	v_cmp_lt_f64_e64 s[2:3], v[2:3], v[4:5]
	s_or_b64 vcc, vcc, s[2:3]
	v_cndmask_b32_e32 v3, v3, v5, vcc
	v_cndmask_b32_e32 v2, v2, v4, vcc
	ds_bpermute_b32 v5, v6, v3
	ds_bpermute_b32 v4, v6, v2
	s_waitcnt lgkmcnt(0)
	v_cmp_u_f64_e32 vcc, v[4:5], v[4:5]
	v_cmp_lt_f64_e64 s[2:3], v[2:3], v[4:5]
	s_or_b64 vcc, vcc, s[2:3]
	v_cndmask_b32_e32 v3, v3, v5, vcc
	v_cndmask_b32_e32 v2, v2, v4, vcc
	;; [unrolled: 8-line block ×6, first 2 shown]
	s_or_b64 exec, exec, s[4:5]
	v_cmp_eq_u32_e32 vcc, 0, v0
	s_and_saveexec_b64 s[2:3], vcc
	s_cbranch_execz .LBB87_25
.LBB87_28:
	s_load_dword s4, s[0:1], 0xd20
	s_load_dword s5, s[0:1], 0xd38
	s_load_dwordx2 s[2:3], s[0:1], 0xd30
	v_mov_b32_e32 v0, 0
	s_waitcnt lgkmcnt(0)
	s_add_i32 s0, s4, s26
	s_mul_i32 s0, s0, s5
	s_add_i32 s0, s0, s14
	s_ashr_i32 s1, s0, 31
	s_lshl_b64 s[0:1], s[0:1], 3
	s_add_u32 s0, s2, s0
	s_addc_u32 s1, s3, s1
	global_store_dwordx2 v0, v[2:3], s[0:1]
	s_endpgm
	.section	.rodata,"a",@progbits
	.p2align	6, 0x0
	.amdhsa_kernel _ZN2at6native12_GLOBAL__N_125multi_tensor_apply_kernelINS1_18TensorListMetadataILi1EEENS0_13LpNormFunctorIN3c104HalfELNS0_8NormTypeE3EdLi1ELi1ELi0EEEJPdiEEEvT_T0_DpT1_
		.amdhsa_group_segment_fixed_size 4096
		.amdhsa_private_segment_fixed_size 0
		.amdhsa_kernarg_size 3648
		.amdhsa_user_sgpr_count 2
		.amdhsa_user_sgpr_dispatch_ptr 0
		.amdhsa_user_sgpr_queue_ptr 0
		.amdhsa_user_sgpr_kernarg_segment_ptr 1
		.amdhsa_user_sgpr_dispatch_id 0
		.amdhsa_user_sgpr_kernarg_preload_length 0
		.amdhsa_user_sgpr_kernarg_preload_offset 0
		.amdhsa_user_sgpr_private_segment_size 0
		.amdhsa_uses_dynamic_stack 0
		.amdhsa_enable_private_segment 0
		.amdhsa_system_sgpr_workgroup_id_x 1
		.amdhsa_system_sgpr_workgroup_id_y 0
		.amdhsa_system_sgpr_workgroup_id_z 0
		.amdhsa_system_sgpr_workgroup_info 0
		.amdhsa_system_vgpr_workitem_id 0
		.amdhsa_next_free_vgpr 23
		.amdhsa_next_free_sgpr 32
		.amdhsa_accum_offset 24
		.amdhsa_reserve_vcc 1
		.amdhsa_float_round_mode_32 0
		.amdhsa_float_round_mode_16_64 0
		.amdhsa_float_denorm_mode_32 3
		.amdhsa_float_denorm_mode_16_64 3
		.amdhsa_dx10_clamp 1
		.amdhsa_ieee_mode 1
		.amdhsa_fp16_overflow 0
		.amdhsa_tg_split 0
		.amdhsa_exception_fp_ieee_invalid_op 0
		.amdhsa_exception_fp_denorm_src 0
		.amdhsa_exception_fp_ieee_div_zero 0
		.amdhsa_exception_fp_ieee_overflow 0
		.amdhsa_exception_fp_ieee_underflow 0
		.amdhsa_exception_fp_ieee_inexact 0
		.amdhsa_exception_int_div_zero 0
	.end_amdhsa_kernel
	.section	.text._ZN2at6native12_GLOBAL__N_125multi_tensor_apply_kernelINS1_18TensorListMetadataILi1EEENS0_13LpNormFunctorIN3c104HalfELNS0_8NormTypeE3EdLi1ELi1ELi0EEEJPdiEEEvT_T0_DpT1_,"axG",@progbits,_ZN2at6native12_GLOBAL__N_125multi_tensor_apply_kernelINS1_18TensorListMetadataILi1EEENS0_13LpNormFunctorIN3c104HalfELNS0_8NormTypeE3EdLi1ELi1ELi0EEEJPdiEEEvT_T0_DpT1_,comdat
.Lfunc_end87:
	.size	_ZN2at6native12_GLOBAL__N_125multi_tensor_apply_kernelINS1_18TensorListMetadataILi1EEENS0_13LpNormFunctorIN3c104HalfELNS0_8NormTypeE3EdLi1ELi1ELi0EEEJPdiEEEvT_T0_DpT1_, .Lfunc_end87-_ZN2at6native12_GLOBAL__N_125multi_tensor_apply_kernelINS1_18TensorListMetadataILi1EEENS0_13LpNormFunctorIN3c104HalfELNS0_8NormTypeE3EdLi1ELi1ELi0EEEJPdiEEEvT_T0_DpT1_
                                        ; -- End function
	.set _ZN2at6native12_GLOBAL__N_125multi_tensor_apply_kernelINS1_18TensorListMetadataILi1EEENS0_13LpNormFunctorIN3c104HalfELNS0_8NormTypeE3EdLi1ELi1ELi0EEEJPdiEEEvT_T0_DpT1_.num_vgpr, 23
	.set _ZN2at6native12_GLOBAL__N_125multi_tensor_apply_kernelINS1_18TensorListMetadataILi1EEENS0_13LpNormFunctorIN3c104HalfELNS0_8NormTypeE3EdLi1ELi1ELi0EEEJPdiEEEvT_T0_DpT1_.num_agpr, 0
	.set _ZN2at6native12_GLOBAL__N_125multi_tensor_apply_kernelINS1_18TensorListMetadataILi1EEENS0_13LpNormFunctorIN3c104HalfELNS0_8NormTypeE3EdLi1ELi1ELi0EEEJPdiEEEvT_T0_DpT1_.numbered_sgpr, 32
	.set _ZN2at6native12_GLOBAL__N_125multi_tensor_apply_kernelINS1_18TensorListMetadataILi1EEENS0_13LpNormFunctorIN3c104HalfELNS0_8NormTypeE3EdLi1ELi1ELi0EEEJPdiEEEvT_T0_DpT1_.num_named_barrier, 0
	.set _ZN2at6native12_GLOBAL__N_125multi_tensor_apply_kernelINS1_18TensorListMetadataILi1EEENS0_13LpNormFunctorIN3c104HalfELNS0_8NormTypeE3EdLi1ELi1ELi0EEEJPdiEEEvT_T0_DpT1_.private_seg_size, 0
	.set _ZN2at6native12_GLOBAL__N_125multi_tensor_apply_kernelINS1_18TensorListMetadataILi1EEENS0_13LpNormFunctorIN3c104HalfELNS0_8NormTypeE3EdLi1ELi1ELi0EEEJPdiEEEvT_T0_DpT1_.uses_vcc, 1
	.set _ZN2at6native12_GLOBAL__N_125multi_tensor_apply_kernelINS1_18TensorListMetadataILi1EEENS0_13LpNormFunctorIN3c104HalfELNS0_8NormTypeE3EdLi1ELi1ELi0EEEJPdiEEEvT_T0_DpT1_.uses_flat_scratch, 0
	.set _ZN2at6native12_GLOBAL__N_125multi_tensor_apply_kernelINS1_18TensorListMetadataILi1EEENS0_13LpNormFunctorIN3c104HalfELNS0_8NormTypeE3EdLi1ELi1ELi0EEEJPdiEEEvT_T0_DpT1_.has_dyn_sized_stack, 0
	.set _ZN2at6native12_GLOBAL__N_125multi_tensor_apply_kernelINS1_18TensorListMetadataILi1EEENS0_13LpNormFunctorIN3c104HalfELNS0_8NormTypeE3EdLi1ELi1ELi0EEEJPdiEEEvT_T0_DpT1_.has_recursion, 0
	.set _ZN2at6native12_GLOBAL__N_125multi_tensor_apply_kernelINS1_18TensorListMetadataILi1EEENS0_13LpNormFunctorIN3c104HalfELNS0_8NormTypeE3EdLi1ELi1ELi0EEEJPdiEEEvT_T0_DpT1_.has_indirect_call, 0
	.section	.AMDGPU.csdata,"",@progbits
; Kernel info:
; codeLenInByte = 2168
; TotalNumSgprs: 38
; NumVgprs: 23
; NumAgprs: 0
; TotalNumVgprs: 23
; ScratchSize: 0
; MemoryBound: 0
; FloatMode: 240
; IeeeMode: 1
; LDSByteSize: 4096 bytes/workgroup (compile time only)
; SGPRBlocks: 4
; VGPRBlocks: 2
; NumSGPRsForWavesPerEU: 38
; NumVGPRsForWavesPerEU: 23
; AccumOffset: 24
; Occupancy: 8
; WaveLimiterHint : 0
; COMPUTE_PGM_RSRC2:SCRATCH_EN: 0
; COMPUTE_PGM_RSRC2:USER_SGPR: 2
; COMPUTE_PGM_RSRC2:TRAP_HANDLER: 0
; COMPUTE_PGM_RSRC2:TGID_X_EN: 1
; COMPUTE_PGM_RSRC2:TGID_Y_EN: 0
; COMPUTE_PGM_RSRC2:TGID_Z_EN: 0
; COMPUTE_PGM_RSRC2:TIDIG_COMP_CNT: 0
; COMPUTE_PGM_RSRC3_GFX90A:ACCUM_OFFSET: 5
; COMPUTE_PGM_RSRC3_GFX90A:TG_SPLIT: 0
	.section	.text._ZN2at6native14lpnorm_cleanupIN3c104HalfELNS0_8NormTypeE0EdLb1EdEEvPKT3_NS0_19TensorListAddressesEi,"axG",@progbits,_ZN2at6native14lpnorm_cleanupIN3c104HalfELNS0_8NormTypeE0EdLb1EdEEvPKT3_NS0_19TensorListAddressesEi,comdat
	.protected	_ZN2at6native14lpnorm_cleanupIN3c104HalfELNS0_8NormTypeE0EdLb1EdEEvPKT3_NS0_19TensorListAddressesEi ; -- Begin function _ZN2at6native14lpnorm_cleanupIN3c104HalfELNS0_8NormTypeE0EdLb1EdEEvPKT3_NS0_19TensorListAddressesEi
	.globl	_ZN2at6native14lpnorm_cleanupIN3c104HalfELNS0_8NormTypeE0EdLb1EdEEvPKT3_NS0_19TensorListAddressesEi
	.p2align	8
	.type	_ZN2at6native14lpnorm_cleanupIN3c104HalfELNS0_8NormTypeE0EdLb1EdEEvPKT3_NS0_19TensorListAddressesEi,@function
_ZN2at6native14lpnorm_cleanupIN3c104HalfELNS0_8NormTypeE0EdLb1EdEEvPKT3_NS0_19TensorListAddressesEi: ; @_ZN2at6native14lpnorm_cleanupIN3c104HalfELNS0_8NormTypeE0EdLb1EdEEvPKT3_NS0_19TensorListAddressesEi
; %bb.0:
	s_load_dword s6, s[0:1], 0xc88
	v_mov_b64_e32 v[2:3], 0
	s_waitcnt lgkmcnt(0)
	v_cmp_gt_u32_e32 vcc, s6, v0
	s_and_saveexec_b64 s[4:5], vcc
	s_cbranch_execz .LBB88_4
; %bb.1:
	s_load_dwordx2 s[12:13], s[0:1], 0x0
	s_load_dword s3, s[0:1], 0xc9c
	s_mul_i32 s8, s6, s2
	s_mov_b32 s9, 0
	s_ashr_i32 s7, s6, 31
	s_lshl_b64 s[14:15], s[8:9], 3
	s_waitcnt lgkmcnt(0)
	s_and_b32 s10, s3, 0xffff
	v_mov_b32_e32 v1, 0
	s_add_u32 s12, s12, s14
	v_lshlrev_b32_e32 v2, 3, v0
	v_mov_b32_e32 v3, v1
	s_addc_u32 s13, s13, s15
	s_mov_b32 s11, s9
	v_lshl_add_u64 v[4:5], s[12:13], 0, v[2:3]
	s_lshl_b32 s8, s10, 3
	v_mov_b64_e32 v[2:3], 0
	s_mov_b64 s[12:13], 0
	v_mov_b64_e32 v[6:7], v[0:1]
.LBB88_2:                               ; =>This Inner Loop Header: Depth=1
	global_load_dwordx2 v[8:9], v[4:5], off
	v_lshl_add_u64 v[6:7], v[6:7], 0, s[10:11]
	v_cmp_le_u64_e32 vcc, s[6:7], v[6:7]
	v_lshl_add_u64 v[4:5], v[4:5], 0, s[8:9]
	s_or_b64 s[12:13], vcc, s[12:13]
	s_waitcnt vmcnt(0)
	v_add_f64 v[2:3], v[2:3], v[8:9]
	s_andn2_b64 exec, exec, s[12:13]
	s_cbranch_execnz .LBB88_2
; %bb.3:
	s_or_b64 exec, exec, s[12:13]
.LBB88_4:
	s_or_b64 exec, exec, s[4:5]
	v_mbcnt_lo_u32_b32 v1, -1, 0
	v_mbcnt_hi_u32_b32 v10, -1, v1
	v_mov_b32_e32 v1, 0x80
	v_lshl_or_b32 v1, v10, 2, v1
	ds_bpermute_b32 v4, v1, v2
	ds_bpermute_b32 v5, v1, v3
	v_and_b32_e32 v12, 63, v10
	v_cmp_gt_u32_e32 vcc, 48, v12
	v_and_b32_e32 v11, 63, v0
	s_waitcnt lgkmcnt(0)
	v_add_f64 v[2:3], v[2:3], v[4:5]
	v_cndmask_b32_e64 v4, 0, 16, vcc
	v_add_lshl_u32 v6, v4, v10, 2
	ds_bpermute_b32 v4, v6, v2
	ds_bpermute_b32 v5, v6, v3
	v_cmp_gt_u32_e32 vcc, 56, v12
	s_barrier
	s_waitcnt lgkmcnt(0)
	v_add_f64 v[2:3], v[2:3], v[4:5]
	v_cndmask_b32_e64 v4, 0, 8, vcc
	v_add_lshl_u32 v7, v4, v10, 2
	ds_bpermute_b32 v4, v7, v2
	ds_bpermute_b32 v5, v7, v3
	v_cmp_gt_u32_e32 vcc, 60, v12
	s_waitcnt lgkmcnt(0)
	v_add_f64 v[2:3], v[2:3], v[4:5]
	v_cndmask_b32_e64 v4, 0, 4, vcc
	v_add_lshl_u32 v8, v4, v10, 2
	ds_bpermute_b32 v4, v8, v2
	ds_bpermute_b32 v5, v8, v3
	v_cmp_gt_u32_e32 vcc, 62, v12
	s_waitcnt lgkmcnt(0)
	v_add_f64 v[2:3], v[2:3], v[4:5]
	v_cndmask_b32_e64 v4, 0, 2, vcc
	v_add_lshl_u32 v9, v4, v10, 2
	ds_bpermute_b32 v4, v9, v2
	ds_bpermute_b32 v5, v9, v3
	v_cmp_ne_u32_e32 vcc, 63, v12
	s_waitcnt lgkmcnt(0)
	v_add_f64 v[2:3], v[2:3], v[4:5]
	v_addc_co_u32_e32 v4, vcc, 0, v10, vcc
	v_lshlrev_b32_e32 v10, 2, v4
	ds_bpermute_b32 v4, v10, v2
	ds_bpermute_b32 v5, v10, v3
	v_cmp_eq_u32_e32 vcc, 0, v11
	s_and_saveexec_b64 s[4:5], vcc
	s_cbranch_execz .LBB88_6
; %bb.5:
	v_lshrrev_b32_e32 v12, 3, v0
	s_waitcnt lgkmcnt(0)
	v_add_f64 v[2:3], v[2:3], v[4:5]
	ds_write_b64 v12, v[2:3]
.LBB88_6:
	s_or_b64 exec, exec, s[4:5]
	s_waitcnt lgkmcnt(0)
	s_barrier
	s_load_dword s3, s[0:1], 0xc9c
	v_mov_b64_e32 v[2:3], 0
	s_waitcnt lgkmcnt(0)
	s_bfe_u32 s3, s3, 0xa0006
	v_cmp_gt_u32_e32 vcc, s3, v0
	s_and_saveexec_b64 s[4:5], vcc
; %bb.7:
	v_lshlrev_b32_e32 v2, 3, v11
	ds_read_b64 v[2:3], v2
; %bb.8:
	s_or_b64 exec, exec, s[4:5]
	v_cmp_gt_u32_e32 vcc, 64, v0
	s_and_saveexec_b64 s[4:5], vcc
	s_cbranch_execz .LBB88_10
; %bb.9:
	s_waitcnt lgkmcnt(0)
	ds_bpermute_b32 v4, v1, v2
	ds_bpermute_b32 v5, v1, v3
	s_waitcnt lgkmcnt(0)
	v_add_f64 v[2:3], v[2:3], v[4:5]
	ds_bpermute_b32 v4, v6, v2
	ds_bpermute_b32 v5, v6, v3
	s_waitcnt lgkmcnt(0)
	v_add_f64 v[2:3], v[2:3], v[4:5]
	;; [unrolled: 4-line block ×6, first 2 shown]
.LBB88_10:
	s_or_b64 exec, exec, s[4:5]
	s_mov_b32 s3, 0
	v_cmp_eq_u32_e32 vcc, 0, v0
	s_and_saveexec_b64 s[4:5], vcc
	s_cbranch_execz .LBB88_12
; %bb.11:
	s_lshl_b64 s[2:3], s[2:3], 3
	s_add_u32 s0, s0, s2
	s_addc_u32 s1, s1, s3
	s_load_dwordx2 s[0:1], s[0:1], 0x8
	v_mov_b32_e32 v0, 0
	s_waitcnt lgkmcnt(0)
	global_store_dwordx2 v0, v[2:3], s[0:1]
.LBB88_12:
	s_endpgm
	.section	.rodata,"a",@progbits
	.p2align	6, 0x0
	.amdhsa_kernel _ZN2at6native14lpnorm_cleanupIN3c104HalfELNS0_8NormTypeE0EdLb1EdEEvPKT3_NS0_19TensorListAddressesEi
		.amdhsa_group_segment_fixed_size 4096
		.amdhsa_private_segment_fixed_size 0
		.amdhsa_kernarg_size 3472
		.amdhsa_user_sgpr_count 2
		.amdhsa_user_sgpr_dispatch_ptr 0
		.amdhsa_user_sgpr_queue_ptr 0
		.amdhsa_user_sgpr_kernarg_segment_ptr 1
		.amdhsa_user_sgpr_dispatch_id 0
		.amdhsa_user_sgpr_kernarg_preload_length 0
		.amdhsa_user_sgpr_kernarg_preload_offset 0
		.amdhsa_user_sgpr_private_segment_size 0
		.amdhsa_uses_dynamic_stack 0
		.amdhsa_enable_private_segment 0
		.amdhsa_system_sgpr_workgroup_id_x 1
		.amdhsa_system_sgpr_workgroup_id_y 0
		.amdhsa_system_sgpr_workgroup_id_z 0
		.amdhsa_system_sgpr_workgroup_info 0
		.amdhsa_system_vgpr_workitem_id 0
		.amdhsa_next_free_vgpr 13
		.amdhsa_next_free_sgpr 16
		.amdhsa_accum_offset 16
		.amdhsa_reserve_vcc 1
		.amdhsa_float_round_mode_32 0
		.amdhsa_float_round_mode_16_64 0
		.amdhsa_float_denorm_mode_32 3
		.amdhsa_float_denorm_mode_16_64 3
		.amdhsa_dx10_clamp 1
		.amdhsa_ieee_mode 1
		.amdhsa_fp16_overflow 0
		.amdhsa_tg_split 0
		.amdhsa_exception_fp_ieee_invalid_op 0
		.amdhsa_exception_fp_denorm_src 0
		.amdhsa_exception_fp_ieee_div_zero 0
		.amdhsa_exception_fp_ieee_overflow 0
		.amdhsa_exception_fp_ieee_underflow 0
		.amdhsa_exception_fp_ieee_inexact 0
		.amdhsa_exception_int_div_zero 0
	.end_amdhsa_kernel
	.section	.text._ZN2at6native14lpnorm_cleanupIN3c104HalfELNS0_8NormTypeE0EdLb1EdEEvPKT3_NS0_19TensorListAddressesEi,"axG",@progbits,_ZN2at6native14lpnorm_cleanupIN3c104HalfELNS0_8NormTypeE0EdLb1EdEEvPKT3_NS0_19TensorListAddressesEi,comdat
.Lfunc_end88:
	.size	_ZN2at6native14lpnorm_cleanupIN3c104HalfELNS0_8NormTypeE0EdLb1EdEEvPKT3_NS0_19TensorListAddressesEi, .Lfunc_end88-_ZN2at6native14lpnorm_cleanupIN3c104HalfELNS0_8NormTypeE0EdLb1EdEEvPKT3_NS0_19TensorListAddressesEi
                                        ; -- End function
	.set _ZN2at6native14lpnorm_cleanupIN3c104HalfELNS0_8NormTypeE0EdLb1EdEEvPKT3_NS0_19TensorListAddressesEi.num_vgpr, 13
	.set _ZN2at6native14lpnorm_cleanupIN3c104HalfELNS0_8NormTypeE0EdLb1EdEEvPKT3_NS0_19TensorListAddressesEi.num_agpr, 0
	.set _ZN2at6native14lpnorm_cleanupIN3c104HalfELNS0_8NormTypeE0EdLb1EdEEvPKT3_NS0_19TensorListAddressesEi.numbered_sgpr, 16
	.set _ZN2at6native14lpnorm_cleanupIN3c104HalfELNS0_8NormTypeE0EdLb1EdEEvPKT3_NS0_19TensorListAddressesEi.num_named_barrier, 0
	.set _ZN2at6native14lpnorm_cleanupIN3c104HalfELNS0_8NormTypeE0EdLb1EdEEvPKT3_NS0_19TensorListAddressesEi.private_seg_size, 0
	.set _ZN2at6native14lpnorm_cleanupIN3c104HalfELNS0_8NormTypeE0EdLb1EdEEvPKT3_NS0_19TensorListAddressesEi.uses_vcc, 1
	.set _ZN2at6native14lpnorm_cleanupIN3c104HalfELNS0_8NormTypeE0EdLb1EdEEvPKT3_NS0_19TensorListAddressesEi.uses_flat_scratch, 0
	.set _ZN2at6native14lpnorm_cleanupIN3c104HalfELNS0_8NormTypeE0EdLb1EdEEvPKT3_NS0_19TensorListAddressesEi.has_dyn_sized_stack, 0
	.set _ZN2at6native14lpnorm_cleanupIN3c104HalfELNS0_8NormTypeE0EdLb1EdEEvPKT3_NS0_19TensorListAddressesEi.has_recursion, 0
	.set _ZN2at6native14lpnorm_cleanupIN3c104HalfELNS0_8NormTypeE0EdLb1EdEEvPKT3_NS0_19TensorListAddressesEi.has_indirect_call, 0
	.section	.AMDGPU.csdata,"",@progbits
; Kernel info:
; codeLenInByte = 812
; TotalNumSgprs: 22
; NumVgprs: 13
; NumAgprs: 0
; TotalNumVgprs: 13
; ScratchSize: 0
; MemoryBound: 0
; FloatMode: 240
; IeeeMode: 1
; LDSByteSize: 4096 bytes/workgroup (compile time only)
; SGPRBlocks: 2
; VGPRBlocks: 1
; NumSGPRsForWavesPerEU: 22
; NumVGPRsForWavesPerEU: 13
; AccumOffset: 16
; Occupancy: 8
; WaveLimiterHint : 0
; COMPUTE_PGM_RSRC2:SCRATCH_EN: 0
; COMPUTE_PGM_RSRC2:USER_SGPR: 2
; COMPUTE_PGM_RSRC2:TRAP_HANDLER: 0
; COMPUTE_PGM_RSRC2:TGID_X_EN: 1
; COMPUTE_PGM_RSRC2:TGID_Y_EN: 0
; COMPUTE_PGM_RSRC2:TGID_Z_EN: 0
; COMPUTE_PGM_RSRC2:TIDIG_COMP_CNT: 0
; COMPUTE_PGM_RSRC3_GFX90A:ACCUM_OFFSET: 3
; COMPUTE_PGM_RSRC3_GFX90A:TG_SPLIT: 0
	.section	.text._ZN2at6native14lpnorm_cleanupIN3c104HalfELNS0_8NormTypeE1EdLb1EdEEvPKT3_NS0_19TensorListAddressesEi,"axG",@progbits,_ZN2at6native14lpnorm_cleanupIN3c104HalfELNS0_8NormTypeE1EdLb1EdEEvPKT3_NS0_19TensorListAddressesEi,comdat
	.protected	_ZN2at6native14lpnorm_cleanupIN3c104HalfELNS0_8NormTypeE1EdLb1EdEEvPKT3_NS0_19TensorListAddressesEi ; -- Begin function _ZN2at6native14lpnorm_cleanupIN3c104HalfELNS0_8NormTypeE1EdLb1EdEEvPKT3_NS0_19TensorListAddressesEi
	.globl	_ZN2at6native14lpnorm_cleanupIN3c104HalfELNS0_8NormTypeE1EdLb1EdEEvPKT3_NS0_19TensorListAddressesEi
	.p2align	8
	.type	_ZN2at6native14lpnorm_cleanupIN3c104HalfELNS0_8NormTypeE1EdLb1EdEEvPKT3_NS0_19TensorListAddressesEi,@function
_ZN2at6native14lpnorm_cleanupIN3c104HalfELNS0_8NormTypeE1EdLb1EdEEvPKT3_NS0_19TensorListAddressesEi: ; @_ZN2at6native14lpnorm_cleanupIN3c104HalfELNS0_8NormTypeE1EdLb1EdEEvPKT3_NS0_19TensorListAddressesEi
; %bb.0:
	s_load_dword s6, s[0:1], 0xc88
	v_mov_b64_e32 v[2:3], 0
	s_waitcnt lgkmcnt(0)
	v_cmp_gt_u32_e32 vcc, s6, v0
	s_and_saveexec_b64 s[4:5], vcc
	s_cbranch_execz .LBB89_4
; %bb.1:
	s_load_dwordx2 s[12:13], s[0:1], 0x0
	s_load_dword s3, s[0:1], 0xc9c
	s_mul_i32 s8, s6, s2
	s_mov_b32 s9, 0
	s_ashr_i32 s7, s6, 31
	s_lshl_b64 s[14:15], s[8:9], 3
	s_waitcnt lgkmcnt(0)
	s_and_b32 s10, s3, 0xffff
	v_mov_b32_e32 v1, 0
	s_add_u32 s12, s12, s14
	v_lshlrev_b32_e32 v2, 3, v0
	v_mov_b32_e32 v3, v1
	s_addc_u32 s13, s13, s15
	s_mov_b32 s11, s9
	v_lshl_add_u64 v[4:5], s[12:13], 0, v[2:3]
	s_lshl_b32 s8, s10, 3
	v_mov_b64_e32 v[2:3], 0
	s_mov_b64 s[12:13], 0
	v_mov_b64_e32 v[6:7], v[0:1]
.LBB89_2:                               ; =>This Inner Loop Header: Depth=1
	global_load_dwordx2 v[8:9], v[4:5], off
	v_lshl_add_u64 v[6:7], v[6:7], 0, s[10:11]
	v_cmp_le_u64_e32 vcc, s[6:7], v[6:7]
	v_lshl_add_u64 v[4:5], v[4:5], 0, s[8:9]
	s_or_b64 s[12:13], vcc, s[12:13]
	s_waitcnt vmcnt(0)
	v_add_f64 v[2:3], v[2:3], v[8:9]
	s_andn2_b64 exec, exec, s[12:13]
	s_cbranch_execnz .LBB89_2
; %bb.3:
	s_or_b64 exec, exec, s[12:13]
.LBB89_4:
	s_or_b64 exec, exec, s[4:5]
	v_mbcnt_lo_u32_b32 v1, -1, 0
	v_mbcnt_hi_u32_b32 v10, -1, v1
	v_mov_b32_e32 v1, 0x80
	v_lshl_or_b32 v1, v10, 2, v1
	ds_bpermute_b32 v4, v1, v2
	ds_bpermute_b32 v5, v1, v3
	v_and_b32_e32 v12, 63, v10
	v_cmp_gt_u32_e32 vcc, 48, v12
	v_and_b32_e32 v11, 63, v0
	s_waitcnt lgkmcnt(0)
	v_add_f64 v[2:3], v[2:3], v[4:5]
	v_cndmask_b32_e64 v4, 0, 16, vcc
	v_add_lshl_u32 v6, v4, v10, 2
	ds_bpermute_b32 v4, v6, v2
	ds_bpermute_b32 v5, v6, v3
	v_cmp_gt_u32_e32 vcc, 56, v12
	s_barrier
	s_waitcnt lgkmcnt(0)
	v_add_f64 v[2:3], v[2:3], v[4:5]
	v_cndmask_b32_e64 v4, 0, 8, vcc
	v_add_lshl_u32 v7, v4, v10, 2
	ds_bpermute_b32 v4, v7, v2
	ds_bpermute_b32 v5, v7, v3
	v_cmp_gt_u32_e32 vcc, 60, v12
	s_waitcnt lgkmcnt(0)
	v_add_f64 v[2:3], v[2:3], v[4:5]
	v_cndmask_b32_e64 v4, 0, 4, vcc
	v_add_lshl_u32 v8, v4, v10, 2
	ds_bpermute_b32 v4, v8, v2
	ds_bpermute_b32 v5, v8, v3
	v_cmp_gt_u32_e32 vcc, 62, v12
	s_waitcnt lgkmcnt(0)
	v_add_f64 v[2:3], v[2:3], v[4:5]
	v_cndmask_b32_e64 v4, 0, 2, vcc
	v_add_lshl_u32 v9, v4, v10, 2
	ds_bpermute_b32 v4, v9, v2
	ds_bpermute_b32 v5, v9, v3
	v_cmp_ne_u32_e32 vcc, 63, v12
	s_waitcnt lgkmcnt(0)
	v_add_f64 v[2:3], v[2:3], v[4:5]
	v_addc_co_u32_e32 v4, vcc, 0, v10, vcc
	v_lshlrev_b32_e32 v10, 2, v4
	ds_bpermute_b32 v4, v10, v2
	ds_bpermute_b32 v5, v10, v3
	v_cmp_eq_u32_e32 vcc, 0, v11
	s_and_saveexec_b64 s[4:5], vcc
	s_cbranch_execz .LBB89_6
; %bb.5:
	v_lshrrev_b32_e32 v12, 3, v0
	s_waitcnt lgkmcnt(0)
	v_add_f64 v[2:3], v[2:3], v[4:5]
	ds_write_b64 v12, v[2:3]
.LBB89_6:
	s_or_b64 exec, exec, s[4:5]
	s_waitcnt lgkmcnt(0)
	s_barrier
	s_load_dword s3, s[0:1], 0xc9c
	v_mov_b64_e32 v[2:3], 0
	s_waitcnt lgkmcnt(0)
	s_bfe_u32 s3, s3, 0xa0006
	v_cmp_gt_u32_e32 vcc, s3, v0
	s_and_saveexec_b64 s[4:5], vcc
; %bb.7:
	v_lshlrev_b32_e32 v2, 3, v11
	ds_read_b64 v[2:3], v2
; %bb.8:
	s_or_b64 exec, exec, s[4:5]
	v_cmp_gt_u32_e32 vcc, 64, v0
	s_and_saveexec_b64 s[4:5], vcc
	s_cbranch_execz .LBB89_10
; %bb.9:
	s_waitcnt lgkmcnt(0)
	ds_bpermute_b32 v4, v1, v2
	ds_bpermute_b32 v5, v1, v3
	s_waitcnt lgkmcnt(0)
	v_add_f64 v[2:3], v[2:3], v[4:5]
	ds_bpermute_b32 v4, v6, v2
	ds_bpermute_b32 v5, v6, v3
	s_waitcnt lgkmcnt(0)
	v_add_f64 v[2:3], v[2:3], v[4:5]
	;; [unrolled: 4-line block ×6, first 2 shown]
.LBB89_10:
	s_or_b64 exec, exec, s[4:5]
	s_mov_b32 s3, 0
	v_cmp_eq_u32_e32 vcc, 0, v0
	s_and_saveexec_b64 s[4:5], vcc
	s_cbranch_execz .LBB89_12
; %bb.11:
	s_lshl_b64 s[2:3], s[2:3], 3
	s_add_u32 s0, s0, s2
	s_addc_u32 s1, s1, s3
	s_load_dwordx2 s[0:1], s[0:1], 0x8
	v_mov_b32_e32 v0, 0
	s_waitcnt lgkmcnt(0)
	global_store_dwordx2 v0, v[2:3], s[0:1]
.LBB89_12:
	s_endpgm
	.section	.rodata,"a",@progbits
	.p2align	6, 0x0
	.amdhsa_kernel _ZN2at6native14lpnorm_cleanupIN3c104HalfELNS0_8NormTypeE1EdLb1EdEEvPKT3_NS0_19TensorListAddressesEi
		.amdhsa_group_segment_fixed_size 4096
		.amdhsa_private_segment_fixed_size 0
		.amdhsa_kernarg_size 3472
		.amdhsa_user_sgpr_count 2
		.amdhsa_user_sgpr_dispatch_ptr 0
		.amdhsa_user_sgpr_queue_ptr 0
		.amdhsa_user_sgpr_kernarg_segment_ptr 1
		.amdhsa_user_sgpr_dispatch_id 0
		.amdhsa_user_sgpr_kernarg_preload_length 0
		.amdhsa_user_sgpr_kernarg_preload_offset 0
		.amdhsa_user_sgpr_private_segment_size 0
		.amdhsa_uses_dynamic_stack 0
		.amdhsa_enable_private_segment 0
		.amdhsa_system_sgpr_workgroup_id_x 1
		.amdhsa_system_sgpr_workgroup_id_y 0
		.amdhsa_system_sgpr_workgroup_id_z 0
		.amdhsa_system_sgpr_workgroup_info 0
		.amdhsa_system_vgpr_workitem_id 0
		.amdhsa_next_free_vgpr 13
		.amdhsa_next_free_sgpr 16
		.amdhsa_accum_offset 16
		.amdhsa_reserve_vcc 1
		.amdhsa_float_round_mode_32 0
		.amdhsa_float_round_mode_16_64 0
		.amdhsa_float_denorm_mode_32 3
		.amdhsa_float_denorm_mode_16_64 3
		.amdhsa_dx10_clamp 1
		.amdhsa_ieee_mode 1
		.amdhsa_fp16_overflow 0
		.amdhsa_tg_split 0
		.amdhsa_exception_fp_ieee_invalid_op 0
		.amdhsa_exception_fp_denorm_src 0
		.amdhsa_exception_fp_ieee_div_zero 0
		.amdhsa_exception_fp_ieee_overflow 0
		.amdhsa_exception_fp_ieee_underflow 0
		.amdhsa_exception_fp_ieee_inexact 0
		.amdhsa_exception_int_div_zero 0
	.end_amdhsa_kernel
	.section	.text._ZN2at6native14lpnorm_cleanupIN3c104HalfELNS0_8NormTypeE1EdLb1EdEEvPKT3_NS0_19TensorListAddressesEi,"axG",@progbits,_ZN2at6native14lpnorm_cleanupIN3c104HalfELNS0_8NormTypeE1EdLb1EdEEvPKT3_NS0_19TensorListAddressesEi,comdat
.Lfunc_end89:
	.size	_ZN2at6native14lpnorm_cleanupIN3c104HalfELNS0_8NormTypeE1EdLb1EdEEvPKT3_NS0_19TensorListAddressesEi, .Lfunc_end89-_ZN2at6native14lpnorm_cleanupIN3c104HalfELNS0_8NormTypeE1EdLb1EdEEvPKT3_NS0_19TensorListAddressesEi
                                        ; -- End function
	.set _ZN2at6native14lpnorm_cleanupIN3c104HalfELNS0_8NormTypeE1EdLb1EdEEvPKT3_NS0_19TensorListAddressesEi.num_vgpr, 13
	.set _ZN2at6native14lpnorm_cleanupIN3c104HalfELNS0_8NormTypeE1EdLb1EdEEvPKT3_NS0_19TensorListAddressesEi.num_agpr, 0
	.set _ZN2at6native14lpnorm_cleanupIN3c104HalfELNS0_8NormTypeE1EdLb1EdEEvPKT3_NS0_19TensorListAddressesEi.numbered_sgpr, 16
	.set _ZN2at6native14lpnorm_cleanupIN3c104HalfELNS0_8NormTypeE1EdLb1EdEEvPKT3_NS0_19TensorListAddressesEi.num_named_barrier, 0
	.set _ZN2at6native14lpnorm_cleanupIN3c104HalfELNS0_8NormTypeE1EdLb1EdEEvPKT3_NS0_19TensorListAddressesEi.private_seg_size, 0
	.set _ZN2at6native14lpnorm_cleanupIN3c104HalfELNS0_8NormTypeE1EdLb1EdEEvPKT3_NS0_19TensorListAddressesEi.uses_vcc, 1
	.set _ZN2at6native14lpnorm_cleanupIN3c104HalfELNS0_8NormTypeE1EdLb1EdEEvPKT3_NS0_19TensorListAddressesEi.uses_flat_scratch, 0
	.set _ZN2at6native14lpnorm_cleanupIN3c104HalfELNS0_8NormTypeE1EdLb1EdEEvPKT3_NS0_19TensorListAddressesEi.has_dyn_sized_stack, 0
	.set _ZN2at6native14lpnorm_cleanupIN3c104HalfELNS0_8NormTypeE1EdLb1EdEEvPKT3_NS0_19TensorListAddressesEi.has_recursion, 0
	.set _ZN2at6native14lpnorm_cleanupIN3c104HalfELNS0_8NormTypeE1EdLb1EdEEvPKT3_NS0_19TensorListAddressesEi.has_indirect_call, 0
	.section	.AMDGPU.csdata,"",@progbits
; Kernel info:
; codeLenInByte = 812
; TotalNumSgprs: 22
; NumVgprs: 13
; NumAgprs: 0
; TotalNumVgprs: 13
; ScratchSize: 0
; MemoryBound: 0
; FloatMode: 240
; IeeeMode: 1
; LDSByteSize: 4096 bytes/workgroup (compile time only)
; SGPRBlocks: 2
; VGPRBlocks: 1
; NumSGPRsForWavesPerEU: 22
; NumVGPRsForWavesPerEU: 13
; AccumOffset: 16
; Occupancy: 8
; WaveLimiterHint : 0
; COMPUTE_PGM_RSRC2:SCRATCH_EN: 0
; COMPUTE_PGM_RSRC2:USER_SGPR: 2
; COMPUTE_PGM_RSRC2:TRAP_HANDLER: 0
; COMPUTE_PGM_RSRC2:TGID_X_EN: 1
; COMPUTE_PGM_RSRC2:TGID_Y_EN: 0
; COMPUTE_PGM_RSRC2:TGID_Z_EN: 0
; COMPUTE_PGM_RSRC2:TIDIG_COMP_CNT: 0
; COMPUTE_PGM_RSRC3_GFX90A:ACCUM_OFFSET: 3
; COMPUTE_PGM_RSRC3_GFX90A:TG_SPLIT: 0
	.section	.text._ZN2at6native14lpnorm_cleanupIN3c104HalfELNS0_8NormTypeE2EdLb1EdEEvPKT3_NS0_19TensorListAddressesEi,"axG",@progbits,_ZN2at6native14lpnorm_cleanupIN3c104HalfELNS0_8NormTypeE2EdLb1EdEEvPKT3_NS0_19TensorListAddressesEi,comdat
	.protected	_ZN2at6native14lpnorm_cleanupIN3c104HalfELNS0_8NormTypeE2EdLb1EdEEvPKT3_NS0_19TensorListAddressesEi ; -- Begin function _ZN2at6native14lpnorm_cleanupIN3c104HalfELNS0_8NormTypeE2EdLb1EdEEvPKT3_NS0_19TensorListAddressesEi
	.globl	_ZN2at6native14lpnorm_cleanupIN3c104HalfELNS0_8NormTypeE2EdLb1EdEEvPKT3_NS0_19TensorListAddressesEi
	.p2align	8
	.type	_ZN2at6native14lpnorm_cleanupIN3c104HalfELNS0_8NormTypeE2EdLb1EdEEvPKT3_NS0_19TensorListAddressesEi,@function
_ZN2at6native14lpnorm_cleanupIN3c104HalfELNS0_8NormTypeE2EdLb1EdEEvPKT3_NS0_19TensorListAddressesEi: ; @_ZN2at6native14lpnorm_cleanupIN3c104HalfELNS0_8NormTypeE2EdLb1EdEEvPKT3_NS0_19TensorListAddressesEi
; %bb.0:
	s_load_dword s6, s[0:1], 0xc88
	v_mov_b64_e32 v[2:3], 0
	s_waitcnt lgkmcnt(0)
	v_cmp_gt_u32_e32 vcc, s6, v0
	s_and_saveexec_b64 s[4:5], vcc
	s_cbranch_execz .LBB90_4
; %bb.1:
	s_load_dwordx2 s[12:13], s[0:1], 0x0
	s_load_dword s3, s[0:1], 0xc9c
	s_mul_i32 s8, s6, s2
	s_mov_b32 s9, 0
	s_ashr_i32 s7, s6, 31
	s_lshl_b64 s[14:15], s[8:9], 3
	s_waitcnt lgkmcnt(0)
	s_and_b32 s10, s3, 0xffff
	v_mov_b32_e32 v1, 0
	s_add_u32 s12, s12, s14
	v_lshlrev_b32_e32 v2, 3, v0
	v_mov_b32_e32 v3, v1
	s_addc_u32 s13, s13, s15
	s_mov_b32 s11, s9
	v_lshl_add_u64 v[4:5], s[12:13], 0, v[2:3]
	s_lshl_b32 s8, s10, 3
	v_mov_b64_e32 v[2:3], 0
	s_mov_b64 s[12:13], 0
	v_mov_b64_e32 v[6:7], v[0:1]
.LBB90_2:                               ; =>This Inner Loop Header: Depth=1
	global_load_dwordx2 v[8:9], v[4:5], off
	v_lshl_add_u64 v[6:7], v[6:7], 0, s[10:11]
	v_cmp_le_u64_e32 vcc, s[6:7], v[6:7]
	v_lshl_add_u64 v[4:5], v[4:5], 0, s[8:9]
	s_or_b64 s[12:13], vcc, s[12:13]
	s_waitcnt vmcnt(0)
	v_add_f64 v[2:3], v[2:3], v[8:9]
	s_andn2_b64 exec, exec, s[12:13]
	s_cbranch_execnz .LBB90_2
; %bb.3:
	s_or_b64 exec, exec, s[12:13]
.LBB90_4:
	s_or_b64 exec, exec, s[4:5]
	v_mbcnt_lo_u32_b32 v1, -1, 0
	v_mbcnt_hi_u32_b32 v10, -1, v1
	v_mov_b32_e32 v1, 0x80
	v_lshl_or_b32 v1, v10, 2, v1
	ds_bpermute_b32 v4, v1, v2
	ds_bpermute_b32 v5, v1, v3
	v_and_b32_e32 v12, 63, v10
	v_cmp_gt_u32_e32 vcc, 48, v12
	v_and_b32_e32 v11, 63, v0
	s_waitcnt lgkmcnt(0)
	v_add_f64 v[2:3], v[2:3], v[4:5]
	v_cndmask_b32_e64 v4, 0, 16, vcc
	v_add_lshl_u32 v6, v4, v10, 2
	ds_bpermute_b32 v4, v6, v2
	ds_bpermute_b32 v5, v6, v3
	v_cmp_gt_u32_e32 vcc, 56, v12
	s_barrier
	s_waitcnt lgkmcnt(0)
	v_add_f64 v[2:3], v[2:3], v[4:5]
	v_cndmask_b32_e64 v4, 0, 8, vcc
	v_add_lshl_u32 v7, v4, v10, 2
	ds_bpermute_b32 v4, v7, v2
	ds_bpermute_b32 v5, v7, v3
	v_cmp_gt_u32_e32 vcc, 60, v12
	s_waitcnt lgkmcnt(0)
	v_add_f64 v[2:3], v[2:3], v[4:5]
	v_cndmask_b32_e64 v4, 0, 4, vcc
	v_add_lshl_u32 v8, v4, v10, 2
	ds_bpermute_b32 v4, v8, v2
	ds_bpermute_b32 v5, v8, v3
	v_cmp_gt_u32_e32 vcc, 62, v12
	s_waitcnt lgkmcnt(0)
	v_add_f64 v[2:3], v[2:3], v[4:5]
	v_cndmask_b32_e64 v4, 0, 2, vcc
	v_add_lshl_u32 v9, v4, v10, 2
	ds_bpermute_b32 v4, v9, v2
	ds_bpermute_b32 v5, v9, v3
	v_cmp_ne_u32_e32 vcc, 63, v12
	s_waitcnt lgkmcnt(0)
	v_add_f64 v[2:3], v[2:3], v[4:5]
	v_addc_co_u32_e32 v4, vcc, 0, v10, vcc
	v_lshlrev_b32_e32 v10, 2, v4
	ds_bpermute_b32 v4, v10, v2
	ds_bpermute_b32 v5, v10, v3
	v_cmp_eq_u32_e32 vcc, 0, v11
	s_and_saveexec_b64 s[4:5], vcc
	s_cbranch_execz .LBB90_6
; %bb.5:
	v_lshrrev_b32_e32 v12, 3, v0
	s_waitcnt lgkmcnt(0)
	v_add_f64 v[2:3], v[2:3], v[4:5]
	ds_write_b64 v12, v[2:3]
.LBB90_6:
	s_or_b64 exec, exec, s[4:5]
	s_waitcnt lgkmcnt(0)
	s_barrier
	s_load_dword s3, s[0:1], 0xc9c
	v_mov_b64_e32 v[2:3], 0
	s_waitcnt lgkmcnt(0)
	s_bfe_u32 s3, s3, 0xa0006
	v_cmp_gt_u32_e32 vcc, s3, v0
	s_and_saveexec_b64 s[4:5], vcc
; %bb.7:
	v_lshlrev_b32_e32 v2, 3, v11
	ds_read_b64 v[2:3], v2
; %bb.8:
	s_or_b64 exec, exec, s[4:5]
	v_cmp_gt_u32_e32 vcc, 64, v0
	s_and_saveexec_b64 s[4:5], vcc
	s_cbranch_execz .LBB90_10
; %bb.9:
	s_waitcnt lgkmcnt(0)
	ds_bpermute_b32 v4, v1, v2
	ds_bpermute_b32 v5, v1, v3
	s_waitcnt lgkmcnt(0)
	v_add_f64 v[2:3], v[2:3], v[4:5]
	ds_bpermute_b32 v4, v6, v2
	ds_bpermute_b32 v5, v6, v3
	s_waitcnt lgkmcnt(0)
	v_add_f64 v[2:3], v[2:3], v[4:5]
	;; [unrolled: 4-line block ×6, first 2 shown]
.LBB90_10:
	s_or_b64 exec, exec, s[4:5]
	s_mov_b32 s3, 0
	v_cmp_eq_u32_e32 vcc, 0, v0
	s_and_saveexec_b64 s[4:5], vcc
	s_cbranch_execz .LBB90_12
; %bb.11:
	s_mov_b32 s4, 0
	s_brev_b32 s5, 8
	v_mov_b32_e32 v0, 0x100
	s_waitcnt lgkmcnt(0)
	v_cmp_gt_f64_e32 vcc, s[4:5], v[2:3]
	s_lshl_b64 s[2:3], s[2:3], 3
	s_add_u32 s0, s0, s2
	v_cndmask_b32_e32 v0, 0, v0, vcc
	v_ldexp_f64 v[0:1], v[2:3], v0
	v_rsq_f64_e32 v[2:3], v[0:1]
	s_addc_u32 s1, s1, s3
	s_load_dwordx2 s[0:1], s[0:1], 0x8
	v_mul_f64 v[4:5], v[0:1], v[2:3]
	v_mul_f64 v[2:3], v[2:3], 0.5
	v_fma_f64 v[6:7], -v[2:3], v[4:5], 0.5
	v_fmac_f64_e32 v[4:5], v[4:5], v[6:7]
	v_fma_f64 v[8:9], -v[4:5], v[4:5], v[0:1]
	v_fmac_f64_e32 v[2:3], v[2:3], v[6:7]
	v_fmac_f64_e32 v[4:5], v[8:9], v[2:3]
	v_fma_f64 v[6:7], -v[4:5], v[4:5], v[0:1]
	v_fmac_f64_e32 v[4:5], v[6:7], v[2:3]
	v_mov_b32_e32 v2, 0xffffff80
	v_cndmask_b32_e32 v2, 0, v2, vcc
	v_ldexp_f64 v[2:3], v[4:5], v2
	v_mov_b32_e32 v4, 0x260
	v_cmp_class_f64_e32 vcc, v[0:1], v4
	s_nop 1
	v_cndmask_b32_e32 v1, v3, v1, vcc
	v_cndmask_b32_e32 v0, v2, v0, vcc
	v_mov_b32_e32 v2, 0
	s_waitcnt lgkmcnt(0)
	global_store_dwordx2 v2, v[0:1], s[0:1]
.LBB90_12:
	s_endpgm
	.section	.rodata,"a",@progbits
	.p2align	6, 0x0
	.amdhsa_kernel _ZN2at6native14lpnorm_cleanupIN3c104HalfELNS0_8NormTypeE2EdLb1EdEEvPKT3_NS0_19TensorListAddressesEi
		.amdhsa_group_segment_fixed_size 4096
		.amdhsa_private_segment_fixed_size 0
		.amdhsa_kernarg_size 3472
		.amdhsa_user_sgpr_count 2
		.amdhsa_user_sgpr_dispatch_ptr 0
		.amdhsa_user_sgpr_queue_ptr 0
		.amdhsa_user_sgpr_kernarg_segment_ptr 1
		.amdhsa_user_sgpr_dispatch_id 0
		.amdhsa_user_sgpr_kernarg_preload_length 0
		.amdhsa_user_sgpr_kernarg_preload_offset 0
		.amdhsa_user_sgpr_private_segment_size 0
		.amdhsa_uses_dynamic_stack 0
		.amdhsa_enable_private_segment 0
		.amdhsa_system_sgpr_workgroup_id_x 1
		.amdhsa_system_sgpr_workgroup_id_y 0
		.amdhsa_system_sgpr_workgroup_id_z 0
		.amdhsa_system_sgpr_workgroup_info 0
		.amdhsa_system_vgpr_workitem_id 0
		.amdhsa_next_free_vgpr 13
		.amdhsa_next_free_sgpr 16
		.amdhsa_accum_offset 16
		.amdhsa_reserve_vcc 1
		.amdhsa_float_round_mode_32 0
		.amdhsa_float_round_mode_16_64 0
		.amdhsa_float_denorm_mode_32 3
		.amdhsa_float_denorm_mode_16_64 3
		.amdhsa_dx10_clamp 1
		.amdhsa_ieee_mode 1
		.amdhsa_fp16_overflow 0
		.amdhsa_tg_split 0
		.amdhsa_exception_fp_ieee_invalid_op 0
		.amdhsa_exception_fp_denorm_src 0
		.amdhsa_exception_fp_ieee_div_zero 0
		.amdhsa_exception_fp_ieee_overflow 0
		.amdhsa_exception_fp_ieee_underflow 0
		.amdhsa_exception_fp_ieee_inexact 0
		.amdhsa_exception_int_div_zero 0
	.end_amdhsa_kernel
	.section	.text._ZN2at6native14lpnorm_cleanupIN3c104HalfELNS0_8NormTypeE2EdLb1EdEEvPKT3_NS0_19TensorListAddressesEi,"axG",@progbits,_ZN2at6native14lpnorm_cleanupIN3c104HalfELNS0_8NormTypeE2EdLb1EdEEvPKT3_NS0_19TensorListAddressesEi,comdat
.Lfunc_end90:
	.size	_ZN2at6native14lpnorm_cleanupIN3c104HalfELNS0_8NormTypeE2EdLb1EdEEvPKT3_NS0_19TensorListAddressesEi, .Lfunc_end90-_ZN2at6native14lpnorm_cleanupIN3c104HalfELNS0_8NormTypeE2EdLb1EdEEvPKT3_NS0_19TensorListAddressesEi
                                        ; -- End function
	.set _ZN2at6native14lpnorm_cleanupIN3c104HalfELNS0_8NormTypeE2EdLb1EdEEvPKT3_NS0_19TensorListAddressesEi.num_vgpr, 13
	.set _ZN2at6native14lpnorm_cleanupIN3c104HalfELNS0_8NormTypeE2EdLb1EdEEvPKT3_NS0_19TensorListAddressesEi.num_agpr, 0
	.set _ZN2at6native14lpnorm_cleanupIN3c104HalfELNS0_8NormTypeE2EdLb1EdEEvPKT3_NS0_19TensorListAddressesEi.numbered_sgpr, 16
	.set _ZN2at6native14lpnorm_cleanupIN3c104HalfELNS0_8NormTypeE2EdLb1EdEEvPKT3_NS0_19TensorListAddressesEi.num_named_barrier, 0
	.set _ZN2at6native14lpnorm_cleanupIN3c104HalfELNS0_8NormTypeE2EdLb1EdEEvPKT3_NS0_19TensorListAddressesEi.private_seg_size, 0
	.set _ZN2at6native14lpnorm_cleanupIN3c104HalfELNS0_8NormTypeE2EdLb1EdEEvPKT3_NS0_19TensorListAddressesEi.uses_vcc, 1
	.set _ZN2at6native14lpnorm_cleanupIN3c104HalfELNS0_8NormTypeE2EdLb1EdEEvPKT3_NS0_19TensorListAddressesEi.uses_flat_scratch, 0
	.set _ZN2at6native14lpnorm_cleanupIN3c104HalfELNS0_8NormTypeE2EdLb1EdEEvPKT3_NS0_19TensorListAddressesEi.has_dyn_sized_stack, 0
	.set _ZN2at6native14lpnorm_cleanupIN3c104HalfELNS0_8NormTypeE2EdLb1EdEEvPKT3_NS0_19TensorListAddressesEi.has_recursion, 0
	.set _ZN2at6native14lpnorm_cleanupIN3c104HalfELNS0_8NormTypeE2EdLb1EdEEvPKT3_NS0_19TensorListAddressesEi.has_indirect_call, 0
	.section	.AMDGPU.csdata,"",@progbits
; Kernel info:
; codeLenInByte = 952
; TotalNumSgprs: 22
; NumVgprs: 13
; NumAgprs: 0
; TotalNumVgprs: 13
; ScratchSize: 0
; MemoryBound: 0
; FloatMode: 240
; IeeeMode: 1
; LDSByteSize: 4096 bytes/workgroup (compile time only)
; SGPRBlocks: 2
; VGPRBlocks: 1
; NumSGPRsForWavesPerEU: 22
; NumVGPRsForWavesPerEU: 13
; AccumOffset: 16
; Occupancy: 8
; WaveLimiterHint : 0
; COMPUTE_PGM_RSRC2:SCRATCH_EN: 0
; COMPUTE_PGM_RSRC2:USER_SGPR: 2
; COMPUTE_PGM_RSRC2:TRAP_HANDLER: 0
; COMPUTE_PGM_RSRC2:TGID_X_EN: 1
; COMPUTE_PGM_RSRC2:TGID_Y_EN: 0
; COMPUTE_PGM_RSRC2:TGID_Z_EN: 0
; COMPUTE_PGM_RSRC2:TIDIG_COMP_CNT: 0
; COMPUTE_PGM_RSRC3_GFX90A:ACCUM_OFFSET: 3
; COMPUTE_PGM_RSRC3_GFX90A:TG_SPLIT: 0
	.section	.text._ZN2at6native14lpnorm_cleanupIN3c104HalfELNS0_8NormTypeE3EdLb1EdEEvPKT3_NS0_19TensorListAddressesEi,"axG",@progbits,_ZN2at6native14lpnorm_cleanupIN3c104HalfELNS0_8NormTypeE3EdLb1EdEEvPKT3_NS0_19TensorListAddressesEi,comdat
	.protected	_ZN2at6native14lpnorm_cleanupIN3c104HalfELNS0_8NormTypeE3EdLb1EdEEvPKT3_NS0_19TensorListAddressesEi ; -- Begin function _ZN2at6native14lpnorm_cleanupIN3c104HalfELNS0_8NormTypeE3EdLb1EdEEvPKT3_NS0_19TensorListAddressesEi
	.globl	_ZN2at6native14lpnorm_cleanupIN3c104HalfELNS0_8NormTypeE3EdLb1EdEEvPKT3_NS0_19TensorListAddressesEi
	.p2align	8
	.type	_ZN2at6native14lpnorm_cleanupIN3c104HalfELNS0_8NormTypeE3EdLb1EdEEvPKT3_NS0_19TensorListAddressesEi,@function
_ZN2at6native14lpnorm_cleanupIN3c104HalfELNS0_8NormTypeE3EdLb1EdEEvPKT3_NS0_19TensorListAddressesEi: ; @_ZN2at6native14lpnorm_cleanupIN3c104HalfELNS0_8NormTypeE3EdLb1EdEEvPKT3_NS0_19TensorListAddressesEi
; %bb.0:
	s_load_dword s10, s[0:1], 0xc88
	v_mov_b64_e32 v[2:3], 0
	s_waitcnt lgkmcnt(0)
	v_cmp_gt_u32_e32 vcc, s10, v0
	s_and_saveexec_b64 s[8:9], vcc
	s_cbranch_execz .LBB91_4
; %bb.1:
	s_load_dwordx2 s[4:5], s[0:1], 0x0
	s_load_dword s3, s[0:1], 0xc9c
	s_mul_i32 s12, s10, s2
	s_mov_b32 s13, 0
	s_ashr_i32 s11, s10, 31
	s_lshl_b64 s[6:7], s[12:13], 3
	s_waitcnt lgkmcnt(0)
	s_and_b32 s14, s3, 0xffff
	v_mov_b32_e32 v1, 0
	s_add_u32 s4, s4, s6
	v_lshlrev_b32_e32 v2, 3, v0
	v_mov_b32_e32 v3, v1
	s_addc_u32 s5, s5, s7
	s_mov_b32 s15, s13
	v_lshl_add_u64 v[4:5], s[4:5], 0, v[2:3]
	s_lshl_b32 s12, s14, 3
	v_mov_b64_e32 v[2:3], 0
	s_mov_b64 s[16:17], 0
	v_mov_b64_e32 v[6:7], v[0:1]
.LBB91_2:                               ; =>This Inner Loop Header: Depth=1
	global_load_dwordx2 v[8:9], v[4:5], off
	v_lshl_add_u64 v[6:7], v[6:7], 0, s[14:15]
	v_cmp_le_u64_e32 vcc, s[10:11], v[6:7]
	v_lshl_add_u64 v[4:5], v[4:5], 0, s[12:13]
	s_waitcnt vmcnt(0)
	v_cmp_u_f64_e64 s[4:5], v[8:9], v[8:9]
	v_cmp_lt_f64_e64 s[6:7], v[2:3], v[8:9]
	s_or_b64 s[4:5], s[4:5], s[6:7]
	v_cndmask_b32_e64 v3, v3, v9, s[4:5]
	s_or_b64 s[16:17], vcc, s[16:17]
	v_cndmask_b32_e64 v2, v2, v8, s[4:5]
	s_andn2_b64 exec, exec, s[16:17]
	s_cbranch_execnz .LBB91_2
; %bb.3:
	s_or_b64 exec, exec, s[16:17]
.LBB91_4:
	s_or_b64 exec, exec, s[8:9]
	v_mbcnt_lo_u32_b32 v1, -1, 0
	v_mbcnt_hi_u32_b32 v10, -1, v1
	v_mov_b32_e32 v1, 0x80
	v_lshl_or_b32 v1, v10, 2, v1
	ds_bpermute_b32 v4, v1, v2
	ds_bpermute_b32 v5, v1, v3
	v_and_b32_e32 v12, 63, v10
	v_and_b32_e32 v11, 63, v0
	s_waitcnt lgkmcnt(0)
	s_barrier
	v_cmp_u_f64_e32 vcc, v[4:5], v[4:5]
	v_cmp_lt_f64_e64 s[4:5], v[2:3], v[4:5]
	s_or_b64 vcc, vcc, s[4:5]
	v_cndmask_b32_e32 v3, v3, v5, vcc
	v_cndmask_b32_e32 v2, v2, v4, vcc
	v_cmp_gt_u32_e32 vcc, 48, v12
	s_nop 1
	v_cndmask_b32_e64 v4, 0, 16, vcc
	v_add_lshl_u32 v6, v4, v10, 2
	ds_bpermute_b32 v4, v6, v2
	ds_bpermute_b32 v5, v6, v3
	s_waitcnt lgkmcnt(0)
	v_cmp_u_f64_e32 vcc, v[4:5], v[4:5]
	v_cmp_lt_f64_e64 s[4:5], v[2:3], v[4:5]
	s_or_b64 vcc, vcc, s[4:5]
	v_cndmask_b32_e32 v3, v3, v5, vcc
	v_cndmask_b32_e32 v2, v2, v4, vcc
	v_cmp_gt_u32_e32 vcc, 56, v12
	s_nop 1
	v_cndmask_b32_e64 v4, 0, 8, vcc
	v_add_lshl_u32 v7, v4, v10, 2
	ds_bpermute_b32 v4, v7, v2
	ds_bpermute_b32 v5, v7, v3
	s_waitcnt lgkmcnt(0)
	;; [unrolled: 12-line block ×4, first 2 shown]
	v_cmp_u_f64_e32 vcc, v[4:5], v[4:5]
	v_cmp_lt_f64_e64 s[4:5], v[2:3], v[4:5]
	s_or_b64 vcc, vcc, s[4:5]
	v_cndmask_b32_e32 v3, v3, v5, vcc
	v_cndmask_b32_e32 v2, v2, v4, vcc
	v_cmp_ne_u32_e32 vcc, 63, v12
	s_nop 1
	v_addc_co_u32_e32 v4, vcc, 0, v10, vcc
	v_lshlrev_b32_e32 v10, 2, v4
	ds_bpermute_b32 v4, v10, v2
	ds_bpermute_b32 v5, v10, v3
	v_cmp_eq_u32_e32 vcc, 0, v11
	s_and_saveexec_b64 s[6:7], vcc
	s_cbranch_execz .LBB91_6
; %bb.5:
	s_waitcnt lgkmcnt(0)
	v_cmp_u_f64_e32 vcc, v[4:5], v[4:5]
	v_cmp_lt_f64_e64 s[4:5], v[2:3], v[4:5]
	s_or_b64 vcc, vcc, s[4:5]
	v_lshrrev_b32_e32 v12, 3, v0
	v_cndmask_b32_e32 v3, v3, v5, vcc
	v_cndmask_b32_e32 v2, v2, v4, vcc
	ds_write_b64 v12, v[2:3]
.LBB91_6:
	s_or_b64 exec, exec, s[6:7]
	s_waitcnt lgkmcnt(0)
	s_barrier
	s_load_dword s3, s[0:1], 0xc9c
	v_mov_b32_e32 v2, -1
	v_mov_b32_e32 v3, 0xffefffff
	s_waitcnt lgkmcnt(0)
	s_bfe_u32 s3, s3, 0xa0006
	v_cmp_gt_u32_e32 vcc, s3, v0
	s_and_saveexec_b64 s[4:5], vcc
; %bb.7:
	v_lshlrev_b32_e32 v2, 3, v11
	ds_read_b64 v[2:3], v2
; %bb.8:
	s_or_b64 exec, exec, s[4:5]
	v_cmp_gt_u32_e32 vcc, 64, v0
	s_and_saveexec_b64 s[6:7], vcc
	s_cbranch_execz .LBB91_10
; %bb.9:
	s_waitcnt lgkmcnt(0)
	ds_bpermute_b32 v4, v1, v2
	ds_bpermute_b32 v5, v1, v3
	s_waitcnt lgkmcnt(0)
	v_cmp_u_f64_e32 vcc, v[4:5], v[4:5]
	v_cmp_lt_f64_e64 s[4:5], v[2:3], v[4:5]
	s_or_b64 vcc, vcc, s[4:5]
	v_cndmask_b32_e32 v3, v3, v5, vcc
	v_cndmask_b32_e32 v2, v2, v4, vcc
	ds_bpermute_b32 v5, v6, v3
	ds_bpermute_b32 v4, v6, v2
	s_waitcnt lgkmcnt(0)
	v_cmp_u_f64_e32 vcc, v[4:5], v[4:5]
	v_cmp_lt_f64_e64 s[4:5], v[2:3], v[4:5]
	s_or_b64 vcc, vcc, s[4:5]
	v_cndmask_b32_e32 v3, v3, v5, vcc
	v_cndmask_b32_e32 v2, v2, v4, vcc
	;; [unrolled: 8-line block ×6, first 2 shown]
.LBB91_10:
	s_or_b64 exec, exec, s[6:7]
	s_mov_b32 s3, 0
	v_cmp_eq_u32_e32 vcc, 0, v0
	s_and_saveexec_b64 s[4:5], vcc
	s_cbranch_execz .LBB91_12
; %bb.11:
	s_lshl_b64 s[2:3], s[2:3], 3
	s_add_u32 s0, s0, s2
	s_addc_u32 s1, s1, s3
	s_load_dwordx2 s[0:1], s[0:1], 0x8
	v_mov_b32_e32 v0, 0
	s_waitcnt lgkmcnt(0)
	global_store_dwordx2 v0, v[2:3], s[0:1]
.LBB91_12:
	s_endpgm
	.section	.rodata,"a",@progbits
	.p2align	6, 0x0
	.amdhsa_kernel _ZN2at6native14lpnorm_cleanupIN3c104HalfELNS0_8NormTypeE3EdLb1EdEEvPKT3_NS0_19TensorListAddressesEi
		.amdhsa_group_segment_fixed_size 4096
		.amdhsa_private_segment_fixed_size 0
		.amdhsa_kernarg_size 3472
		.amdhsa_user_sgpr_count 2
		.amdhsa_user_sgpr_dispatch_ptr 0
		.amdhsa_user_sgpr_queue_ptr 0
		.amdhsa_user_sgpr_kernarg_segment_ptr 1
		.amdhsa_user_sgpr_dispatch_id 0
		.amdhsa_user_sgpr_kernarg_preload_length 0
		.amdhsa_user_sgpr_kernarg_preload_offset 0
		.amdhsa_user_sgpr_private_segment_size 0
		.amdhsa_uses_dynamic_stack 0
		.amdhsa_enable_private_segment 0
		.amdhsa_system_sgpr_workgroup_id_x 1
		.amdhsa_system_sgpr_workgroup_id_y 0
		.amdhsa_system_sgpr_workgroup_id_z 0
		.amdhsa_system_sgpr_workgroup_info 0
		.amdhsa_system_vgpr_workitem_id 0
		.amdhsa_next_free_vgpr 13
		.amdhsa_next_free_sgpr 18
		.amdhsa_accum_offset 16
		.amdhsa_reserve_vcc 1
		.amdhsa_float_round_mode_32 0
		.amdhsa_float_round_mode_16_64 0
		.amdhsa_float_denorm_mode_32 3
		.amdhsa_float_denorm_mode_16_64 3
		.amdhsa_dx10_clamp 1
		.amdhsa_ieee_mode 1
		.amdhsa_fp16_overflow 0
		.amdhsa_tg_split 0
		.amdhsa_exception_fp_ieee_invalid_op 0
		.amdhsa_exception_fp_denorm_src 0
		.amdhsa_exception_fp_ieee_div_zero 0
		.amdhsa_exception_fp_ieee_overflow 0
		.amdhsa_exception_fp_ieee_underflow 0
		.amdhsa_exception_fp_ieee_inexact 0
		.amdhsa_exception_int_div_zero 0
	.end_amdhsa_kernel
	.section	.text._ZN2at6native14lpnorm_cleanupIN3c104HalfELNS0_8NormTypeE3EdLb1EdEEvPKT3_NS0_19TensorListAddressesEi,"axG",@progbits,_ZN2at6native14lpnorm_cleanupIN3c104HalfELNS0_8NormTypeE3EdLb1EdEEvPKT3_NS0_19TensorListAddressesEi,comdat
.Lfunc_end91:
	.size	_ZN2at6native14lpnorm_cleanupIN3c104HalfELNS0_8NormTypeE3EdLb1EdEEvPKT3_NS0_19TensorListAddressesEi, .Lfunc_end91-_ZN2at6native14lpnorm_cleanupIN3c104HalfELNS0_8NormTypeE3EdLb1EdEEvPKT3_NS0_19TensorListAddressesEi
                                        ; -- End function
	.set _ZN2at6native14lpnorm_cleanupIN3c104HalfELNS0_8NormTypeE3EdLb1EdEEvPKT3_NS0_19TensorListAddressesEi.num_vgpr, 13
	.set _ZN2at6native14lpnorm_cleanupIN3c104HalfELNS0_8NormTypeE3EdLb1EdEEvPKT3_NS0_19TensorListAddressesEi.num_agpr, 0
	.set _ZN2at6native14lpnorm_cleanupIN3c104HalfELNS0_8NormTypeE3EdLb1EdEEvPKT3_NS0_19TensorListAddressesEi.numbered_sgpr, 18
	.set _ZN2at6native14lpnorm_cleanupIN3c104HalfELNS0_8NormTypeE3EdLb1EdEEvPKT3_NS0_19TensorListAddressesEi.num_named_barrier, 0
	.set _ZN2at6native14lpnorm_cleanupIN3c104HalfELNS0_8NormTypeE3EdLb1EdEEvPKT3_NS0_19TensorListAddressesEi.private_seg_size, 0
	.set _ZN2at6native14lpnorm_cleanupIN3c104HalfELNS0_8NormTypeE3EdLb1EdEEvPKT3_NS0_19TensorListAddressesEi.uses_vcc, 1
	.set _ZN2at6native14lpnorm_cleanupIN3c104HalfELNS0_8NormTypeE3EdLb1EdEEvPKT3_NS0_19TensorListAddressesEi.uses_flat_scratch, 0
	.set _ZN2at6native14lpnorm_cleanupIN3c104HalfELNS0_8NormTypeE3EdLb1EdEEvPKT3_NS0_19TensorListAddressesEi.has_dyn_sized_stack, 0
	.set _ZN2at6native14lpnorm_cleanupIN3c104HalfELNS0_8NormTypeE3EdLb1EdEEvPKT3_NS0_19TensorListAddressesEi.has_recursion, 0
	.set _ZN2at6native14lpnorm_cleanupIN3c104HalfELNS0_8NormTypeE3EdLb1EdEEvPKT3_NS0_19TensorListAddressesEi.has_indirect_call, 0
	.section	.AMDGPU.csdata,"",@progbits
; Kernel info:
; codeLenInByte = 1060
; TotalNumSgprs: 24
; NumVgprs: 13
; NumAgprs: 0
; TotalNumVgprs: 13
; ScratchSize: 0
; MemoryBound: 0
; FloatMode: 240
; IeeeMode: 1
; LDSByteSize: 4096 bytes/workgroup (compile time only)
; SGPRBlocks: 2
; VGPRBlocks: 1
; NumSGPRsForWavesPerEU: 24
; NumVGPRsForWavesPerEU: 13
; AccumOffset: 16
; Occupancy: 8
; WaveLimiterHint : 0
; COMPUTE_PGM_RSRC2:SCRATCH_EN: 0
; COMPUTE_PGM_RSRC2:USER_SGPR: 2
; COMPUTE_PGM_RSRC2:TRAP_HANDLER: 0
; COMPUTE_PGM_RSRC2:TGID_X_EN: 1
; COMPUTE_PGM_RSRC2:TGID_Y_EN: 0
; COMPUTE_PGM_RSRC2:TGID_Z_EN: 0
; COMPUTE_PGM_RSRC2:TIDIG_COMP_CNT: 0
; COMPUTE_PGM_RSRC3_GFX90A:ACCUM_OFFSET: 3
; COMPUTE_PGM_RSRC3_GFX90A:TG_SPLIT: 0
	.section	.text._ZN2at6native12_GLOBAL__N_125multi_tensor_apply_kernelINS1_18TensorListMetadataILi1EEENS0_13LpNormFunctorIN3c104HalfELNS0_8NormTypeE0EfLi1ELi1ELi0EEEJPfiEEEvT_T0_DpT1_,"axG",@progbits,_ZN2at6native12_GLOBAL__N_125multi_tensor_apply_kernelINS1_18TensorListMetadataILi1EEENS0_13LpNormFunctorIN3c104HalfELNS0_8NormTypeE0EfLi1ELi1ELi0EEEJPfiEEEvT_T0_DpT1_,comdat
	.globl	_ZN2at6native12_GLOBAL__N_125multi_tensor_apply_kernelINS1_18TensorListMetadataILi1EEENS0_13LpNormFunctorIN3c104HalfELNS0_8NormTypeE0EfLi1ELi1ELi0EEEJPfiEEEvT_T0_DpT1_ ; -- Begin function _ZN2at6native12_GLOBAL__N_125multi_tensor_apply_kernelINS1_18TensorListMetadataILi1EEENS0_13LpNormFunctorIN3c104HalfELNS0_8NormTypeE0EfLi1ELi1ELi0EEEJPfiEEEvT_T0_DpT1_
	.p2align	8
	.type	_ZN2at6native12_GLOBAL__N_125multi_tensor_apply_kernelINS1_18TensorListMetadataILi1EEENS0_13LpNormFunctorIN3c104HalfELNS0_8NormTypeE0EfLi1ELi1ELi0EEEJPfiEEEvT_T0_DpT1_,@function
_ZN2at6native12_GLOBAL__N_125multi_tensor_apply_kernelINS1_18TensorListMetadataILi1EEENS0_13LpNormFunctorIN3c104HalfELNS0_8NormTypeE0EfLi1ELi1ELi0EEEJPfiEEEvT_T0_DpT1_: ; @_ZN2at6native12_GLOBAL__N_125multi_tensor_apply_kernelINS1_18TensorListMetadataILi1EEENS0_13LpNormFunctorIN3c104HalfELNS0_8NormTypeE0EfLi1ELi1ELi0EEEJPfiEEEvT_T0_DpT1_
; %bb.0:
	v_mov_b32_e32 v1, s2
	global_load_ubyte v1, v1, s[0:1] offset:1760
	s_add_u32 s3, s0, s2
	s_mul_hi_u32 s4, s2, 3
	s_mul_i32 s2, s2, 3
	s_addc_u32 s5, s1, 0
	s_add_u32 s2, s3, s2
	s_addc_u32 s3, s5, s4
	s_load_dword s4, s[2:3], 0x820
	s_mov_b32 s15, 0
	s_waitcnt vmcnt(0)
	v_readfirstlane_b32 s2, v1
	s_and_b32 s16, s2, 0xff
	s_lshl_b32 s5, s16, 3
	s_load_dwordx2 s[2:3], s[0:1], s5 offset:0x370
	s_load_dwordx2 s[6:7], s[0:1], s5 offset:0x0
	s_waitcnt lgkmcnt(0)
	s_ashr_i32 s5, s4, 31
	s_lshl_b64 s[10:11], s[4:5], 16
	s_lshl_b64 s[8:9], s[4:5], 17
	s_add_u32 s12, s6, s8
	s_addc_u32 s13, s7, s9
	s_sub_u32 s10, s2, s10
	s_subb_u32 s11, s3, s11
	s_and_b32 s14, s2, 3
	s_and_b32 s2, s12, 7
	s_mov_b32 s3, s15
	s_or_b64 s[2:3], s[14:15], s[2:3]
	s_cmp_eq_u64 s[2:3], 0
	s_cbranch_scc1 .LBB92_12
; %bb.1:
	v_cmp_lt_i64_e64 s[2:3], s[10:11], 1
	s_and_b64 vcc, exec, s[2:3]
	s_cbranch_vccnz .LBB92_13
; %bb.2:
	s_load_dword s14, s[0:1], 0xd4c
	v_mov_b64_e32 v[2:3], 0x10000
	v_cmp_lt_i64_e32 vcc, s[10:11], v[2:3]
	s_and_b64 s[2:3], vcc, exec
	v_mov_b32_e32 v7, 0
	s_cselect_b32 s3, s11, 0
	s_cselect_b32 s2, s10, 0x10000
	s_waitcnt lgkmcnt(0)
	s_and_b32 s18, s14, 0xffff
	v_mov_b32_e32 v6, v7
	v_mad_u64_u32 v[12:13], s[14:15], s18, 3, v[0:1]
	v_mov_b32_e32 v8, v7
	v_mov_b32_e32 v9, v7
	v_mov_b64_e32 v[2:3], v[6:7]
	s_mov_b32 s5, 0x10000
	s_lshl_b32 s17, s18, 2
	v_lshl_add_u32 v10, s18, 1, v0
	v_add_u32_e32 v14, s18, v0
	s_mov_b64 s[14:15], 0
	v_mov_b64_e32 v[16:17], s[2:3]
	v_mov_b64_e32 v[4:5], v[8:9]
	s_branch .LBB92_4
.LBB92_3:                               ;   in Loop: Header=BB92_4 Depth=1
	s_or_b64 exec, exec, s[2:3]
	s_add_u32 s14, s14, s17
	s_addc_u32 s15, s15, 0
	v_cmp_ge_i64_e32 vcc, s[14:15], v[16:17]
	s_cbranch_vccnz .LBB92_14
.LBB92_4:                               ; =>This Inner Loop Header: Depth=1
	v_add_u32_e32 v6, s14, v0
	v_cmp_gt_i64_e32 vcc, s[10:11], v[6:7]
	v_cmp_gt_u32_e64 s[2:3], s5, v6
	s_and_b64 s[18:19], s[2:3], vcc
	s_and_saveexec_b64 s[2:3], s[18:19]
	s_cbranch_execz .LBB92_6
; %bb.5:                                ;   in Loop: Header=BB92_4 Depth=1
	v_lshl_add_u64 v[8:9], v[6:7], 1, s[12:13]
	global_load_ushort v1, v[8:9], off
	s_waitcnt vmcnt(0)
	v_cmp_neq_f16_e32 vcc, 0, v1
	s_nop 1
	v_cndmask_b32_e64 v1, 0, 1.0, vcc
	v_add_f32_e32 v2, v2, v1
.LBB92_6:                               ;   in Loop: Header=BB92_4 Depth=1
	s_or_b64 exec, exec, s[2:3]
	v_add_u32_e32 v6, s14, v14
	v_cmp_gt_i64_e32 vcc, s[10:11], v[6:7]
	v_cmp_gt_u32_e64 s[2:3], s5, v6
	s_and_b64 s[18:19], s[2:3], vcc
	s_and_saveexec_b64 s[2:3], s[18:19]
	s_cbranch_execz .LBB92_8
; %bb.7:                                ;   in Loop: Header=BB92_4 Depth=1
	v_lshl_add_u64 v[8:9], v[6:7], 1, s[12:13]
	global_load_ushort v1, v[8:9], off
	s_waitcnt vmcnt(0)
	v_cmp_neq_f16_e32 vcc, 0, v1
	s_nop 1
	v_cndmask_b32_e64 v1, 0, 1.0, vcc
	v_add_f32_e32 v3, v3, v1
.LBB92_8:                               ;   in Loop: Header=BB92_4 Depth=1
	s_or_b64 exec, exec, s[2:3]
	v_add_u32_e32 v6, s14, v10
	v_cmp_gt_i64_e32 vcc, s[10:11], v[6:7]
	v_cmp_gt_u32_e64 s[2:3], s5, v6
	s_and_b64 s[18:19], s[2:3], vcc
	s_and_saveexec_b64 s[2:3], s[18:19]
	s_cbranch_execz .LBB92_10
; %bb.9:                                ;   in Loop: Header=BB92_4 Depth=1
	v_lshl_add_u64 v[8:9], v[6:7], 1, s[12:13]
	global_load_ushort v1, v[8:9], off
	s_waitcnt vmcnt(0)
	v_cmp_neq_f16_e32 vcc, 0, v1
	s_nop 1
	v_cndmask_b32_e64 v1, 0, 1.0, vcc
	v_add_f32_e32 v4, v4, v1
.LBB92_10:                              ;   in Loop: Header=BB92_4 Depth=1
	s_or_b64 exec, exec, s[2:3]
	v_add_u32_e32 v6, s14, v12
	v_cmp_gt_i64_e32 vcc, s[10:11], v[6:7]
	v_cmp_gt_u32_e64 s[2:3], s5, v6
	s_and_b64 s[18:19], s[2:3], vcc
	s_and_saveexec_b64 s[2:3], s[18:19]
	s_cbranch_execz .LBB92_3
; %bb.11:                               ;   in Loop: Header=BB92_4 Depth=1
	v_lshl_add_u64 v[8:9], v[6:7], 1, s[12:13]
	global_load_ushort v1, v[8:9], off
	s_waitcnt vmcnt(0)
	v_cmp_neq_f16_e32 vcc, 0, v1
	s_nop 1
	v_cndmask_b32_e64 v1, 0, 1.0, vcc
	v_add_f32_e32 v5, v5, v1
	s_branch .LBB92_3
.LBB92_12:
                                        ; implicit-def: $vgpr2_vgpr3_vgpr4_vgpr5
	s_branch .LBB92_15
.LBB92_13:
	v_mov_b32_e32 v2, 0
	v_mov_b32_e32 v3, v2
	;; [unrolled: 1-line block ×4, first 2 shown]
.LBB92_14:
	s_cbranch_execnz .LBB92_20
.LBB92_15:
	v_mov_b64_e32 v[4:5], 0x10000
	v_cmp_lt_i64_e32 vcc, s[10:11], v[4:5]
	s_and_b64 s[2:3], vcc, exec
	v_mov_b32_e32 v3, 0
	s_cselect_b32 s3, s11, 0
	s_cselect_b32 s2, s10, 0x10000
	v_lshlrev_b32_e32 v2, 2, v0
	v_cmp_gt_i64_e32 vcc, s[2:3], v[2:3]
	s_mov_b32 s13, 0
	v_mov_b32_e32 v2, v3
	v_mov_b32_e32 v4, v3
	;; [unrolled: 1-line block ×3, first 2 shown]
	s_and_saveexec_b64 s[10:11], vcc
	s_cbranch_execz .LBB92_19
; %bb.16:
	s_load_dword s5, s[0:1], 0xd4c
	v_lshlrev_b32_e32 v2, 3, v0
	v_mov_b32_e32 v1, v3
	s_mov_b32 s15, s13
	v_mov_b64_e32 v[10:11], v[0:1]
	s_waitcnt lgkmcnt(0)
	s_and_b32 s12, s5, 0xffff
	s_add_u32 s6, s6, s8
	s_addc_u32 s7, s7, s9
	v_lshl_add_u64 v[4:5], s[6:7], 0, v[2:3]
	s_lshl_b32 s14, s12, 3
	v_lshl_add_u64 v[8:9], v[4:5], 0, 4
	s_mov_b64 s[6:7], 0
	v_mov_b32_e32 v4, 0
	v_mov_b32_e32 v5, v3
	;; [unrolled: 1-line block ×4, first 2 shown]
.LBB92_17:                              ; =>This Inner Loop Header: Depth=1
	global_load_dwordx2 v[12:13], v[8:9], off offset:-4
	v_lshl_add_u64 v[10:11], v[10:11], 0, s[12:13]
	v_lshlrev_b64 v[14:15], 2, v[10:11]
	v_cmp_le_i64_e32 vcc, s[2:3], v[14:15]
	s_or_b64 s[6:7], vcc, s[6:7]
	v_lshl_add_u64 v[8:9], v[8:9], 0, s[14:15]
	s_waitcnt vmcnt(0)
	v_cmp_neq_f16_e32 vcc, 0, v12
	v_cmp_neq_f16_sdwa s[8:9], v12, v3 src0_sel:WORD_1 src1_sel:DWORD
	s_nop 0
	v_cndmask_b32_e64 v14, 0, 1.0, vcc
	v_cmp_neq_f16_e32 vcc, 0, v13
	v_cndmask_b32_e64 v15, 0, 1.0, s[8:9]
	v_cmp_neq_f16_sdwa s[8:9], v13, v3 src0_sel:WORD_1 src1_sel:DWORD
	v_cndmask_b32_e64 v12, 0, 1.0, vcc
	v_pk_add_f32 v[4:5], v[4:5], v[14:15]
	v_cndmask_b32_e64 v13, 0, 1.0, s[8:9]
	v_pk_add_f32 v[6:7], v[6:7], v[12:13]
	s_andn2_b64 exec, exec, s[6:7]
	s_cbranch_execnz .LBB92_17
; %bb.18:
	s_or_b64 exec, exec, s[6:7]
	v_mov_b64_e32 v[2:3], v[4:5]
	v_mov_b64_e32 v[4:5], v[6:7]
.LBB92_19:
	s_or_b64 exec, exec, s[10:11]
.LBB92_20:
	v_add_f32_e32 v1, 0, v2
	v_add_f32_e32 v1, v3, v1
	;; [unrolled: 1-line block ×4, first 2 shown]
	v_mbcnt_lo_u32_b32 v1, -1, 0
	v_mbcnt_hi_u32_b32 v6, -1, v1
	v_mov_b32_e32 v1, 0x80
	v_lshl_or_b32 v1, v6, 2, v1
	ds_bpermute_b32 v3, v1, v2
	v_and_b32_e32 v9, 63, v6
	v_cmp_gt_u32_e32 vcc, 48, v9
	s_waitcnt lgkmcnt(0)
	s_barrier
	v_add_f32_e32 v3, v2, v3
	v_cndmask_b32_e64 v2, 0, 16, vcc
	v_add_lshl_u32 v2, v2, v6, 2
	ds_bpermute_b32 v4, v2, v3
	v_cmp_gt_u32_e32 vcc, 56, v9
	s_waitcnt lgkmcnt(0)
	v_add_f32_e32 v4, v3, v4
	v_cndmask_b32_e64 v3, 0, 8, vcc
	v_add_lshl_u32 v3, v3, v6, 2
	ds_bpermute_b32 v5, v3, v4
	v_cmp_gt_u32_e32 vcc, 60, v9
	s_waitcnt lgkmcnt(0)
	v_add_f32_e32 v5, v4, v5
	v_cndmask_b32_e64 v4, 0, 4, vcc
	v_add_lshl_u32 v4, v4, v6, 2
	ds_bpermute_b32 v7, v4, v5
	v_cmp_gt_u32_e32 vcc, 62, v9
	s_waitcnt lgkmcnt(0)
	v_add_f32_e32 v7, v5, v7
	v_cndmask_b32_e64 v8, 0, 2, vcc
	v_add_lshl_u32 v5, v8, v6, 2
	ds_bpermute_b32 v10, v5, v7
	v_cmp_ne_u32_e32 vcc, 63, v9
	v_and_b32_e32 v8, 63, v0
	s_waitcnt lgkmcnt(0)
	v_add_f32_e32 v7, v7, v10
	v_addc_co_u32_e32 v6, vcc, 0, v6, vcc
	v_lshlrev_b32_e32 v6, 2, v6
	ds_bpermute_b32 v9, v6, v7
	v_cmp_eq_u32_e32 vcc, 0, v8
	s_and_saveexec_b64 s[2:3], vcc
	s_cbranch_execz .LBB92_22
; %bb.21:
	v_lshrrev_b32_e32 v10, 4, v0
	s_waitcnt lgkmcnt(0)
	v_add_f32_e32 v7, v7, v9
	ds_write_b32 v10, v7
.LBB92_22:
	s_or_b64 exec, exec, s[2:3]
	s_waitcnt lgkmcnt(0)
	s_barrier
	s_load_dword s2, s[0:1], 0xd4c
	v_mov_b32_e32 v7, 0
	s_waitcnt lgkmcnt(0)
	s_bfe_u32 s2, s2, 0xa0006
	v_cmp_gt_u32_e32 vcc, s2, v0
	s_and_saveexec_b64 s[2:3], vcc
	s_cbranch_execnz .LBB92_26
; %bb.23:
	s_or_b64 exec, exec, s[2:3]
	v_cmp_gt_u32_e32 vcc, 64, v0
	s_and_saveexec_b64 s[2:3], vcc
	s_cbranch_execnz .LBB92_27
.LBB92_24:
	s_or_b64 exec, exec, s[2:3]
	v_cmp_eq_u32_e32 vcc, 0, v0
	s_and_saveexec_b64 s[2:3], vcc
	s_cbranch_execnz .LBB92_28
.LBB92_25:
	s_endpgm
.LBB92_26:
	v_lshlrev_b32_e32 v7, 2, v8
	ds_read_b32 v7, v7
	s_or_b64 exec, exec, s[2:3]
	v_cmp_gt_u32_e32 vcc, 64, v0
	s_and_saveexec_b64 s[2:3], vcc
	s_cbranch_execz .LBB92_24
.LBB92_27:
	s_waitcnt lgkmcnt(0)
	ds_bpermute_b32 v1, v1, v7
	s_waitcnt lgkmcnt(0)
	v_add_f32_e32 v1, v7, v1
	ds_bpermute_b32 v2, v2, v1
	s_waitcnt lgkmcnt(0)
	v_add_f32_e32 v1, v1, v2
	;; [unrolled: 3-line block ×6, first 2 shown]
	s_or_b64 exec, exec, s[2:3]
	v_cmp_eq_u32_e32 vcc, 0, v0
	s_and_saveexec_b64 s[2:3], vcc
	s_cbranch_execz .LBB92_25
.LBB92_28:
	s_load_dword s5, s[0:1], 0xd20
	s_load_dword s6, s[0:1], 0xd38
	s_load_dwordx2 s[2:3], s[0:1], 0xd30
	v_mov_b32_e32 v0, 0
	s_waitcnt lgkmcnt(0)
	s_add_i32 s0, s5, s16
	s_mul_i32 s0, s0, s6
	s_add_i32 s0, s0, s4
	s_ashr_i32 s1, s0, 31
	s_lshl_b64 s[0:1], s[0:1], 2
	s_add_u32 s0, s2, s0
	s_addc_u32 s1, s3, s1
	global_store_dword v0, v7, s[0:1]
	s_endpgm
	.section	.rodata,"a",@progbits
	.p2align	6, 0x0
	.amdhsa_kernel _ZN2at6native12_GLOBAL__N_125multi_tensor_apply_kernelINS1_18TensorListMetadataILi1EEENS0_13LpNormFunctorIN3c104HalfELNS0_8NormTypeE0EfLi1ELi1ELi0EEEJPfiEEEvT_T0_DpT1_
		.amdhsa_group_segment_fixed_size 2048
		.amdhsa_private_segment_fixed_size 0
		.amdhsa_kernarg_size 3648
		.amdhsa_user_sgpr_count 2
		.amdhsa_user_sgpr_dispatch_ptr 0
		.amdhsa_user_sgpr_queue_ptr 0
		.amdhsa_user_sgpr_kernarg_segment_ptr 1
		.amdhsa_user_sgpr_dispatch_id 0
		.amdhsa_user_sgpr_kernarg_preload_length 0
		.amdhsa_user_sgpr_kernarg_preload_offset 0
		.amdhsa_user_sgpr_private_segment_size 0
		.amdhsa_uses_dynamic_stack 0
		.amdhsa_enable_private_segment 0
		.amdhsa_system_sgpr_workgroup_id_x 1
		.amdhsa_system_sgpr_workgroup_id_y 0
		.amdhsa_system_sgpr_workgroup_id_z 0
		.amdhsa_system_sgpr_workgroup_info 0
		.amdhsa_system_vgpr_workitem_id 0
		.amdhsa_next_free_vgpr 18
		.amdhsa_next_free_sgpr 20
		.amdhsa_accum_offset 20
		.amdhsa_reserve_vcc 1
		.amdhsa_float_round_mode_32 0
		.amdhsa_float_round_mode_16_64 0
		.amdhsa_float_denorm_mode_32 3
		.amdhsa_float_denorm_mode_16_64 3
		.amdhsa_dx10_clamp 1
		.amdhsa_ieee_mode 1
		.amdhsa_fp16_overflow 0
		.amdhsa_tg_split 0
		.amdhsa_exception_fp_ieee_invalid_op 0
		.amdhsa_exception_fp_denorm_src 0
		.amdhsa_exception_fp_ieee_div_zero 0
		.amdhsa_exception_fp_ieee_overflow 0
		.amdhsa_exception_fp_ieee_underflow 0
		.amdhsa_exception_fp_ieee_inexact 0
		.amdhsa_exception_int_div_zero 0
	.end_amdhsa_kernel
	.section	.text._ZN2at6native12_GLOBAL__N_125multi_tensor_apply_kernelINS1_18TensorListMetadataILi1EEENS0_13LpNormFunctorIN3c104HalfELNS0_8NormTypeE0EfLi1ELi1ELi0EEEJPfiEEEvT_T0_DpT1_,"axG",@progbits,_ZN2at6native12_GLOBAL__N_125multi_tensor_apply_kernelINS1_18TensorListMetadataILi1EEENS0_13LpNormFunctorIN3c104HalfELNS0_8NormTypeE0EfLi1ELi1ELi0EEEJPfiEEEvT_T0_DpT1_,comdat
.Lfunc_end92:
	.size	_ZN2at6native12_GLOBAL__N_125multi_tensor_apply_kernelINS1_18TensorListMetadataILi1EEENS0_13LpNormFunctorIN3c104HalfELNS0_8NormTypeE0EfLi1ELi1ELi0EEEJPfiEEEvT_T0_DpT1_, .Lfunc_end92-_ZN2at6native12_GLOBAL__N_125multi_tensor_apply_kernelINS1_18TensorListMetadataILi1EEENS0_13LpNormFunctorIN3c104HalfELNS0_8NormTypeE0EfLi1ELi1ELi0EEEJPfiEEEvT_T0_DpT1_
                                        ; -- End function
	.set _ZN2at6native12_GLOBAL__N_125multi_tensor_apply_kernelINS1_18TensorListMetadataILi1EEENS0_13LpNormFunctorIN3c104HalfELNS0_8NormTypeE0EfLi1ELi1ELi0EEEJPfiEEEvT_T0_DpT1_.num_vgpr, 18
	.set _ZN2at6native12_GLOBAL__N_125multi_tensor_apply_kernelINS1_18TensorListMetadataILi1EEENS0_13LpNormFunctorIN3c104HalfELNS0_8NormTypeE0EfLi1ELi1ELi0EEEJPfiEEEvT_T0_DpT1_.num_agpr, 0
	.set _ZN2at6native12_GLOBAL__N_125multi_tensor_apply_kernelINS1_18TensorListMetadataILi1EEENS0_13LpNormFunctorIN3c104HalfELNS0_8NormTypeE0EfLi1ELi1ELi0EEEJPfiEEEvT_T0_DpT1_.numbered_sgpr, 20
	.set _ZN2at6native12_GLOBAL__N_125multi_tensor_apply_kernelINS1_18TensorListMetadataILi1EEENS0_13LpNormFunctorIN3c104HalfELNS0_8NormTypeE0EfLi1ELi1ELi0EEEJPfiEEEvT_T0_DpT1_.num_named_barrier, 0
	.set _ZN2at6native12_GLOBAL__N_125multi_tensor_apply_kernelINS1_18TensorListMetadataILi1EEENS0_13LpNormFunctorIN3c104HalfELNS0_8NormTypeE0EfLi1ELi1ELi0EEEJPfiEEEvT_T0_DpT1_.private_seg_size, 0
	.set _ZN2at6native12_GLOBAL__N_125multi_tensor_apply_kernelINS1_18TensorListMetadataILi1EEENS0_13LpNormFunctorIN3c104HalfELNS0_8NormTypeE0EfLi1ELi1ELi0EEEJPfiEEEvT_T0_DpT1_.uses_vcc, 1
	.set _ZN2at6native12_GLOBAL__N_125multi_tensor_apply_kernelINS1_18TensorListMetadataILi1EEENS0_13LpNormFunctorIN3c104HalfELNS0_8NormTypeE0EfLi1ELi1ELi0EEEJPfiEEEvT_T0_DpT1_.uses_flat_scratch, 0
	.set _ZN2at6native12_GLOBAL__N_125multi_tensor_apply_kernelINS1_18TensorListMetadataILi1EEENS0_13LpNormFunctorIN3c104HalfELNS0_8NormTypeE0EfLi1ELi1ELi0EEEJPfiEEEvT_T0_DpT1_.has_dyn_sized_stack, 0
	.set _ZN2at6native12_GLOBAL__N_125multi_tensor_apply_kernelINS1_18TensorListMetadataILi1EEENS0_13LpNormFunctorIN3c104HalfELNS0_8NormTypeE0EfLi1ELi1ELi0EEEJPfiEEEvT_T0_DpT1_.has_recursion, 0
	.set _ZN2at6native12_GLOBAL__N_125multi_tensor_apply_kernelINS1_18TensorListMetadataILi1EEENS0_13LpNormFunctorIN3c104HalfELNS0_8NormTypeE0EfLi1ELi1ELi0EEEJPfiEEEvT_T0_DpT1_.has_indirect_call, 0
	.section	.AMDGPU.csdata,"",@progbits
; Kernel info:
; codeLenInByte = 1468
; TotalNumSgprs: 26
; NumVgprs: 18
; NumAgprs: 0
; TotalNumVgprs: 18
; ScratchSize: 0
; MemoryBound: 0
; FloatMode: 240
; IeeeMode: 1
; LDSByteSize: 2048 bytes/workgroup (compile time only)
; SGPRBlocks: 3
; VGPRBlocks: 2
; NumSGPRsForWavesPerEU: 26
; NumVGPRsForWavesPerEU: 18
; AccumOffset: 20
; Occupancy: 8
; WaveLimiterHint : 0
; COMPUTE_PGM_RSRC2:SCRATCH_EN: 0
; COMPUTE_PGM_RSRC2:USER_SGPR: 2
; COMPUTE_PGM_RSRC2:TRAP_HANDLER: 0
; COMPUTE_PGM_RSRC2:TGID_X_EN: 1
; COMPUTE_PGM_RSRC2:TGID_Y_EN: 0
; COMPUTE_PGM_RSRC2:TGID_Z_EN: 0
; COMPUTE_PGM_RSRC2:TIDIG_COMP_CNT: 0
; COMPUTE_PGM_RSRC3_GFX90A:ACCUM_OFFSET: 4
; COMPUTE_PGM_RSRC3_GFX90A:TG_SPLIT: 0
	.section	.text._ZN2at6native12_GLOBAL__N_125multi_tensor_apply_kernelINS1_18TensorListMetadataILi1EEENS0_13LpNormFunctorIN3c104HalfELNS0_8NormTypeE1EfLi1ELi1ELi0EEEJPfiEEEvT_T0_DpT1_,"axG",@progbits,_ZN2at6native12_GLOBAL__N_125multi_tensor_apply_kernelINS1_18TensorListMetadataILi1EEENS0_13LpNormFunctorIN3c104HalfELNS0_8NormTypeE1EfLi1ELi1ELi0EEEJPfiEEEvT_T0_DpT1_,comdat
	.globl	_ZN2at6native12_GLOBAL__N_125multi_tensor_apply_kernelINS1_18TensorListMetadataILi1EEENS0_13LpNormFunctorIN3c104HalfELNS0_8NormTypeE1EfLi1ELi1ELi0EEEJPfiEEEvT_T0_DpT1_ ; -- Begin function _ZN2at6native12_GLOBAL__N_125multi_tensor_apply_kernelINS1_18TensorListMetadataILi1EEENS0_13LpNormFunctorIN3c104HalfELNS0_8NormTypeE1EfLi1ELi1ELi0EEEJPfiEEEvT_T0_DpT1_
	.p2align	8
	.type	_ZN2at6native12_GLOBAL__N_125multi_tensor_apply_kernelINS1_18TensorListMetadataILi1EEENS0_13LpNormFunctorIN3c104HalfELNS0_8NormTypeE1EfLi1ELi1ELi0EEEJPfiEEEvT_T0_DpT1_,@function
_ZN2at6native12_GLOBAL__N_125multi_tensor_apply_kernelINS1_18TensorListMetadataILi1EEENS0_13LpNormFunctorIN3c104HalfELNS0_8NormTypeE1EfLi1ELi1ELi0EEEJPfiEEEvT_T0_DpT1_: ; @_ZN2at6native12_GLOBAL__N_125multi_tensor_apply_kernelINS1_18TensorListMetadataILi1EEENS0_13LpNormFunctorIN3c104HalfELNS0_8NormTypeE1EfLi1ELi1ELi0EEEJPfiEEEvT_T0_DpT1_
; %bb.0:
	v_mov_b32_e32 v1, s2
	global_load_ubyte v1, v1, s[0:1] offset:1760
	s_add_u32 s3, s0, s2
	s_mul_hi_u32 s4, s2, 3
	s_mul_i32 s2, s2, 3
	s_addc_u32 s5, s1, 0
	s_add_u32 s2, s3, s2
	s_addc_u32 s3, s5, s4
	s_load_dword s4, s[2:3], 0x820
	s_mov_b32 s15, 0
	s_waitcnt vmcnt(0)
	v_readfirstlane_b32 s2, v1
	s_and_b32 s16, s2, 0xff
	s_lshl_b32 s5, s16, 3
	s_load_dwordx2 s[2:3], s[0:1], s5 offset:0x370
	s_load_dwordx2 s[6:7], s[0:1], s5 offset:0x0
	s_waitcnt lgkmcnt(0)
	s_ashr_i32 s5, s4, 31
	s_lshl_b64 s[10:11], s[4:5], 16
	s_lshl_b64 s[8:9], s[4:5], 17
	s_add_u32 s12, s6, s8
	s_addc_u32 s13, s7, s9
	s_sub_u32 s10, s2, s10
	s_subb_u32 s11, s3, s11
	s_and_b32 s14, s2, 3
	s_and_b32 s2, s12, 7
	s_mov_b32 s3, s15
	s_or_b64 s[2:3], s[14:15], s[2:3]
	s_cmp_eq_u64 s[2:3], 0
	s_cbranch_scc1 .LBB93_12
; %bb.1:
	v_cmp_lt_i64_e64 s[2:3], s[10:11], 1
	s_and_b64 vcc, exec, s[2:3]
	s_cbranch_vccnz .LBB93_13
; %bb.2:
	s_load_dword s14, s[0:1], 0xd4c
	v_mov_b64_e32 v[2:3], 0x10000
	v_cmp_lt_i64_e32 vcc, s[10:11], v[2:3]
	s_and_b64 s[2:3], vcc, exec
	v_mov_b32_e32 v7, 0
	s_cselect_b32 s3, s11, 0
	s_cselect_b32 s2, s10, 0x10000
	s_waitcnt lgkmcnt(0)
	s_and_b32 s18, s14, 0xffff
	v_mov_b32_e32 v6, v7
	v_mad_u64_u32 v[12:13], s[14:15], s18, 3, v[0:1]
	v_mov_b32_e32 v8, v7
	v_mov_b32_e32 v9, v7
	v_mov_b64_e32 v[2:3], v[6:7]
	s_mov_b32 s5, 0x10000
	s_lshl_b32 s17, s18, 2
	v_lshl_add_u32 v10, s18, 1, v0
	v_add_u32_e32 v14, s18, v0
	s_mov_b64 s[14:15], 0
	v_mov_b64_e32 v[16:17], s[2:3]
	v_mov_b64_e32 v[4:5], v[8:9]
	s_branch .LBB93_4
.LBB93_3:                               ;   in Loop: Header=BB93_4 Depth=1
	s_or_b64 exec, exec, s[2:3]
	s_add_u32 s14, s14, s17
	s_addc_u32 s15, s15, 0
	v_cmp_lt_i64_e32 vcc, s[14:15], v[16:17]
	s_cbranch_vccz .LBB93_14
.LBB93_4:                               ; =>This Inner Loop Header: Depth=1
	v_add_u32_e32 v6, s14, v0
	v_cmp_gt_i64_e32 vcc, s[10:11], v[6:7]
	v_cmp_gt_u32_e64 s[2:3], s5, v6
	s_and_b64 s[18:19], s[2:3], vcc
	s_and_saveexec_b64 s[2:3], s[18:19]
	s_cbranch_execz .LBB93_6
; %bb.5:                                ;   in Loop: Header=BB93_4 Depth=1
	v_lshl_add_u64 v[8:9], v[6:7], 1, s[12:13]
	global_load_ushort v1, v[8:9], off
	s_waitcnt vmcnt(0)
	v_cvt_f32_f16_e64 v1, |v1|
	v_add_f32_e32 v2, v2, v1
.LBB93_6:                               ;   in Loop: Header=BB93_4 Depth=1
	s_or_b64 exec, exec, s[2:3]
	v_add_u32_e32 v6, s14, v14
	v_cmp_gt_i64_e32 vcc, s[10:11], v[6:7]
	v_cmp_gt_u32_e64 s[2:3], s5, v6
	s_and_b64 s[18:19], s[2:3], vcc
	s_and_saveexec_b64 s[2:3], s[18:19]
	s_cbranch_execz .LBB93_8
; %bb.7:                                ;   in Loop: Header=BB93_4 Depth=1
	v_lshl_add_u64 v[8:9], v[6:7], 1, s[12:13]
	global_load_ushort v1, v[8:9], off
	s_waitcnt vmcnt(0)
	v_cvt_f32_f16_e64 v1, |v1|
	v_add_f32_e32 v3, v3, v1
.LBB93_8:                               ;   in Loop: Header=BB93_4 Depth=1
	s_or_b64 exec, exec, s[2:3]
	v_add_u32_e32 v6, s14, v10
	v_cmp_gt_i64_e32 vcc, s[10:11], v[6:7]
	v_cmp_gt_u32_e64 s[2:3], s5, v6
	s_and_b64 s[18:19], s[2:3], vcc
	s_and_saveexec_b64 s[2:3], s[18:19]
	s_cbranch_execz .LBB93_10
; %bb.9:                                ;   in Loop: Header=BB93_4 Depth=1
	v_lshl_add_u64 v[8:9], v[6:7], 1, s[12:13]
	global_load_ushort v1, v[8:9], off
	s_waitcnt vmcnt(0)
	v_cvt_f32_f16_e64 v1, |v1|
	v_add_f32_e32 v4, v4, v1
.LBB93_10:                              ;   in Loop: Header=BB93_4 Depth=1
	s_or_b64 exec, exec, s[2:3]
	v_add_u32_e32 v6, s14, v12
	v_cmp_gt_i64_e32 vcc, s[10:11], v[6:7]
	v_cmp_gt_u32_e64 s[2:3], s5, v6
	s_and_b64 s[18:19], s[2:3], vcc
	s_and_saveexec_b64 s[2:3], s[18:19]
	s_cbranch_execz .LBB93_3
; %bb.11:                               ;   in Loop: Header=BB93_4 Depth=1
	v_lshl_add_u64 v[8:9], v[6:7], 1, s[12:13]
	global_load_ushort v1, v[8:9], off
	s_waitcnt vmcnt(0)
	v_cvt_f32_f16_e64 v1, |v1|
	v_add_f32_e32 v5, v5, v1
	s_branch .LBB93_3
.LBB93_12:
                                        ; implicit-def: $vgpr2_vgpr3_vgpr4_vgpr5
	s_branch .LBB93_15
.LBB93_13:
	v_mov_b32_e32 v2, 0
	v_mov_b32_e32 v3, v2
	;; [unrolled: 1-line block ×4, first 2 shown]
.LBB93_14:
	s_cbranch_execnz .LBB93_20
.LBB93_15:
	v_mov_b64_e32 v[4:5], 0x10000
	v_cmp_lt_i64_e32 vcc, s[10:11], v[4:5]
	v_mov_b32_e32 v2, 0
	s_and_b64 s[2:3], vcc, exec
	s_cselect_b32 s3, s11, 0
	s_cselect_b32 s2, s10, 0x10000
	v_lshlrev_b32_e32 v4, 2, v0
	v_mov_b32_e32 v5, v2
	v_cmp_gt_i64_e32 vcc, s[2:3], v[4:5]
	s_mov_b32 s13, 0
	v_mov_b32_e32 v3, v2
	v_mov_b32_e32 v4, v2
	s_and_saveexec_b64 s[10:11], vcc
	s_cbranch_execz .LBB93_19
; %bb.16:
	s_load_dword s5, s[0:1], 0xd4c
	v_lshlrev_b32_e32 v4, 3, v0
	v_mov_b32_e32 v5, v2
	v_mov_b32_e32 v1, v2
	v_mov_b64_e32 v[8:9], v[0:1]
	s_waitcnt lgkmcnt(0)
	s_and_b32 s12, s5, 0xffff
	s_add_u32 s8, s6, s8
	s_addc_u32 s9, s7, s9
	v_lshl_add_u64 v[4:5], s[8:9], 0, v[4:5]
	s_lshl_b32 s6, s12, 3
	v_lshl_add_u64 v[6:7], v[4:5], 0, 4
	s_mov_b32 s7, s13
	s_mov_b64 s[8:9], 0
	v_mov_b32_e32 v3, v2
	v_mov_b32_e32 v4, v2
	;; [unrolled: 1-line block ×3, first 2 shown]
.LBB93_17:                              ; =>This Inner Loop Header: Depth=1
	global_load_dwordx2 v[10:11], v[6:7], off offset:-4
	v_lshl_add_u64 v[8:9], v[8:9], 0, s[12:13]
	v_lshlrev_b64 v[12:13], 2, v[8:9]
	v_cmp_le_i64_e32 vcc, s[2:3], v[12:13]
	v_lshl_add_u64 v[6:7], v[6:7], 0, s[6:7]
	s_or_b64 s[8:9], vcc, s[8:9]
	s_waitcnt vmcnt(0)
	v_cvt_f32_f16_sdwa v15, |v10| dst_sel:DWORD dst_unused:UNUSED_PAD src0_sel:WORD_1
	v_cvt_f32_f16_sdwa v17, |v11| dst_sel:DWORD dst_unused:UNUSED_PAD src0_sel:WORD_1
	v_cvt_f32_f16_e64 v16, |v11|
	v_cvt_f32_f16_e64 v14, |v10|
	v_pk_add_f32 v[4:5], v[4:5], v[16:17]
	v_pk_add_f32 v[2:3], v[2:3], v[14:15]
	s_andn2_b64 exec, exec, s[8:9]
	s_cbranch_execnz .LBB93_17
; %bb.18:
	s_or_b64 exec, exec, s[8:9]
.LBB93_19:
	s_or_b64 exec, exec, s[10:11]
.LBB93_20:
	v_add_f32_e32 v1, 0, v2
	v_add_f32_e32 v1, v3, v1
	;; [unrolled: 1-line block ×4, first 2 shown]
	v_mbcnt_lo_u32_b32 v1, -1, 0
	v_mbcnt_hi_u32_b32 v6, -1, v1
	v_mov_b32_e32 v1, 0x80
	v_lshl_or_b32 v1, v6, 2, v1
	ds_bpermute_b32 v3, v1, v2
	v_and_b32_e32 v9, 63, v6
	v_cmp_gt_u32_e32 vcc, 48, v9
	s_waitcnt lgkmcnt(0)
	s_barrier
	v_add_f32_e32 v3, v2, v3
	v_cndmask_b32_e64 v2, 0, 16, vcc
	v_add_lshl_u32 v2, v2, v6, 2
	ds_bpermute_b32 v4, v2, v3
	v_cmp_gt_u32_e32 vcc, 56, v9
	s_waitcnt lgkmcnt(0)
	v_add_f32_e32 v4, v3, v4
	v_cndmask_b32_e64 v3, 0, 8, vcc
	v_add_lshl_u32 v3, v3, v6, 2
	ds_bpermute_b32 v5, v3, v4
	v_cmp_gt_u32_e32 vcc, 60, v9
	s_waitcnt lgkmcnt(0)
	;; [unrolled: 6-line block ×3, first 2 shown]
	v_add_f32_e32 v7, v5, v7
	v_cndmask_b32_e64 v8, 0, 2, vcc
	v_add_lshl_u32 v5, v8, v6, 2
	ds_bpermute_b32 v10, v5, v7
	v_cmp_ne_u32_e32 vcc, 63, v9
	v_and_b32_e32 v8, 63, v0
	s_waitcnt lgkmcnt(0)
	v_add_f32_e32 v7, v7, v10
	v_addc_co_u32_e32 v6, vcc, 0, v6, vcc
	v_lshlrev_b32_e32 v6, 2, v6
	ds_bpermute_b32 v9, v6, v7
	v_cmp_eq_u32_e32 vcc, 0, v8
	s_and_saveexec_b64 s[2:3], vcc
	s_cbranch_execz .LBB93_22
; %bb.21:
	v_lshrrev_b32_e32 v10, 4, v0
	s_waitcnt lgkmcnt(0)
	v_add_f32_e32 v7, v7, v9
	ds_write_b32 v10, v7
.LBB93_22:
	s_or_b64 exec, exec, s[2:3]
	s_waitcnt lgkmcnt(0)
	s_barrier
	s_load_dword s2, s[0:1], 0xd4c
	v_mov_b32_e32 v7, 0
	s_waitcnt lgkmcnt(0)
	s_bfe_u32 s2, s2, 0xa0006
	v_cmp_gt_u32_e32 vcc, s2, v0
	s_and_saveexec_b64 s[2:3], vcc
	s_cbranch_execnz .LBB93_26
; %bb.23:
	s_or_b64 exec, exec, s[2:3]
	v_cmp_gt_u32_e32 vcc, 64, v0
	s_and_saveexec_b64 s[2:3], vcc
	s_cbranch_execnz .LBB93_27
.LBB93_24:
	s_or_b64 exec, exec, s[2:3]
	v_cmp_eq_u32_e32 vcc, 0, v0
	s_and_saveexec_b64 s[2:3], vcc
	s_cbranch_execnz .LBB93_28
.LBB93_25:
	s_endpgm
.LBB93_26:
	v_lshlrev_b32_e32 v7, 2, v8
	ds_read_b32 v7, v7
	s_or_b64 exec, exec, s[2:3]
	v_cmp_gt_u32_e32 vcc, 64, v0
	s_and_saveexec_b64 s[2:3], vcc
	s_cbranch_execz .LBB93_24
.LBB93_27:
	s_waitcnt lgkmcnt(0)
	ds_bpermute_b32 v1, v1, v7
	s_waitcnt lgkmcnt(0)
	v_add_f32_e32 v1, v7, v1
	ds_bpermute_b32 v2, v2, v1
	s_waitcnt lgkmcnt(0)
	v_add_f32_e32 v1, v1, v2
	;; [unrolled: 3-line block ×6, first 2 shown]
	s_or_b64 exec, exec, s[2:3]
	v_cmp_eq_u32_e32 vcc, 0, v0
	s_and_saveexec_b64 s[2:3], vcc
	s_cbranch_execz .LBB93_25
.LBB93_28:
	s_load_dword s5, s[0:1], 0xd20
	s_load_dword s6, s[0:1], 0xd38
	s_load_dwordx2 s[2:3], s[0:1], 0xd30
	v_mov_b32_e32 v0, 0
	s_waitcnt lgkmcnt(0)
	s_add_i32 s0, s5, s16
	s_mul_i32 s0, s0, s6
	s_add_i32 s0, s0, s4
	s_ashr_i32 s1, s0, 31
	s_lshl_b64 s[0:1], s[0:1], 2
	s_add_u32 s0, s2, s0
	s_addc_u32 s1, s3, s1
	global_store_dword v0, v7, s[0:1]
	s_endpgm
	.section	.rodata,"a",@progbits
	.p2align	6, 0x0
	.amdhsa_kernel _ZN2at6native12_GLOBAL__N_125multi_tensor_apply_kernelINS1_18TensorListMetadataILi1EEENS0_13LpNormFunctorIN3c104HalfELNS0_8NormTypeE1EfLi1ELi1ELi0EEEJPfiEEEvT_T0_DpT1_
		.amdhsa_group_segment_fixed_size 2048
		.amdhsa_private_segment_fixed_size 0
		.amdhsa_kernarg_size 3648
		.amdhsa_user_sgpr_count 2
		.amdhsa_user_sgpr_dispatch_ptr 0
		.amdhsa_user_sgpr_queue_ptr 0
		.amdhsa_user_sgpr_kernarg_segment_ptr 1
		.amdhsa_user_sgpr_dispatch_id 0
		.amdhsa_user_sgpr_kernarg_preload_length 0
		.amdhsa_user_sgpr_kernarg_preload_offset 0
		.amdhsa_user_sgpr_private_segment_size 0
		.amdhsa_uses_dynamic_stack 0
		.amdhsa_enable_private_segment 0
		.amdhsa_system_sgpr_workgroup_id_x 1
		.amdhsa_system_sgpr_workgroup_id_y 0
		.amdhsa_system_sgpr_workgroup_id_z 0
		.amdhsa_system_sgpr_workgroup_info 0
		.amdhsa_system_vgpr_workitem_id 0
		.amdhsa_next_free_vgpr 18
		.amdhsa_next_free_sgpr 20
		.amdhsa_accum_offset 20
		.amdhsa_reserve_vcc 1
		.amdhsa_float_round_mode_32 0
		.amdhsa_float_round_mode_16_64 0
		.amdhsa_float_denorm_mode_32 3
		.amdhsa_float_denorm_mode_16_64 3
		.amdhsa_dx10_clamp 1
		.amdhsa_ieee_mode 1
		.amdhsa_fp16_overflow 0
		.amdhsa_tg_split 0
		.amdhsa_exception_fp_ieee_invalid_op 0
		.amdhsa_exception_fp_denorm_src 0
		.amdhsa_exception_fp_ieee_div_zero 0
		.amdhsa_exception_fp_ieee_overflow 0
		.amdhsa_exception_fp_ieee_underflow 0
		.amdhsa_exception_fp_ieee_inexact 0
		.amdhsa_exception_int_div_zero 0
	.end_amdhsa_kernel
	.section	.text._ZN2at6native12_GLOBAL__N_125multi_tensor_apply_kernelINS1_18TensorListMetadataILi1EEENS0_13LpNormFunctorIN3c104HalfELNS0_8NormTypeE1EfLi1ELi1ELi0EEEJPfiEEEvT_T0_DpT1_,"axG",@progbits,_ZN2at6native12_GLOBAL__N_125multi_tensor_apply_kernelINS1_18TensorListMetadataILi1EEENS0_13LpNormFunctorIN3c104HalfELNS0_8NormTypeE1EfLi1ELi1ELi0EEEJPfiEEEvT_T0_DpT1_,comdat
.Lfunc_end93:
	.size	_ZN2at6native12_GLOBAL__N_125multi_tensor_apply_kernelINS1_18TensorListMetadataILi1EEENS0_13LpNormFunctorIN3c104HalfELNS0_8NormTypeE1EfLi1ELi1ELi0EEEJPfiEEEvT_T0_DpT1_, .Lfunc_end93-_ZN2at6native12_GLOBAL__N_125multi_tensor_apply_kernelINS1_18TensorListMetadataILi1EEENS0_13LpNormFunctorIN3c104HalfELNS0_8NormTypeE1EfLi1ELi1ELi0EEEJPfiEEEvT_T0_DpT1_
                                        ; -- End function
	.set _ZN2at6native12_GLOBAL__N_125multi_tensor_apply_kernelINS1_18TensorListMetadataILi1EEENS0_13LpNormFunctorIN3c104HalfELNS0_8NormTypeE1EfLi1ELi1ELi0EEEJPfiEEEvT_T0_DpT1_.num_vgpr, 18
	.set _ZN2at6native12_GLOBAL__N_125multi_tensor_apply_kernelINS1_18TensorListMetadataILi1EEENS0_13LpNormFunctorIN3c104HalfELNS0_8NormTypeE1EfLi1ELi1ELi0EEEJPfiEEEvT_T0_DpT1_.num_agpr, 0
	.set _ZN2at6native12_GLOBAL__N_125multi_tensor_apply_kernelINS1_18TensorListMetadataILi1EEENS0_13LpNormFunctorIN3c104HalfELNS0_8NormTypeE1EfLi1ELi1ELi0EEEJPfiEEEvT_T0_DpT1_.numbered_sgpr, 20
	.set _ZN2at6native12_GLOBAL__N_125multi_tensor_apply_kernelINS1_18TensorListMetadataILi1EEENS0_13LpNormFunctorIN3c104HalfELNS0_8NormTypeE1EfLi1ELi1ELi0EEEJPfiEEEvT_T0_DpT1_.num_named_barrier, 0
	.set _ZN2at6native12_GLOBAL__N_125multi_tensor_apply_kernelINS1_18TensorListMetadataILi1EEENS0_13LpNormFunctorIN3c104HalfELNS0_8NormTypeE1EfLi1ELi1ELi0EEEJPfiEEEvT_T0_DpT1_.private_seg_size, 0
	.set _ZN2at6native12_GLOBAL__N_125multi_tensor_apply_kernelINS1_18TensorListMetadataILi1EEENS0_13LpNormFunctorIN3c104HalfELNS0_8NormTypeE1EfLi1ELi1ELi0EEEJPfiEEEvT_T0_DpT1_.uses_vcc, 1
	.set _ZN2at6native12_GLOBAL__N_125multi_tensor_apply_kernelINS1_18TensorListMetadataILi1EEENS0_13LpNormFunctorIN3c104HalfELNS0_8NormTypeE1EfLi1ELi1ELi0EEEJPfiEEEvT_T0_DpT1_.uses_flat_scratch, 0
	.set _ZN2at6native12_GLOBAL__N_125multi_tensor_apply_kernelINS1_18TensorListMetadataILi1EEENS0_13LpNormFunctorIN3c104HalfELNS0_8NormTypeE1EfLi1ELi1ELi0EEEJPfiEEEvT_T0_DpT1_.has_dyn_sized_stack, 0
	.set _ZN2at6native12_GLOBAL__N_125multi_tensor_apply_kernelINS1_18TensorListMetadataILi1EEENS0_13LpNormFunctorIN3c104HalfELNS0_8NormTypeE1EfLi1ELi1ELi0EEEJPfiEEEvT_T0_DpT1_.has_recursion, 0
	.set _ZN2at6native12_GLOBAL__N_125multi_tensor_apply_kernelINS1_18TensorListMetadataILi1EEENS0_13LpNormFunctorIN3c104HalfELNS0_8NormTypeE1EfLi1ELi1ELi0EEEJPfiEEEvT_T0_DpT1_.has_indirect_call, 0
	.section	.AMDGPU.csdata,"",@progbits
; Kernel info:
; codeLenInByte = 1400
; TotalNumSgprs: 26
; NumVgprs: 18
; NumAgprs: 0
; TotalNumVgprs: 18
; ScratchSize: 0
; MemoryBound: 0
; FloatMode: 240
; IeeeMode: 1
; LDSByteSize: 2048 bytes/workgroup (compile time only)
; SGPRBlocks: 3
; VGPRBlocks: 2
; NumSGPRsForWavesPerEU: 26
; NumVGPRsForWavesPerEU: 18
; AccumOffset: 20
; Occupancy: 8
; WaveLimiterHint : 0
; COMPUTE_PGM_RSRC2:SCRATCH_EN: 0
; COMPUTE_PGM_RSRC2:USER_SGPR: 2
; COMPUTE_PGM_RSRC2:TRAP_HANDLER: 0
; COMPUTE_PGM_RSRC2:TGID_X_EN: 1
; COMPUTE_PGM_RSRC2:TGID_Y_EN: 0
; COMPUTE_PGM_RSRC2:TGID_Z_EN: 0
; COMPUTE_PGM_RSRC2:TIDIG_COMP_CNT: 0
; COMPUTE_PGM_RSRC3_GFX90A:ACCUM_OFFSET: 4
; COMPUTE_PGM_RSRC3_GFX90A:TG_SPLIT: 0
	.section	.text._ZN2at6native12_GLOBAL__N_125multi_tensor_apply_kernelINS1_18TensorListMetadataILi1EEENS0_13LpNormFunctorIN3c104HalfELNS0_8NormTypeE2EfLi1ELi1ELi0EEEJPfiEEEvT_T0_DpT1_,"axG",@progbits,_ZN2at6native12_GLOBAL__N_125multi_tensor_apply_kernelINS1_18TensorListMetadataILi1EEENS0_13LpNormFunctorIN3c104HalfELNS0_8NormTypeE2EfLi1ELi1ELi0EEEJPfiEEEvT_T0_DpT1_,comdat
	.globl	_ZN2at6native12_GLOBAL__N_125multi_tensor_apply_kernelINS1_18TensorListMetadataILi1EEENS0_13LpNormFunctorIN3c104HalfELNS0_8NormTypeE2EfLi1ELi1ELi0EEEJPfiEEEvT_T0_DpT1_ ; -- Begin function _ZN2at6native12_GLOBAL__N_125multi_tensor_apply_kernelINS1_18TensorListMetadataILi1EEENS0_13LpNormFunctorIN3c104HalfELNS0_8NormTypeE2EfLi1ELi1ELi0EEEJPfiEEEvT_T0_DpT1_
	.p2align	8
	.type	_ZN2at6native12_GLOBAL__N_125multi_tensor_apply_kernelINS1_18TensorListMetadataILi1EEENS0_13LpNormFunctorIN3c104HalfELNS0_8NormTypeE2EfLi1ELi1ELi0EEEJPfiEEEvT_T0_DpT1_,@function
_ZN2at6native12_GLOBAL__N_125multi_tensor_apply_kernelINS1_18TensorListMetadataILi1EEENS0_13LpNormFunctorIN3c104HalfELNS0_8NormTypeE2EfLi1ELi1ELi0EEEJPfiEEEvT_T0_DpT1_: ; @_ZN2at6native12_GLOBAL__N_125multi_tensor_apply_kernelINS1_18TensorListMetadataILi1EEENS0_13LpNormFunctorIN3c104HalfELNS0_8NormTypeE2EfLi1ELi1ELi0EEEJPfiEEEvT_T0_DpT1_
; %bb.0:
	v_mov_b32_e32 v1, s2
	global_load_ubyte v1, v1, s[0:1] offset:1760
	s_add_u32 s3, s0, s2
	s_mul_hi_u32 s4, s2, 3
	s_mul_i32 s2, s2, 3
	s_addc_u32 s5, s1, 0
	s_add_u32 s2, s3, s2
	s_addc_u32 s3, s5, s4
	s_load_dword s4, s[2:3], 0x820
	s_mov_b32 s15, 0
	s_waitcnt vmcnt(0)
	v_readfirstlane_b32 s2, v1
	s_and_b32 s16, s2, 0xff
	s_lshl_b32 s5, s16, 3
	s_load_dwordx2 s[2:3], s[0:1], s5 offset:0x370
	s_load_dwordx2 s[6:7], s[0:1], s5 offset:0x0
	s_waitcnt lgkmcnt(0)
	s_ashr_i32 s5, s4, 31
	s_lshl_b64 s[10:11], s[4:5], 16
	s_lshl_b64 s[8:9], s[4:5], 17
	s_add_u32 s12, s6, s8
	s_addc_u32 s13, s7, s9
	s_sub_u32 s10, s2, s10
	s_subb_u32 s11, s3, s11
	s_and_b32 s14, s2, 3
	s_and_b32 s2, s12, 7
	s_mov_b32 s3, s15
	s_or_b64 s[2:3], s[14:15], s[2:3]
	s_cmp_eq_u64 s[2:3], 0
	s_cbranch_scc1 .LBB94_12
; %bb.1:
	v_cmp_lt_i64_e64 s[2:3], s[10:11], 1
	s_and_b64 vcc, exec, s[2:3]
	s_cbranch_vccnz .LBB94_13
; %bb.2:
	s_load_dword s14, s[0:1], 0xd4c
	v_mov_b64_e32 v[2:3], 0x10000
	v_cmp_lt_i64_e32 vcc, s[10:11], v[2:3]
	s_and_b64 s[2:3], vcc, exec
	v_mov_b32_e32 v7, 0
	s_cselect_b32 s3, s11, 0
	s_cselect_b32 s2, s10, 0x10000
	s_waitcnt lgkmcnt(0)
	s_and_b32 s18, s14, 0xffff
	v_mov_b32_e32 v6, v7
	v_mad_u64_u32 v[12:13], s[14:15], s18, 3, v[0:1]
	v_mov_b32_e32 v8, v7
	v_mov_b32_e32 v9, v7
	v_mov_b64_e32 v[2:3], v[6:7]
	s_mov_b32 s5, 0x10000
	s_lshl_b32 s17, s18, 2
	v_lshl_add_u32 v10, s18, 1, v0
	v_add_u32_e32 v14, s18, v0
	s_mov_b64 s[14:15], 0
	v_mov_b64_e32 v[16:17], s[2:3]
	v_mov_b64_e32 v[4:5], v[8:9]
	s_branch .LBB94_4
.LBB94_3:                               ;   in Loop: Header=BB94_4 Depth=1
	s_or_b64 exec, exec, s[2:3]
	s_add_u32 s14, s14, s17
	s_addc_u32 s15, s15, 0
	v_cmp_lt_i64_e32 vcc, s[14:15], v[16:17]
	s_cbranch_vccz .LBB94_14
.LBB94_4:                               ; =>This Inner Loop Header: Depth=1
	v_add_u32_e32 v6, s14, v0
	v_cmp_gt_i64_e32 vcc, s[10:11], v[6:7]
	v_cmp_gt_u32_e64 s[2:3], s5, v6
	s_and_b64 s[18:19], s[2:3], vcc
	s_and_saveexec_b64 s[2:3], s[18:19]
	s_cbranch_execz .LBB94_6
; %bb.5:                                ;   in Loop: Header=BB94_4 Depth=1
	v_lshl_add_u64 v[8:9], v[6:7], 1, s[12:13]
	global_load_ushort v1, v[8:9], off
	s_waitcnt vmcnt(0)
	v_fma_mix_f32 v2, v1, v1, v2 op_sel_hi:[1,1,0]
.LBB94_6:                               ;   in Loop: Header=BB94_4 Depth=1
	s_or_b64 exec, exec, s[2:3]
	v_add_u32_e32 v6, s14, v14
	v_cmp_gt_i64_e32 vcc, s[10:11], v[6:7]
	v_cmp_gt_u32_e64 s[2:3], s5, v6
	s_and_b64 s[18:19], s[2:3], vcc
	s_and_saveexec_b64 s[2:3], s[18:19]
	s_cbranch_execz .LBB94_8
; %bb.7:                                ;   in Loop: Header=BB94_4 Depth=1
	v_lshl_add_u64 v[8:9], v[6:7], 1, s[12:13]
	global_load_ushort v1, v[8:9], off
	s_waitcnt vmcnt(0)
	v_fma_mix_f32 v3, v1, v1, v3 op_sel_hi:[1,1,0]
.LBB94_8:                               ;   in Loop: Header=BB94_4 Depth=1
	s_or_b64 exec, exec, s[2:3]
	v_add_u32_e32 v6, s14, v10
	v_cmp_gt_i64_e32 vcc, s[10:11], v[6:7]
	v_cmp_gt_u32_e64 s[2:3], s5, v6
	s_and_b64 s[18:19], s[2:3], vcc
	s_and_saveexec_b64 s[2:3], s[18:19]
	s_cbranch_execz .LBB94_10
; %bb.9:                                ;   in Loop: Header=BB94_4 Depth=1
	v_lshl_add_u64 v[8:9], v[6:7], 1, s[12:13]
	global_load_ushort v1, v[8:9], off
	s_waitcnt vmcnt(0)
	v_fma_mix_f32 v4, v1, v1, v4 op_sel_hi:[1,1,0]
.LBB94_10:                              ;   in Loop: Header=BB94_4 Depth=1
	s_or_b64 exec, exec, s[2:3]
	v_add_u32_e32 v6, s14, v12
	v_cmp_gt_i64_e32 vcc, s[10:11], v[6:7]
	v_cmp_gt_u32_e64 s[2:3], s5, v6
	s_and_b64 s[18:19], s[2:3], vcc
	s_and_saveexec_b64 s[2:3], s[18:19]
	s_cbranch_execz .LBB94_3
; %bb.11:                               ;   in Loop: Header=BB94_4 Depth=1
	v_lshl_add_u64 v[8:9], v[6:7], 1, s[12:13]
	global_load_ushort v1, v[8:9], off
	s_waitcnt vmcnt(0)
	v_fma_mix_f32 v5, v1, v1, v5 op_sel_hi:[1,1,0]
	s_branch .LBB94_3
.LBB94_12:
                                        ; implicit-def: $vgpr2_vgpr3_vgpr4_vgpr5
	s_branch .LBB94_15
.LBB94_13:
	v_mov_b32_e32 v2, 0
	v_mov_b32_e32 v3, v2
	;; [unrolled: 1-line block ×4, first 2 shown]
.LBB94_14:
	s_cbranch_execnz .LBB94_20
.LBB94_15:
	v_mov_b64_e32 v[4:5], 0x10000
	v_cmp_lt_i64_e32 vcc, s[10:11], v[4:5]
	v_mov_b32_e32 v2, 0
	s_and_b64 s[2:3], vcc, exec
	s_cselect_b32 s3, s11, 0
	s_cselect_b32 s2, s10, 0x10000
	v_lshlrev_b32_e32 v4, 2, v0
	v_mov_b32_e32 v5, v2
	v_cmp_gt_i64_e32 vcc, s[2:3], v[4:5]
	s_mov_b32 s13, 0
	v_mov_b32_e32 v3, v2
	v_mov_b32_e32 v4, v2
	s_and_saveexec_b64 s[10:11], vcc
	s_cbranch_execz .LBB94_19
; %bb.16:
	s_load_dword s5, s[0:1], 0xd4c
	v_lshlrev_b32_e32 v4, 3, v0
	v_mov_b32_e32 v5, v2
	v_mov_b32_e32 v1, v2
	v_mov_b64_e32 v[8:9], v[0:1]
	s_waitcnt lgkmcnt(0)
	s_and_b32 s12, s5, 0xffff
	s_add_u32 s8, s6, s8
	s_addc_u32 s9, s7, s9
	v_lshl_add_u64 v[4:5], s[8:9], 0, v[4:5]
	s_lshl_b32 s6, s12, 3
	v_lshl_add_u64 v[6:7], v[4:5], 0, 4
	s_mov_b32 s7, s13
	s_mov_b64 s[8:9], 0
	v_mov_b32_e32 v3, v2
	v_mov_b32_e32 v4, v2
	;; [unrolled: 1-line block ×3, first 2 shown]
.LBB94_17:                              ; =>This Inner Loop Header: Depth=1
	global_load_dwordx2 v[10:11], v[6:7], off offset:-4
	v_lshl_add_u64 v[8:9], v[8:9], 0, s[12:13]
	v_lshlrev_b64 v[12:13], 2, v[8:9]
	v_cmp_le_i64_e32 vcc, s[2:3], v[12:13]
	v_lshl_add_u64 v[6:7], v[6:7], 0, s[6:7]
	s_or_b64 s[8:9], vcc, s[8:9]
	s_waitcnt vmcnt(0)
	v_cvt_f32_f16_sdwa v15, v10 dst_sel:DWORD dst_unused:UNUSED_PAD src0_sel:WORD_1
	v_cvt_f32_f16_sdwa v17, v11 dst_sel:DWORD dst_unused:UNUSED_PAD src0_sel:WORD_1
	v_cvt_f32_f16_e32 v16, v11
	v_cvt_f32_f16_e32 v14, v10
	v_pk_fma_f32 v[4:5], v[16:17], v[16:17], v[4:5]
	v_pk_fma_f32 v[2:3], v[14:15], v[14:15], v[2:3]
	s_andn2_b64 exec, exec, s[8:9]
	s_cbranch_execnz .LBB94_17
; %bb.18:
	s_or_b64 exec, exec, s[8:9]
.LBB94_19:
	s_or_b64 exec, exec, s[10:11]
.LBB94_20:
	v_add_f32_e32 v1, 0, v2
	v_add_f32_e32 v1, v3, v1
	;; [unrolled: 1-line block ×4, first 2 shown]
	v_mbcnt_lo_u32_b32 v1, -1, 0
	v_mbcnt_hi_u32_b32 v6, -1, v1
	v_mov_b32_e32 v1, 0x80
	v_lshl_or_b32 v1, v6, 2, v1
	ds_bpermute_b32 v3, v1, v2
	v_and_b32_e32 v9, 63, v6
	v_cmp_gt_u32_e32 vcc, 48, v9
	s_waitcnt lgkmcnt(0)
	s_barrier
	v_add_f32_e32 v3, v2, v3
	v_cndmask_b32_e64 v2, 0, 16, vcc
	v_add_lshl_u32 v2, v2, v6, 2
	ds_bpermute_b32 v4, v2, v3
	v_cmp_gt_u32_e32 vcc, 56, v9
	s_waitcnt lgkmcnt(0)
	v_add_f32_e32 v4, v3, v4
	v_cndmask_b32_e64 v3, 0, 8, vcc
	v_add_lshl_u32 v3, v3, v6, 2
	ds_bpermute_b32 v5, v3, v4
	v_cmp_gt_u32_e32 vcc, 60, v9
	s_waitcnt lgkmcnt(0)
	;; [unrolled: 6-line block ×3, first 2 shown]
	v_add_f32_e32 v7, v5, v7
	v_cndmask_b32_e64 v8, 0, 2, vcc
	v_add_lshl_u32 v5, v8, v6, 2
	ds_bpermute_b32 v10, v5, v7
	v_cmp_ne_u32_e32 vcc, 63, v9
	v_and_b32_e32 v8, 63, v0
	s_waitcnt lgkmcnt(0)
	v_add_f32_e32 v7, v7, v10
	v_addc_co_u32_e32 v6, vcc, 0, v6, vcc
	v_lshlrev_b32_e32 v6, 2, v6
	ds_bpermute_b32 v9, v6, v7
	v_cmp_eq_u32_e32 vcc, 0, v8
	s_and_saveexec_b64 s[2:3], vcc
	s_cbranch_execz .LBB94_22
; %bb.21:
	v_lshrrev_b32_e32 v10, 4, v0
	s_waitcnt lgkmcnt(0)
	v_add_f32_e32 v7, v7, v9
	ds_write_b32 v10, v7
.LBB94_22:
	s_or_b64 exec, exec, s[2:3]
	s_waitcnt lgkmcnt(0)
	s_barrier
	s_load_dword s2, s[0:1], 0xd4c
	v_mov_b32_e32 v7, 0
	s_waitcnt lgkmcnt(0)
	s_bfe_u32 s2, s2, 0xa0006
	v_cmp_gt_u32_e32 vcc, s2, v0
	s_and_saveexec_b64 s[2:3], vcc
	s_cbranch_execnz .LBB94_26
; %bb.23:
	s_or_b64 exec, exec, s[2:3]
	v_cmp_gt_u32_e32 vcc, 64, v0
	s_and_saveexec_b64 s[2:3], vcc
	s_cbranch_execnz .LBB94_27
.LBB94_24:
	s_or_b64 exec, exec, s[2:3]
	v_cmp_eq_u32_e32 vcc, 0, v0
	s_and_saveexec_b64 s[2:3], vcc
	s_cbranch_execnz .LBB94_28
.LBB94_25:
	s_endpgm
.LBB94_26:
	v_lshlrev_b32_e32 v7, 2, v8
	ds_read_b32 v7, v7
	s_or_b64 exec, exec, s[2:3]
	v_cmp_gt_u32_e32 vcc, 64, v0
	s_and_saveexec_b64 s[2:3], vcc
	s_cbranch_execz .LBB94_24
.LBB94_27:
	s_waitcnt lgkmcnt(0)
	ds_bpermute_b32 v1, v1, v7
	s_waitcnt lgkmcnt(0)
	v_add_f32_e32 v1, v7, v1
	ds_bpermute_b32 v2, v2, v1
	s_waitcnt lgkmcnt(0)
	v_add_f32_e32 v1, v1, v2
	;; [unrolled: 3-line block ×6, first 2 shown]
	s_or_b64 exec, exec, s[2:3]
	v_cmp_eq_u32_e32 vcc, 0, v0
	s_and_saveexec_b64 s[2:3], vcc
	s_cbranch_execz .LBB94_25
.LBB94_28:
	s_load_dword s5, s[0:1], 0xd20
	s_load_dword s6, s[0:1], 0xd38
	s_load_dwordx2 s[2:3], s[0:1], 0xd30
	v_mov_b32_e32 v0, 0
	s_waitcnt lgkmcnt(0)
	s_add_i32 s0, s5, s16
	s_mul_i32 s0, s0, s6
	s_add_i32 s0, s0, s4
	s_ashr_i32 s1, s0, 31
	s_lshl_b64 s[0:1], s[0:1], 2
	s_add_u32 s0, s2, s0
	s_addc_u32 s1, s3, s1
	global_store_dword v0, v7, s[0:1]
	s_endpgm
	.section	.rodata,"a",@progbits
	.p2align	6, 0x0
	.amdhsa_kernel _ZN2at6native12_GLOBAL__N_125multi_tensor_apply_kernelINS1_18TensorListMetadataILi1EEENS0_13LpNormFunctorIN3c104HalfELNS0_8NormTypeE2EfLi1ELi1ELi0EEEJPfiEEEvT_T0_DpT1_
		.amdhsa_group_segment_fixed_size 2048
		.amdhsa_private_segment_fixed_size 0
		.amdhsa_kernarg_size 3648
		.amdhsa_user_sgpr_count 2
		.amdhsa_user_sgpr_dispatch_ptr 0
		.amdhsa_user_sgpr_queue_ptr 0
		.amdhsa_user_sgpr_kernarg_segment_ptr 1
		.amdhsa_user_sgpr_dispatch_id 0
		.amdhsa_user_sgpr_kernarg_preload_length 0
		.amdhsa_user_sgpr_kernarg_preload_offset 0
		.amdhsa_user_sgpr_private_segment_size 0
		.amdhsa_uses_dynamic_stack 0
		.amdhsa_enable_private_segment 0
		.amdhsa_system_sgpr_workgroup_id_x 1
		.amdhsa_system_sgpr_workgroup_id_y 0
		.amdhsa_system_sgpr_workgroup_id_z 0
		.amdhsa_system_sgpr_workgroup_info 0
		.amdhsa_system_vgpr_workitem_id 0
		.amdhsa_next_free_vgpr 18
		.amdhsa_next_free_sgpr 20
		.amdhsa_accum_offset 20
		.amdhsa_reserve_vcc 1
		.amdhsa_float_round_mode_32 0
		.amdhsa_float_round_mode_16_64 0
		.amdhsa_float_denorm_mode_32 3
		.amdhsa_float_denorm_mode_16_64 3
		.amdhsa_dx10_clamp 1
		.amdhsa_ieee_mode 1
		.amdhsa_fp16_overflow 0
		.amdhsa_tg_split 0
		.amdhsa_exception_fp_ieee_invalid_op 0
		.amdhsa_exception_fp_denorm_src 0
		.amdhsa_exception_fp_ieee_div_zero 0
		.amdhsa_exception_fp_ieee_overflow 0
		.amdhsa_exception_fp_ieee_underflow 0
		.amdhsa_exception_fp_ieee_inexact 0
		.amdhsa_exception_int_div_zero 0
	.end_amdhsa_kernel
	.section	.text._ZN2at6native12_GLOBAL__N_125multi_tensor_apply_kernelINS1_18TensorListMetadataILi1EEENS0_13LpNormFunctorIN3c104HalfELNS0_8NormTypeE2EfLi1ELi1ELi0EEEJPfiEEEvT_T0_DpT1_,"axG",@progbits,_ZN2at6native12_GLOBAL__N_125multi_tensor_apply_kernelINS1_18TensorListMetadataILi1EEENS0_13LpNormFunctorIN3c104HalfELNS0_8NormTypeE2EfLi1ELi1ELi0EEEJPfiEEEvT_T0_DpT1_,comdat
.Lfunc_end94:
	.size	_ZN2at6native12_GLOBAL__N_125multi_tensor_apply_kernelINS1_18TensorListMetadataILi1EEENS0_13LpNormFunctorIN3c104HalfELNS0_8NormTypeE2EfLi1ELi1ELi0EEEJPfiEEEvT_T0_DpT1_, .Lfunc_end94-_ZN2at6native12_GLOBAL__N_125multi_tensor_apply_kernelINS1_18TensorListMetadataILi1EEENS0_13LpNormFunctorIN3c104HalfELNS0_8NormTypeE2EfLi1ELi1ELi0EEEJPfiEEEvT_T0_DpT1_
                                        ; -- End function
	.set _ZN2at6native12_GLOBAL__N_125multi_tensor_apply_kernelINS1_18TensorListMetadataILi1EEENS0_13LpNormFunctorIN3c104HalfELNS0_8NormTypeE2EfLi1ELi1ELi0EEEJPfiEEEvT_T0_DpT1_.num_vgpr, 18
	.set _ZN2at6native12_GLOBAL__N_125multi_tensor_apply_kernelINS1_18TensorListMetadataILi1EEENS0_13LpNormFunctorIN3c104HalfELNS0_8NormTypeE2EfLi1ELi1ELi0EEEJPfiEEEvT_T0_DpT1_.num_agpr, 0
	.set _ZN2at6native12_GLOBAL__N_125multi_tensor_apply_kernelINS1_18TensorListMetadataILi1EEENS0_13LpNormFunctorIN3c104HalfELNS0_8NormTypeE2EfLi1ELi1ELi0EEEJPfiEEEvT_T0_DpT1_.numbered_sgpr, 20
	.set _ZN2at6native12_GLOBAL__N_125multi_tensor_apply_kernelINS1_18TensorListMetadataILi1EEENS0_13LpNormFunctorIN3c104HalfELNS0_8NormTypeE2EfLi1ELi1ELi0EEEJPfiEEEvT_T0_DpT1_.num_named_barrier, 0
	.set _ZN2at6native12_GLOBAL__N_125multi_tensor_apply_kernelINS1_18TensorListMetadataILi1EEENS0_13LpNormFunctorIN3c104HalfELNS0_8NormTypeE2EfLi1ELi1ELi0EEEJPfiEEEvT_T0_DpT1_.private_seg_size, 0
	.set _ZN2at6native12_GLOBAL__N_125multi_tensor_apply_kernelINS1_18TensorListMetadataILi1EEENS0_13LpNormFunctorIN3c104HalfELNS0_8NormTypeE2EfLi1ELi1ELi0EEEJPfiEEEvT_T0_DpT1_.uses_vcc, 1
	.set _ZN2at6native12_GLOBAL__N_125multi_tensor_apply_kernelINS1_18TensorListMetadataILi1EEENS0_13LpNormFunctorIN3c104HalfELNS0_8NormTypeE2EfLi1ELi1ELi0EEEJPfiEEEvT_T0_DpT1_.uses_flat_scratch, 0
	.set _ZN2at6native12_GLOBAL__N_125multi_tensor_apply_kernelINS1_18TensorListMetadataILi1EEENS0_13LpNormFunctorIN3c104HalfELNS0_8NormTypeE2EfLi1ELi1ELi0EEEJPfiEEEvT_T0_DpT1_.has_dyn_sized_stack, 0
	.set _ZN2at6native12_GLOBAL__N_125multi_tensor_apply_kernelINS1_18TensorListMetadataILi1EEENS0_13LpNormFunctorIN3c104HalfELNS0_8NormTypeE2EfLi1ELi1ELi0EEEJPfiEEEvT_T0_DpT1_.has_recursion, 0
	.set _ZN2at6native12_GLOBAL__N_125multi_tensor_apply_kernelINS1_18TensorListMetadataILi1EEENS0_13LpNormFunctorIN3c104HalfELNS0_8NormTypeE2EfLi1ELi1ELi0EEEJPfiEEEvT_T0_DpT1_.has_indirect_call, 0
	.section	.AMDGPU.csdata,"",@progbits
; Kernel info:
; codeLenInByte = 1376
; TotalNumSgprs: 26
; NumVgprs: 18
; NumAgprs: 0
; TotalNumVgprs: 18
; ScratchSize: 0
; MemoryBound: 0
; FloatMode: 240
; IeeeMode: 1
; LDSByteSize: 2048 bytes/workgroup (compile time only)
; SGPRBlocks: 3
; VGPRBlocks: 2
; NumSGPRsForWavesPerEU: 26
; NumVGPRsForWavesPerEU: 18
; AccumOffset: 20
; Occupancy: 8
; WaveLimiterHint : 0
; COMPUTE_PGM_RSRC2:SCRATCH_EN: 0
; COMPUTE_PGM_RSRC2:USER_SGPR: 2
; COMPUTE_PGM_RSRC2:TRAP_HANDLER: 0
; COMPUTE_PGM_RSRC2:TGID_X_EN: 1
; COMPUTE_PGM_RSRC2:TGID_Y_EN: 0
; COMPUTE_PGM_RSRC2:TGID_Z_EN: 0
; COMPUTE_PGM_RSRC2:TIDIG_COMP_CNT: 0
; COMPUTE_PGM_RSRC3_GFX90A:ACCUM_OFFSET: 4
; COMPUTE_PGM_RSRC3_GFX90A:TG_SPLIT: 0
	.section	.text._ZN2at6native12_GLOBAL__N_125multi_tensor_apply_kernelINS1_18TensorListMetadataILi1EEENS0_13LpNormFunctorIN3c104HalfELNS0_8NormTypeE3EfLi1ELi1ELi0EEEJPfiEEEvT_T0_DpT1_,"axG",@progbits,_ZN2at6native12_GLOBAL__N_125multi_tensor_apply_kernelINS1_18TensorListMetadataILi1EEENS0_13LpNormFunctorIN3c104HalfELNS0_8NormTypeE3EfLi1ELi1ELi0EEEJPfiEEEvT_T0_DpT1_,comdat
	.globl	_ZN2at6native12_GLOBAL__N_125multi_tensor_apply_kernelINS1_18TensorListMetadataILi1EEENS0_13LpNormFunctorIN3c104HalfELNS0_8NormTypeE3EfLi1ELi1ELi0EEEJPfiEEEvT_T0_DpT1_ ; -- Begin function _ZN2at6native12_GLOBAL__N_125multi_tensor_apply_kernelINS1_18TensorListMetadataILi1EEENS0_13LpNormFunctorIN3c104HalfELNS0_8NormTypeE3EfLi1ELi1ELi0EEEJPfiEEEvT_T0_DpT1_
	.p2align	8
	.type	_ZN2at6native12_GLOBAL__N_125multi_tensor_apply_kernelINS1_18TensorListMetadataILi1EEENS0_13LpNormFunctorIN3c104HalfELNS0_8NormTypeE3EfLi1ELi1ELi0EEEJPfiEEEvT_T0_DpT1_,@function
_ZN2at6native12_GLOBAL__N_125multi_tensor_apply_kernelINS1_18TensorListMetadataILi1EEENS0_13LpNormFunctorIN3c104HalfELNS0_8NormTypeE3EfLi1ELi1ELi0EEEJPfiEEEvT_T0_DpT1_: ; @_ZN2at6native12_GLOBAL__N_125multi_tensor_apply_kernelINS1_18TensorListMetadataILi1EEENS0_13LpNormFunctorIN3c104HalfELNS0_8NormTypeE3EfLi1ELi1ELi0EEEJPfiEEEvT_T0_DpT1_
; %bb.0:
	v_mov_b32_e32 v1, s2
	global_load_ubyte v1, v1, s[0:1] offset:1760
	s_add_u32 s3, s0, s2
	s_mul_hi_u32 s4, s2, 3
	s_mul_i32 s2, s2, 3
	s_addc_u32 s5, s1, 0
	s_add_u32 s2, s3, s2
	s_addc_u32 s3, s5, s4
	s_load_dword s14, s[2:3], 0x820
	s_mov_b32 s13, 0
	s_waitcnt lgkmcnt(0)
	s_ashr_i32 s15, s14, 31
	s_lshl_b64 s[8:9], s[14:15], 16
	s_waitcnt vmcnt(0)
	v_readfirstlane_b32 s2, v1
	s_and_b32 s26, s2, 0xff
	s_lshl_b32 s6, s26, 3
	s_load_dwordx2 s[2:3], s[0:1], s6 offset:0x370
	s_load_dwordx2 s[4:5], s[0:1], s6 offset:0x0
	s_lshl_b64 s[6:7], s[14:15], 17
	s_waitcnt lgkmcnt(0)
	s_add_u32 s10, s4, s6
	s_addc_u32 s11, s5, s7
	s_sub_u32 s8, s2, s8
	s_subb_u32 s9, s3, s9
	s_and_b32 s12, s2, 3
	s_and_b32 s2, s10, 7
	s_mov_b32 s3, s13
	s_or_b64 s[2:3], s[12:13], s[2:3]
	s_cmp_eq_u64 s[2:3], 0
	s_cbranch_scc1 .LBB95_12
; %bb.1:
	v_cmp_lt_i64_e64 s[2:3], s[8:9], 1
	s_and_b64 vcc, exec, s[2:3]
	s_cbranch_vccnz .LBB95_13
; %bb.2:
	v_mov_b64_e32 v[2:3], 0x10000
	v_cmp_lt_i64_e32 vcc, s[8:9], v[2:3]
	s_and_b64 s[2:3], vcc, exec
	s_load_dword s2, s[0:1], 0xd4c
	v_mov_b32_e32 v7, 0
	v_mov_b32_e32 v6, v7
	s_cselect_b32 s13, s9, 0
	s_cselect_b32 s12, s8, 0x10000
	s_waitcnt lgkmcnt(0)
	s_and_b32 s16, s2, 0xffff
	v_mov_b32_e32 v8, v7
	v_mov_b32_e32 v9, v7
	v_mov_b64_e32 v[2:3], v[6:7]
	s_mov_b32 s15, 0x10000
	s_lshl_b32 s20, s16, 2
	v_lshl_add_u32 v10, s16, 1, v0
	v_mad_u64_u32 v[12:13], s[2:3], s16, 3, v[0:1]
	v_add_u32_e32 v14, s16, v0
	s_mov_b64 s[16:17], 0
	v_mov_b64_e32 v[4:5], v[8:9]
	s_branch .LBB95_4
.LBB95_3:                               ;   in Loop: Header=BB95_4 Depth=1
	s_or_b64 exec, exec, s[18:19]
	s_add_u32 s16, s16, s20
	s_addc_u32 s17, s17, 0
	v_mov_b64_e32 v[8:9], s[12:13]
	v_cmp_lt_i64_e32 vcc, s[16:17], v[8:9]
	s_cbranch_vccz .LBB95_14
.LBB95_4:                               ; =>This Inner Loop Header: Depth=1
	v_add_u32_e32 v6, s16, v0
	v_cmp_gt_i64_e32 vcc, s[8:9], v[6:7]
	v_cmp_gt_u32_e64 s[2:3], s15, v6
	s_and_b64 s[2:3], s[2:3], vcc
	s_and_saveexec_b64 s[18:19], s[2:3]
	s_cbranch_execz .LBB95_6
; %bb.5:                                ;   in Loop: Header=BB95_4 Depth=1
	v_lshl_add_u64 v[8:9], v[6:7], 1, s[10:11]
	global_load_ushort v1, v[8:9], off
	s_waitcnt vmcnt(0)
	v_cvt_f32_f16_e64 v6, |v1|
	v_cmp_u_f16_e32 vcc, v1, v1
	v_cmp_lt_f32_e64 s[2:3], v2, v6
	s_or_b64 vcc, vcc, s[2:3]
	v_cndmask_b32_e32 v2, v2, v6, vcc
.LBB95_6:                               ;   in Loop: Header=BB95_4 Depth=1
	s_or_b64 exec, exec, s[18:19]
	v_add_u32_e32 v6, s16, v14
	v_cmp_gt_i64_e32 vcc, s[8:9], v[6:7]
	v_cmp_gt_u32_e64 s[2:3], s15, v6
	s_and_b64 s[2:3], s[2:3], vcc
	s_and_saveexec_b64 s[18:19], s[2:3]
	s_cbranch_execz .LBB95_8
; %bb.7:                                ;   in Loop: Header=BB95_4 Depth=1
	v_lshl_add_u64 v[8:9], v[6:7], 1, s[10:11]
	global_load_ushort v1, v[8:9], off
	s_waitcnt vmcnt(0)
	v_cvt_f32_f16_e64 v6, |v1|
	v_cmp_u_f16_e32 vcc, v1, v1
	v_cmp_lt_f32_e64 s[2:3], v3, v6
	s_or_b64 vcc, vcc, s[2:3]
	v_cndmask_b32_e32 v3, v3, v6, vcc
.LBB95_8:                               ;   in Loop: Header=BB95_4 Depth=1
	s_or_b64 exec, exec, s[18:19]
	v_add_u32_e32 v6, s16, v10
	v_cmp_gt_i64_e32 vcc, s[8:9], v[6:7]
	v_cmp_gt_u32_e64 s[2:3], s15, v6
	s_and_b64 s[2:3], s[2:3], vcc
	s_and_saveexec_b64 s[18:19], s[2:3]
	s_cbranch_execz .LBB95_10
; %bb.9:                                ;   in Loop: Header=BB95_4 Depth=1
	v_lshl_add_u64 v[8:9], v[6:7], 1, s[10:11]
	global_load_ushort v1, v[8:9], off
	s_waitcnt vmcnt(0)
	v_cvt_f32_f16_e64 v6, |v1|
	v_cmp_u_f16_e32 vcc, v1, v1
	v_cmp_lt_f32_e64 s[2:3], v4, v6
	s_or_b64 vcc, vcc, s[2:3]
	v_cndmask_b32_e32 v4, v4, v6, vcc
.LBB95_10:                              ;   in Loop: Header=BB95_4 Depth=1
	s_or_b64 exec, exec, s[18:19]
	v_add_u32_e32 v6, s16, v12
	v_cmp_gt_i64_e32 vcc, s[8:9], v[6:7]
	v_cmp_gt_u32_e64 s[2:3], s15, v6
	s_and_b64 s[2:3], s[2:3], vcc
	s_and_saveexec_b64 s[18:19], s[2:3]
	s_cbranch_execz .LBB95_3
; %bb.11:                               ;   in Loop: Header=BB95_4 Depth=1
	v_lshl_add_u64 v[8:9], v[6:7], 1, s[10:11]
	global_load_ushort v1, v[8:9], off
	s_waitcnt vmcnt(0)
	v_cvt_f32_f16_e64 v6, |v1|
	v_cmp_u_f16_e32 vcc, v1, v1
	v_cmp_lt_f32_e64 s[2:3], v5, v6
	s_or_b64 vcc, vcc, s[2:3]
	v_cndmask_b32_e32 v5, v5, v6, vcc
	s_branch .LBB95_3
.LBB95_12:
                                        ; implicit-def: $vgpr2_vgpr3_vgpr4_vgpr5
	s_branch .LBB95_15
.LBB95_13:
	v_mov_b32_e32 v2, 0
	v_mov_b32_e32 v3, v2
	;; [unrolled: 1-line block ×4, first 2 shown]
.LBB95_14:
	s_cbranch_execnz .LBB95_20
.LBB95_15:
	v_mov_b64_e32 v[4:5], 0x10000
	v_cmp_lt_i64_e32 vcc, s[8:9], v[4:5]
	s_and_b64 s[2:3], vcc, exec
	v_mov_b32_e32 v3, 0
	s_cselect_b32 s17, s9, 0
	s_cselect_b32 s16, s8, 0x10000
	v_lshlrev_b32_e32 v2, 2, v0
	v_cmp_gt_i64_e32 vcc, s[16:17], v[2:3]
	s_mov_b32 s21, 0
	v_mov_b32_e32 v2, v3
	v_mov_b32_e32 v4, v3
	;; [unrolled: 1-line block ×3, first 2 shown]
	s_and_saveexec_b64 s[18:19], vcc
	s_cbranch_execz .LBB95_19
; %bb.16:
	s_load_dword s2, s[0:1], 0xd4c
	v_lshlrev_b32_e32 v2, 3, v0
	v_mov_b32_e32 v1, v3
	s_mov_b32 s23, s21
	s_mov_b64 s[24:25], 0
	s_waitcnt lgkmcnt(0)
	s_and_b32 s20, s2, 0xffff
	s_add_u32 s2, s4, s6
	s_addc_u32 s3, s5, s7
	v_lshl_add_u64 v[4:5], s[2:3], 0, v[2:3]
	s_lshl_b32 s22, s20, 3
	v_lshl_add_u64 v[8:9], v[4:5], 0, 4
	v_mov_b64_e32 v[10:11], v[0:1]
	v_mov_b32_e32 v5, 0
	v_mov_b32_e32 v6, 0
	v_mov_b32_e32 v7, 0
.LBB95_17:                              ; =>This Inner Loop Header: Depth=1
	global_load_dwordx2 v[12:13], v[8:9], off offset:-4
	v_lshl_add_u64 v[10:11], v[10:11], 0, s[20:21]
	v_lshlrev_b64 v[14:15], 2, v[10:11]
	v_cmp_le_i64_e32 vcc, s[16:17], v[14:15]
	v_lshl_add_u64 v[8:9], v[8:9], 0, s[22:23]
	s_waitcnt vmcnt(0)
	v_cvt_f32_f16_e64 v1, |v12|
	v_cvt_f32_f16_sdwa v2, |v12| dst_sel:DWORD dst_unused:UNUSED_PAD src0_sel:WORD_1
	v_cvt_f32_f16_e64 v4, |v13|
	v_cmp_u_f16_e64 s[2:3], v12, v12
	v_cmp_u_f16_sdwa s[28:29], v12, v12 src0_sel:WORD_1 src1_sel:WORD_1
	v_cvt_f32_f16_sdwa v12, |v13| dst_sel:DWORD dst_unused:UNUSED_PAD src0_sel:WORD_1
	v_cmp_lt_f32_e64 s[6:7], v3, v1
	v_cmp_lt_f32_e64 s[8:9], v5, v2
	s_or_b64 s[2:3], s[2:3], s[6:7]
	v_cmp_u_f16_e64 s[4:5], v13, v13
	v_cmp_lt_f32_e64 s[10:11], v6, v4
	v_cndmask_b32_e64 v3, v3, v1, s[2:3]
	s_or_b64 s[2:3], s[28:29], s[8:9]
	v_cmp_u_f16_sdwa s[30:31], v13, v13 src0_sel:WORD_1 src1_sel:WORD_1
	v_cmp_lt_f32_e64 s[12:13], v7, v12
	v_cndmask_b32_e64 v5, v5, v2, s[2:3]
	s_or_b64 s[2:3], s[4:5], s[10:11]
	v_cndmask_b32_e64 v6, v6, v4, s[2:3]
	s_or_b64 s[2:3], s[30:31], s[12:13]
	s_or_b64 s[24:25], vcc, s[24:25]
	v_cndmask_b32_e64 v7, v7, v12, s[2:3]
	s_andn2_b64 exec, exec, s[24:25]
	s_cbranch_execnz .LBB95_17
; %bb.18:
	s_or_b64 exec, exec, s[24:25]
	v_mov_b32_e32 v4, v3
	v_mov_b64_e32 v[2:3], v[4:5]
	v_mov_b64_e32 v[4:5], v[6:7]
.LBB95_19:
	s_or_b64 exec, exec, s[18:19]
.LBB95_20:
	v_cmp_nge_f32_e32 vcc, 0, v2
	v_and_b32_e32 v8, 63, v0
	s_nop 0
	v_cndmask_b32_e32 v1, 0, v2, vcc
	v_cmp_u_f32_e32 vcc, v3, v3
	v_cmp_lt_f32_e64 s[2:3], v1, v3
	s_or_b64 vcc, vcc, s[2:3]
	v_cndmask_b32_e32 v1, v1, v3, vcc
	v_cmp_u_f32_e32 vcc, v4, v4
	v_cmp_lt_f32_e64 s[2:3], v1, v4
	s_or_b64 vcc, vcc, s[2:3]
	;; [unrolled: 4-line block ×3, first 2 shown]
	v_cndmask_b32_e32 v2, v1, v5, vcc
	v_mbcnt_lo_u32_b32 v1, -1, 0
	v_mbcnt_hi_u32_b32 v6, -1, v1
	v_mov_b32_e32 v1, 0x80
	v_lshl_or_b32 v1, v6, 2, v1
	ds_bpermute_b32 v3, v1, v2
	v_and_b32_e32 v9, 63, v6
	s_barrier
	s_waitcnt lgkmcnt(0)
	v_cmp_u_f32_e32 vcc, v3, v3
	v_cmp_lt_f32_e64 s[2:3], v2, v3
	s_or_b64 vcc, vcc, s[2:3]
	v_cndmask_b32_e32 v3, v2, v3, vcc
	v_cmp_gt_u32_e32 vcc, 48, v9
	s_nop 1
	v_cndmask_b32_e64 v2, 0, 16, vcc
	v_add_lshl_u32 v2, v2, v6, 2
	ds_bpermute_b32 v4, v2, v3
	s_waitcnt lgkmcnt(0)
	v_cmp_u_f32_e32 vcc, v4, v4
	v_cmp_lt_f32_e64 s[2:3], v3, v4
	s_or_b64 vcc, vcc, s[2:3]
	v_cndmask_b32_e32 v4, v3, v4, vcc
	v_cmp_gt_u32_e32 vcc, 56, v9
	s_nop 1
	v_cndmask_b32_e64 v3, 0, 8, vcc
	v_add_lshl_u32 v3, v3, v6, 2
	ds_bpermute_b32 v5, v3, v4
	;; [unrolled: 10-line block ×4, first 2 shown]
	s_waitcnt lgkmcnt(0)
	v_cmp_u_f32_e32 vcc, v10, v10
	v_cmp_lt_f32_e64 s[2:3], v7, v10
	s_or_b64 vcc, vcc, s[2:3]
	v_cndmask_b32_e32 v7, v7, v10, vcc
	v_cmp_ne_u32_e32 vcc, 63, v9
	s_nop 1
	v_addc_co_u32_e32 v6, vcc, 0, v6, vcc
	v_lshlrev_b32_e32 v6, 2, v6
	ds_bpermute_b32 v9, v6, v7
	v_cmp_eq_u32_e32 vcc, 0, v8
	s_and_saveexec_b64 s[4:5], vcc
	s_cbranch_execz .LBB95_22
; %bb.21:
	s_waitcnt lgkmcnt(0)
	v_cmp_u_f32_e32 vcc, v9, v9
	v_cmp_lt_f32_e64 s[2:3], v7, v9
	s_or_b64 vcc, vcc, s[2:3]
	v_lshrrev_b32_e32 v10, 4, v0
	v_cndmask_b32_e32 v7, v7, v9, vcc
	ds_write_b32 v10, v7
.LBB95_22:
	s_or_b64 exec, exec, s[4:5]
	s_waitcnt lgkmcnt(0)
	s_barrier
	s_load_dword s2, s[0:1], 0xd4c
	v_mov_b32_e32 v7, 0xff7fffff
	s_waitcnt lgkmcnt(0)
	s_bfe_u32 s2, s2, 0xa0006
	v_cmp_gt_u32_e32 vcc, s2, v0
	s_and_saveexec_b64 s[2:3], vcc
	s_cbranch_execnz .LBB95_26
; %bb.23:
	s_or_b64 exec, exec, s[2:3]
	v_cmp_gt_u32_e32 vcc, 64, v0
	s_and_saveexec_b64 s[4:5], vcc
	s_cbranch_execnz .LBB95_27
.LBB95_24:
	s_or_b64 exec, exec, s[4:5]
	v_cmp_eq_u32_e32 vcc, 0, v0
	s_and_saveexec_b64 s[2:3], vcc
	s_cbranch_execnz .LBB95_28
.LBB95_25:
	s_endpgm
.LBB95_26:
	v_lshlrev_b32_e32 v7, 2, v8
	ds_read_b32 v7, v7
	s_or_b64 exec, exec, s[2:3]
	v_cmp_gt_u32_e32 vcc, 64, v0
	s_and_saveexec_b64 s[4:5], vcc
	s_cbranch_execz .LBB95_24
.LBB95_27:
	s_waitcnt lgkmcnt(0)
	ds_bpermute_b32 v1, v1, v7
	s_waitcnt lgkmcnt(0)
	v_cmp_u_f32_e32 vcc, v1, v1
	v_cmp_lt_f32_e64 s[2:3], v7, v1
	s_or_b64 vcc, vcc, s[2:3]
	v_cndmask_b32_e32 v1, v7, v1, vcc
	ds_bpermute_b32 v2, v2, v1
	s_waitcnt lgkmcnt(0)
	v_cmp_u_f32_e32 vcc, v2, v2
	v_cmp_lt_f32_e64 s[2:3], v1, v2
	s_or_b64 vcc, vcc, s[2:3]
	v_cndmask_b32_e32 v1, v1, v2, vcc
	;; [unrolled: 6-line block ×6, first 2 shown]
	s_or_b64 exec, exec, s[4:5]
	v_cmp_eq_u32_e32 vcc, 0, v0
	s_and_saveexec_b64 s[2:3], vcc
	s_cbranch_execz .LBB95_25
.LBB95_28:
	s_load_dword s4, s[0:1], 0xd20
	s_load_dword s5, s[0:1], 0xd38
	s_load_dwordx2 s[2:3], s[0:1], 0xd30
	v_mov_b32_e32 v0, 0
	s_waitcnt lgkmcnt(0)
	s_add_i32 s0, s4, s26
	s_mul_i32 s0, s0, s5
	s_add_i32 s0, s0, s14
	s_ashr_i32 s1, s0, 31
	s_lshl_b64 s[0:1], s[0:1], 2
	s_add_u32 s0, s2, s0
	s_addc_u32 s1, s3, s1
	global_store_dword v0, v7, s[0:1]
	s_endpgm
	.section	.rodata,"a",@progbits
	.p2align	6, 0x0
	.amdhsa_kernel _ZN2at6native12_GLOBAL__N_125multi_tensor_apply_kernelINS1_18TensorListMetadataILi1EEENS0_13LpNormFunctorIN3c104HalfELNS0_8NormTypeE3EfLi1ELi1ELi0EEEJPfiEEEvT_T0_DpT1_
		.amdhsa_group_segment_fixed_size 2048
		.amdhsa_private_segment_fixed_size 0
		.amdhsa_kernarg_size 3648
		.amdhsa_user_sgpr_count 2
		.amdhsa_user_sgpr_dispatch_ptr 0
		.amdhsa_user_sgpr_queue_ptr 0
		.amdhsa_user_sgpr_kernarg_segment_ptr 1
		.amdhsa_user_sgpr_dispatch_id 0
		.amdhsa_user_sgpr_kernarg_preload_length 0
		.amdhsa_user_sgpr_kernarg_preload_offset 0
		.amdhsa_user_sgpr_private_segment_size 0
		.amdhsa_uses_dynamic_stack 0
		.amdhsa_enable_private_segment 0
		.amdhsa_system_sgpr_workgroup_id_x 1
		.amdhsa_system_sgpr_workgroup_id_y 0
		.amdhsa_system_sgpr_workgroup_id_z 0
		.amdhsa_system_sgpr_workgroup_info 0
		.amdhsa_system_vgpr_workitem_id 0
		.amdhsa_next_free_vgpr 16
		.amdhsa_next_free_sgpr 32
		.amdhsa_accum_offset 16
		.amdhsa_reserve_vcc 1
		.amdhsa_float_round_mode_32 0
		.amdhsa_float_round_mode_16_64 0
		.amdhsa_float_denorm_mode_32 3
		.amdhsa_float_denorm_mode_16_64 3
		.amdhsa_dx10_clamp 1
		.amdhsa_ieee_mode 1
		.amdhsa_fp16_overflow 0
		.amdhsa_tg_split 0
		.amdhsa_exception_fp_ieee_invalid_op 0
		.amdhsa_exception_fp_denorm_src 0
		.amdhsa_exception_fp_ieee_div_zero 0
		.amdhsa_exception_fp_ieee_overflow 0
		.amdhsa_exception_fp_ieee_underflow 0
		.amdhsa_exception_fp_ieee_inexact 0
		.amdhsa_exception_int_div_zero 0
	.end_amdhsa_kernel
	.section	.text._ZN2at6native12_GLOBAL__N_125multi_tensor_apply_kernelINS1_18TensorListMetadataILi1EEENS0_13LpNormFunctorIN3c104HalfELNS0_8NormTypeE3EfLi1ELi1ELi0EEEJPfiEEEvT_T0_DpT1_,"axG",@progbits,_ZN2at6native12_GLOBAL__N_125multi_tensor_apply_kernelINS1_18TensorListMetadataILi1EEENS0_13LpNormFunctorIN3c104HalfELNS0_8NormTypeE3EfLi1ELi1ELi0EEEJPfiEEEvT_T0_DpT1_,comdat
.Lfunc_end95:
	.size	_ZN2at6native12_GLOBAL__N_125multi_tensor_apply_kernelINS1_18TensorListMetadataILi1EEENS0_13LpNormFunctorIN3c104HalfELNS0_8NormTypeE3EfLi1ELi1ELi0EEEJPfiEEEvT_T0_DpT1_, .Lfunc_end95-_ZN2at6native12_GLOBAL__N_125multi_tensor_apply_kernelINS1_18TensorListMetadataILi1EEENS0_13LpNormFunctorIN3c104HalfELNS0_8NormTypeE3EfLi1ELi1ELi0EEEJPfiEEEvT_T0_DpT1_
                                        ; -- End function
	.set _ZN2at6native12_GLOBAL__N_125multi_tensor_apply_kernelINS1_18TensorListMetadataILi1EEENS0_13LpNormFunctorIN3c104HalfELNS0_8NormTypeE3EfLi1ELi1ELi0EEEJPfiEEEvT_T0_DpT1_.num_vgpr, 16
	.set _ZN2at6native12_GLOBAL__N_125multi_tensor_apply_kernelINS1_18TensorListMetadataILi1EEENS0_13LpNormFunctorIN3c104HalfELNS0_8NormTypeE3EfLi1ELi1ELi0EEEJPfiEEEvT_T0_DpT1_.num_agpr, 0
	.set _ZN2at6native12_GLOBAL__N_125multi_tensor_apply_kernelINS1_18TensorListMetadataILi1EEENS0_13LpNormFunctorIN3c104HalfELNS0_8NormTypeE3EfLi1ELi1ELi0EEEJPfiEEEvT_T0_DpT1_.numbered_sgpr, 32
	.set _ZN2at6native12_GLOBAL__N_125multi_tensor_apply_kernelINS1_18TensorListMetadataILi1EEENS0_13LpNormFunctorIN3c104HalfELNS0_8NormTypeE3EfLi1ELi1ELi0EEEJPfiEEEvT_T0_DpT1_.num_named_barrier, 0
	.set _ZN2at6native12_GLOBAL__N_125multi_tensor_apply_kernelINS1_18TensorListMetadataILi1EEENS0_13LpNormFunctorIN3c104HalfELNS0_8NormTypeE3EfLi1ELi1ELi0EEEJPfiEEEvT_T0_DpT1_.private_seg_size, 0
	.set _ZN2at6native12_GLOBAL__N_125multi_tensor_apply_kernelINS1_18TensorListMetadataILi1EEENS0_13LpNormFunctorIN3c104HalfELNS0_8NormTypeE3EfLi1ELi1ELi0EEEJPfiEEEvT_T0_DpT1_.uses_vcc, 1
	.set _ZN2at6native12_GLOBAL__N_125multi_tensor_apply_kernelINS1_18TensorListMetadataILi1EEENS0_13LpNormFunctorIN3c104HalfELNS0_8NormTypeE3EfLi1ELi1ELi0EEEJPfiEEEvT_T0_DpT1_.uses_flat_scratch, 0
	.set _ZN2at6native12_GLOBAL__N_125multi_tensor_apply_kernelINS1_18TensorListMetadataILi1EEENS0_13LpNormFunctorIN3c104HalfELNS0_8NormTypeE3EfLi1ELi1ELi0EEEJPfiEEEvT_T0_DpT1_.has_dyn_sized_stack, 0
	.set _ZN2at6native12_GLOBAL__N_125multi_tensor_apply_kernelINS1_18TensorListMetadataILi1EEENS0_13LpNormFunctorIN3c104HalfELNS0_8NormTypeE3EfLi1ELi1ELi0EEEJPfiEEEvT_T0_DpT1_.has_recursion, 0
	.set _ZN2at6native12_GLOBAL__N_125multi_tensor_apply_kernelINS1_18TensorListMetadataILi1EEENS0_13LpNormFunctorIN3c104HalfELNS0_8NormTypeE3EfLi1ELi1ELi0EEEJPfiEEEvT_T0_DpT1_.has_indirect_call, 0
	.section	.AMDGPU.csdata,"",@progbits
; Kernel info:
; codeLenInByte = 1844
; TotalNumSgprs: 38
; NumVgprs: 16
; NumAgprs: 0
; TotalNumVgprs: 16
; ScratchSize: 0
; MemoryBound: 0
; FloatMode: 240
; IeeeMode: 1
; LDSByteSize: 2048 bytes/workgroup (compile time only)
; SGPRBlocks: 4
; VGPRBlocks: 1
; NumSGPRsForWavesPerEU: 38
; NumVGPRsForWavesPerEU: 16
; AccumOffset: 16
; Occupancy: 8
; WaveLimiterHint : 0
; COMPUTE_PGM_RSRC2:SCRATCH_EN: 0
; COMPUTE_PGM_RSRC2:USER_SGPR: 2
; COMPUTE_PGM_RSRC2:TRAP_HANDLER: 0
; COMPUTE_PGM_RSRC2:TGID_X_EN: 1
; COMPUTE_PGM_RSRC2:TGID_Y_EN: 0
; COMPUTE_PGM_RSRC2:TGID_Z_EN: 0
; COMPUTE_PGM_RSRC2:TIDIG_COMP_CNT: 0
; COMPUTE_PGM_RSRC3_GFX90A:ACCUM_OFFSET: 3
; COMPUTE_PGM_RSRC3_GFX90A:TG_SPLIT: 0
	.section	.text._ZN2at6native14lpnorm_cleanupIN3c104HalfELNS0_8NormTypeE0EfLb1EfEEvPKT3_NS0_19TensorListAddressesEi,"axG",@progbits,_ZN2at6native14lpnorm_cleanupIN3c104HalfELNS0_8NormTypeE0EfLb1EfEEvPKT3_NS0_19TensorListAddressesEi,comdat
	.protected	_ZN2at6native14lpnorm_cleanupIN3c104HalfELNS0_8NormTypeE0EfLb1EfEEvPKT3_NS0_19TensorListAddressesEi ; -- Begin function _ZN2at6native14lpnorm_cleanupIN3c104HalfELNS0_8NormTypeE0EfLb1EfEEvPKT3_NS0_19TensorListAddressesEi
	.globl	_ZN2at6native14lpnorm_cleanupIN3c104HalfELNS0_8NormTypeE0EfLb1EfEEvPKT3_NS0_19TensorListAddressesEi
	.p2align	8
	.type	_ZN2at6native14lpnorm_cleanupIN3c104HalfELNS0_8NormTypeE0EfLb1EfEEvPKT3_NS0_19TensorListAddressesEi,@function
_ZN2at6native14lpnorm_cleanupIN3c104HalfELNS0_8NormTypeE0EfLb1EfEEvPKT3_NS0_19TensorListAddressesEi: ; @_ZN2at6native14lpnorm_cleanupIN3c104HalfELNS0_8NormTypeE0EfLb1EfEEvPKT3_NS0_19TensorListAddressesEi
; %bb.0:
	s_load_dword s6, s[0:1], 0xc88
	v_mov_b32_e32 v1, 0
	s_waitcnt lgkmcnt(0)
	v_cmp_gt_u32_e32 vcc, s6, v0
	s_and_saveexec_b64 s[4:5], vcc
	s_cbranch_execz .LBB96_4
; %bb.1:
	s_load_dwordx2 s[12:13], s[0:1], 0x0
	s_load_dword s3, s[0:1], 0xc9c
	s_mul_i32 s8, s6, s2
	s_mov_b32 s9, 0
	s_ashr_i32 s7, s6, 31
	s_lshl_b64 s[14:15], s[8:9], 2
	s_waitcnt lgkmcnt(0)
	s_and_b32 s10, s3, 0xffff
	v_mov_b32_e32 v1, 0
	s_add_u32 s12, s12, s14
	v_lshlrev_b32_e32 v2, 2, v0
	v_mov_b32_e32 v3, v1
	s_addc_u32 s13, s13, s15
	s_mov_b32 s11, s9
	v_lshl_add_u64 v[2:3], s[12:13], 0, v[2:3]
	s_lshl_b32 s8, s10, 2
	s_mov_b64 s[12:13], 0
	v_mov_b64_e32 v[4:5], v[0:1]
.LBB96_2:                               ; =>This Inner Loop Header: Depth=1
	global_load_dword v6, v[2:3], off
	v_lshl_add_u64 v[4:5], v[4:5], 0, s[10:11]
	v_cmp_le_u64_e32 vcc, s[6:7], v[4:5]
	v_lshl_add_u64 v[2:3], v[2:3], 0, s[8:9]
	s_or_b64 s[12:13], vcc, s[12:13]
	s_waitcnt vmcnt(0)
	v_add_f32_e32 v1, v1, v6
	s_andn2_b64 exec, exec, s[12:13]
	s_cbranch_execnz .LBB96_2
; %bb.3:
	s_or_b64 exec, exec, s[12:13]
.LBB96_4:
	s_or_b64 exec, exec, s[4:5]
	v_mbcnt_lo_u32_b32 v2, -1, 0
	v_mbcnt_hi_u32_b32 v6, -1, v2
	v_mov_b32_e32 v2, 0x80
	v_lshl_or_b32 v2, v6, 2, v2
	ds_bpermute_b32 v3, v2, v1
	v_and_b32_e32 v7, 63, v6
	v_cmp_gt_u32_e32 vcc, 48, v7
	s_waitcnt lgkmcnt(0)
	s_barrier
	v_cndmask_b32_e64 v4, 0, 16, vcc
	v_add_f32_e32 v5, v1, v3
	v_add_lshl_u32 v1, v4, v6, 2
	ds_bpermute_b32 v4, v1, v5
	v_cmp_gt_u32_e32 vcc, 56, v7
	s_waitcnt lgkmcnt(0)
	v_add_f32_e32 v5, v5, v4
	v_cndmask_b32_e64 v3, 0, 8, vcc
	v_add_lshl_u32 v3, v3, v6, 2
	ds_bpermute_b32 v8, v3, v5
	v_cmp_gt_u32_e32 vcc, 60, v7
	s_waitcnt lgkmcnt(0)
	v_add_f32_e32 v8, v5, v8
	v_cndmask_b32_e64 v4, 0, 4, vcc
	;; [unrolled: 6-line block ×3, first 2 shown]
	v_add_lshl_u32 v5, v5, v6, 2
	ds_bpermute_b32 v10, v5, v9
	v_cmp_ne_u32_e32 vcc, 63, v7
	v_and_b32_e32 v8, 63, v0
	s_waitcnt lgkmcnt(0)
	v_add_f32_e32 v7, v9, v10
	v_addc_co_u32_e32 v6, vcc, 0, v6, vcc
	v_lshlrev_b32_e32 v6, 2, v6
	ds_bpermute_b32 v9, v6, v7
	v_cmp_eq_u32_e32 vcc, 0, v8
	s_and_saveexec_b64 s[4:5], vcc
	s_cbranch_execz .LBB96_6
; %bb.5:
	s_waitcnt lgkmcnt(0)
	v_add_f32_e32 v7, v7, v9
	v_lshrrev_b32_e32 v9, 4, v0
	ds_write_b32 v9, v7
.LBB96_6:
	s_or_b64 exec, exec, s[4:5]
	s_waitcnt lgkmcnt(0)
	s_barrier
	s_load_dword s3, s[0:1], 0xc9c
	v_mov_b32_e32 v7, 0
	s_waitcnt lgkmcnt(0)
	s_bfe_u32 s3, s3, 0xa0006
	v_cmp_gt_u32_e32 vcc, s3, v0
	s_and_saveexec_b64 s[4:5], vcc
; %bb.7:
	v_lshlrev_b32_e32 v7, 2, v8
	ds_read_b32 v7, v7
; %bb.8:
	s_or_b64 exec, exec, s[4:5]
	v_cmp_gt_u32_e32 vcc, 64, v0
	s_and_saveexec_b64 s[4:5], vcc
	s_cbranch_execz .LBB96_10
; %bb.9:
	s_waitcnt lgkmcnt(0)
	ds_bpermute_b32 v2, v2, v7
	s_waitcnt lgkmcnt(0)
	v_add_f32_e32 v2, v7, v2
	ds_bpermute_b32 v1, v1, v2
	s_waitcnt lgkmcnt(0)
	v_add_f32_e32 v1, v2, v1
	;; [unrolled: 3-line block ×6, first 2 shown]
.LBB96_10:
	s_or_b64 exec, exec, s[4:5]
	s_mov_b32 s3, 0
	v_cmp_eq_u32_e32 vcc, 0, v0
	s_and_saveexec_b64 s[4:5], vcc
	s_cbranch_execz .LBB96_12
; %bb.11:
	s_lshl_b64 s[2:3], s[2:3], 3
	s_add_u32 s0, s0, s2
	s_addc_u32 s1, s1, s3
	s_load_dwordx2 s[0:1], s[0:1], 0x8
	v_mov_b32_e32 v0, 0
	s_waitcnt lgkmcnt(0)
	global_store_dword v0, v7, s[0:1]
.LBB96_12:
	s_endpgm
	.section	.rodata,"a",@progbits
	.p2align	6, 0x0
	.amdhsa_kernel _ZN2at6native14lpnorm_cleanupIN3c104HalfELNS0_8NormTypeE0EfLb1EfEEvPKT3_NS0_19TensorListAddressesEi
		.amdhsa_group_segment_fixed_size 2048
		.amdhsa_private_segment_fixed_size 0
		.amdhsa_kernarg_size 3472
		.amdhsa_user_sgpr_count 2
		.amdhsa_user_sgpr_dispatch_ptr 0
		.amdhsa_user_sgpr_queue_ptr 0
		.amdhsa_user_sgpr_kernarg_segment_ptr 1
		.amdhsa_user_sgpr_dispatch_id 0
		.amdhsa_user_sgpr_kernarg_preload_length 0
		.amdhsa_user_sgpr_kernarg_preload_offset 0
		.amdhsa_user_sgpr_private_segment_size 0
		.amdhsa_uses_dynamic_stack 0
		.amdhsa_enable_private_segment 0
		.amdhsa_system_sgpr_workgroup_id_x 1
		.amdhsa_system_sgpr_workgroup_id_y 0
		.amdhsa_system_sgpr_workgroup_id_z 0
		.amdhsa_system_sgpr_workgroup_info 0
		.amdhsa_system_vgpr_workitem_id 0
		.amdhsa_next_free_vgpr 11
		.amdhsa_next_free_sgpr 16
		.amdhsa_accum_offset 12
		.amdhsa_reserve_vcc 1
		.amdhsa_float_round_mode_32 0
		.amdhsa_float_round_mode_16_64 0
		.amdhsa_float_denorm_mode_32 3
		.amdhsa_float_denorm_mode_16_64 3
		.amdhsa_dx10_clamp 1
		.amdhsa_ieee_mode 1
		.amdhsa_fp16_overflow 0
		.amdhsa_tg_split 0
		.amdhsa_exception_fp_ieee_invalid_op 0
		.amdhsa_exception_fp_denorm_src 0
		.amdhsa_exception_fp_ieee_div_zero 0
		.amdhsa_exception_fp_ieee_overflow 0
		.amdhsa_exception_fp_ieee_underflow 0
		.amdhsa_exception_fp_ieee_inexact 0
		.amdhsa_exception_int_div_zero 0
	.end_amdhsa_kernel
	.section	.text._ZN2at6native14lpnorm_cleanupIN3c104HalfELNS0_8NormTypeE0EfLb1EfEEvPKT3_NS0_19TensorListAddressesEi,"axG",@progbits,_ZN2at6native14lpnorm_cleanupIN3c104HalfELNS0_8NormTypeE0EfLb1EfEEvPKT3_NS0_19TensorListAddressesEi,comdat
.Lfunc_end96:
	.size	_ZN2at6native14lpnorm_cleanupIN3c104HalfELNS0_8NormTypeE0EfLb1EfEEvPKT3_NS0_19TensorListAddressesEi, .Lfunc_end96-_ZN2at6native14lpnorm_cleanupIN3c104HalfELNS0_8NormTypeE0EfLb1EfEEvPKT3_NS0_19TensorListAddressesEi
                                        ; -- End function
	.set _ZN2at6native14lpnorm_cleanupIN3c104HalfELNS0_8NormTypeE0EfLb1EfEEvPKT3_NS0_19TensorListAddressesEi.num_vgpr, 11
	.set _ZN2at6native14lpnorm_cleanupIN3c104HalfELNS0_8NormTypeE0EfLb1EfEEvPKT3_NS0_19TensorListAddressesEi.num_agpr, 0
	.set _ZN2at6native14lpnorm_cleanupIN3c104HalfELNS0_8NormTypeE0EfLb1EfEEvPKT3_NS0_19TensorListAddressesEi.numbered_sgpr, 16
	.set _ZN2at6native14lpnorm_cleanupIN3c104HalfELNS0_8NormTypeE0EfLb1EfEEvPKT3_NS0_19TensorListAddressesEi.num_named_barrier, 0
	.set _ZN2at6native14lpnorm_cleanupIN3c104HalfELNS0_8NormTypeE0EfLb1EfEEvPKT3_NS0_19TensorListAddressesEi.private_seg_size, 0
	.set _ZN2at6native14lpnorm_cleanupIN3c104HalfELNS0_8NormTypeE0EfLb1EfEEvPKT3_NS0_19TensorListAddressesEi.uses_vcc, 1
	.set _ZN2at6native14lpnorm_cleanupIN3c104HalfELNS0_8NormTypeE0EfLb1EfEEvPKT3_NS0_19TensorListAddressesEi.uses_flat_scratch, 0
	.set _ZN2at6native14lpnorm_cleanupIN3c104HalfELNS0_8NormTypeE0EfLb1EfEEvPKT3_NS0_19TensorListAddressesEi.has_dyn_sized_stack, 0
	.set _ZN2at6native14lpnorm_cleanupIN3c104HalfELNS0_8NormTypeE0EfLb1EfEEvPKT3_NS0_19TensorListAddressesEi.has_recursion, 0
	.set _ZN2at6native14lpnorm_cleanupIN3c104HalfELNS0_8NormTypeE0EfLb1EfEEvPKT3_NS0_19TensorListAddressesEi.has_indirect_call, 0
	.section	.AMDGPU.csdata,"",@progbits
; Kernel info:
; codeLenInByte = 660
; TotalNumSgprs: 22
; NumVgprs: 11
; NumAgprs: 0
; TotalNumVgprs: 11
; ScratchSize: 0
; MemoryBound: 0
; FloatMode: 240
; IeeeMode: 1
; LDSByteSize: 2048 bytes/workgroup (compile time only)
; SGPRBlocks: 2
; VGPRBlocks: 1
; NumSGPRsForWavesPerEU: 22
; NumVGPRsForWavesPerEU: 11
; AccumOffset: 12
; Occupancy: 8
; WaveLimiterHint : 0
; COMPUTE_PGM_RSRC2:SCRATCH_EN: 0
; COMPUTE_PGM_RSRC2:USER_SGPR: 2
; COMPUTE_PGM_RSRC2:TRAP_HANDLER: 0
; COMPUTE_PGM_RSRC2:TGID_X_EN: 1
; COMPUTE_PGM_RSRC2:TGID_Y_EN: 0
; COMPUTE_PGM_RSRC2:TGID_Z_EN: 0
; COMPUTE_PGM_RSRC2:TIDIG_COMP_CNT: 0
; COMPUTE_PGM_RSRC3_GFX90A:ACCUM_OFFSET: 2
; COMPUTE_PGM_RSRC3_GFX90A:TG_SPLIT: 0
	.section	.text._ZN2at6native14lpnorm_cleanupIN3c104HalfELNS0_8NormTypeE1EfLb1EfEEvPKT3_NS0_19TensorListAddressesEi,"axG",@progbits,_ZN2at6native14lpnorm_cleanupIN3c104HalfELNS0_8NormTypeE1EfLb1EfEEvPKT3_NS0_19TensorListAddressesEi,comdat
	.protected	_ZN2at6native14lpnorm_cleanupIN3c104HalfELNS0_8NormTypeE1EfLb1EfEEvPKT3_NS0_19TensorListAddressesEi ; -- Begin function _ZN2at6native14lpnorm_cleanupIN3c104HalfELNS0_8NormTypeE1EfLb1EfEEvPKT3_NS0_19TensorListAddressesEi
	.globl	_ZN2at6native14lpnorm_cleanupIN3c104HalfELNS0_8NormTypeE1EfLb1EfEEvPKT3_NS0_19TensorListAddressesEi
	.p2align	8
	.type	_ZN2at6native14lpnorm_cleanupIN3c104HalfELNS0_8NormTypeE1EfLb1EfEEvPKT3_NS0_19TensorListAddressesEi,@function
_ZN2at6native14lpnorm_cleanupIN3c104HalfELNS0_8NormTypeE1EfLb1EfEEvPKT3_NS0_19TensorListAddressesEi: ; @_ZN2at6native14lpnorm_cleanupIN3c104HalfELNS0_8NormTypeE1EfLb1EfEEvPKT3_NS0_19TensorListAddressesEi
; %bb.0:
	s_load_dword s6, s[0:1], 0xc88
	v_mov_b32_e32 v1, 0
	s_waitcnt lgkmcnt(0)
	v_cmp_gt_u32_e32 vcc, s6, v0
	s_and_saveexec_b64 s[4:5], vcc
	s_cbranch_execz .LBB97_4
; %bb.1:
	s_load_dwordx2 s[12:13], s[0:1], 0x0
	s_load_dword s3, s[0:1], 0xc9c
	s_mul_i32 s8, s6, s2
	s_mov_b32 s9, 0
	s_ashr_i32 s7, s6, 31
	s_lshl_b64 s[14:15], s[8:9], 2
	s_waitcnt lgkmcnt(0)
	s_and_b32 s10, s3, 0xffff
	v_mov_b32_e32 v1, 0
	s_add_u32 s12, s12, s14
	v_lshlrev_b32_e32 v2, 2, v0
	v_mov_b32_e32 v3, v1
	s_addc_u32 s13, s13, s15
	s_mov_b32 s11, s9
	v_lshl_add_u64 v[2:3], s[12:13], 0, v[2:3]
	s_lshl_b32 s8, s10, 2
	s_mov_b64 s[12:13], 0
	v_mov_b64_e32 v[4:5], v[0:1]
.LBB97_2:                               ; =>This Inner Loop Header: Depth=1
	global_load_dword v6, v[2:3], off
	v_lshl_add_u64 v[4:5], v[4:5], 0, s[10:11]
	v_cmp_le_u64_e32 vcc, s[6:7], v[4:5]
	v_lshl_add_u64 v[2:3], v[2:3], 0, s[8:9]
	s_or_b64 s[12:13], vcc, s[12:13]
	s_waitcnt vmcnt(0)
	v_add_f32_e32 v1, v1, v6
	s_andn2_b64 exec, exec, s[12:13]
	s_cbranch_execnz .LBB97_2
; %bb.3:
	s_or_b64 exec, exec, s[12:13]
.LBB97_4:
	s_or_b64 exec, exec, s[4:5]
	v_mbcnt_lo_u32_b32 v2, -1, 0
	v_mbcnt_hi_u32_b32 v6, -1, v2
	v_mov_b32_e32 v2, 0x80
	v_lshl_or_b32 v2, v6, 2, v2
	ds_bpermute_b32 v3, v2, v1
	v_and_b32_e32 v7, 63, v6
	v_cmp_gt_u32_e32 vcc, 48, v7
	s_waitcnt lgkmcnt(0)
	s_barrier
	v_cndmask_b32_e64 v4, 0, 16, vcc
	v_add_f32_e32 v5, v1, v3
	v_add_lshl_u32 v1, v4, v6, 2
	ds_bpermute_b32 v4, v1, v5
	v_cmp_gt_u32_e32 vcc, 56, v7
	s_waitcnt lgkmcnt(0)
	v_add_f32_e32 v5, v5, v4
	v_cndmask_b32_e64 v3, 0, 8, vcc
	v_add_lshl_u32 v3, v3, v6, 2
	ds_bpermute_b32 v8, v3, v5
	v_cmp_gt_u32_e32 vcc, 60, v7
	s_waitcnt lgkmcnt(0)
	v_add_f32_e32 v8, v5, v8
	v_cndmask_b32_e64 v4, 0, 4, vcc
	;; [unrolled: 6-line block ×3, first 2 shown]
	v_add_lshl_u32 v5, v5, v6, 2
	ds_bpermute_b32 v10, v5, v9
	v_cmp_ne_u32_e32 vcc, 63, v7
	v_and_b32_e32 v8, 63, v0
	s_waitcnt lgkmcnt(0)
	v_add_f32_e32 v7, v9, v10
	v_addc_co_u32_e32 v6, vcc, 0, v6, vcc
	v_lshlrev_b32_e32 v6, 2, v6
	ds_bpermute_b32 v9, v6, v7
	v_cmp_eq_u32_e32 vcc, 0, v8
	s_and_saveexec_b64 s[4:5], vcc
	s_cbranch_execz .LBB97_6
; %bb.5:
	s_waitcnt lgkmcnt(0)
	v_add_f32_e32 v7, v7, v9
	v_lshrrev_b32_e32 v9, 4, v0
	ds_write_b32 v9, v7
.LBB97_6:
	s_or_b64 exec, exec, s[4:5]
	s_waitcnt lgkmcnt(0)
	s_barrier
	s_load_dword s3, s[0:1], 0xc9c
	v_mov_b32_e32 v7, 0
	s_waitcnt lgkmcnt(0)
	s_bfe_u32 s3, s3, 0xa0006
	v_cmp_gt_u32_e32 vcc, s3, v0
	s_and_saveexec_b64 s[4:5], vcc
; %bb.7:
	v_lshlrev_b32_e32 v7, 2, v8
	ds_read_b32 v7, v7
; %bb.8:
	s_or_b64 exec, exec, s[4:5]
	v_cmp_gt_u32_e32 vcc, 64, v0
	s_and_saveexec_b64 s[4:5], vcc
	s_cbranch_execz .LBB97_10
; %bb.9:
	s_waitcnt lgkmcnt(0)
	ds_bpermute_b32 v2, v2, v7
	s_waitcnt lgkmcnt(0)
	v_add_f32_e32 v2, v7, v2
	ds_bpermute_b32 v1, v1, v2
	s_waitcnt lgkmcnt(0)
	v_add_f32_e32 v1, v2, v1
	;; [unrolled: 3-line block ×6, first 2 shown]
.LBB97_10:
	s_or_b64 exec, exec, s[4:5]
	s_mov_b32 s3, 0
	v_cmp_eq_u32_e32 vcc, 0, v0
	s_and_saveexec_b64 s[4:5], vcc
	s_cbranch_execz .LBB97_12
; %bb.11:
	s_lshl_b64 s[2:3], s[2:3], 3
	s_add_u32 s0, s0, s2
	s_addc_u32 s1, s1, s3
	s_load_dwordx2 s[0:1], s[0:1], 0x8
	v_mov_b32_e32 v0, 0
	s_waitcnt lgkmcnt(0)
	global_store_dword v0, v7, s[0:1]
.LBB97_12:
	s_endpgm
	.section	.rodata,"a",@progbits
	.p2align	6, 0x0
	.amdhsa_kernel _ZN2at6native14lpnorm_cleanupIN3c104HalfELNS0_8NormTypeE1EfLb1EfEEvPKT3_NS0_19TensorListAddressesEi
		.amdhsa_group_segment_fixed_size 2048
		.amdhsa_private_segment_fixed_size 0
		.amdhsa_kernarg_size 3472
		.amdhsa_user_sgpr_count 2
		.amdhsa_user_sgpr_dispatch_ptr 0
		.amdhsa_user_sgpr_queue_ptr 0
		.amdhsa_user_sgpr_kernarg_segment_ptr 1
		.amdhsa_user_sgpr_dispatch_id 0
		.amdhsa_user_sgpr_kernarg_preload_length 0
		.amdhsa_user_sgpr_kernarg_preload_offset 0
		.amdhsa_user_sgpr_private_segment_size 0
		.amdhsa_uses_dynamic_stack 0
		.amdhsa_enable_private_segment 0
		.amdhsa_system_sgpr_workgroup_id_x 1
		.amdhsa_system_sgpr_workgroup_id_y 0
		.amdhsa_system_sgpr_workgroup_id_z 0
		.amdhsa_system_sgpr_workgroup_info 0
		.amdhsa_system_vgpr_workitem_id 0
		.amdhsa_next_free_vgpr 11
		.amdhsa_next_free_sgpr 16
		.amdhsa_accum_offset 12
		.amdhsa_reserve_vcc 1
		.amdhsa_float_round_mode_32 0
		.amdhsa_float_round_mode_16_64 0
		.amdhsa_float_denorm_mode_32 3
		.amdhsa_float_denorm_mode_16_64 3
		.amdhsa_dx10_clamp 1
		.amdhsa_ieee_mode 1
		.amdhsa_fp16_overflow 0
		.amdhsa_tg_split 0
		.amdhsa_exception_fp_ieee_invalid_op 0
		.amdhsa_exception_fp_denorm_src 0
		.amdhsa_exception_fp_ieee_div_zero 0
		.amdhsa_exception_fp_ieee_overflow 0
		.amdhsa_exception_fp_ieee_underflow 0
		.amdhsa_exception_fp_ieee_inexact 0
		.amdhsa_exception_int_div_zero 0
	.end_amdhsa_kernel
	.section	.text._ZN2at6native14lpnorm_cleanupIN3c104HalfELNS0_8NormTypeE1EfLb1EfEEvPKT3_NS0_19TensorListAddressesEi,"axG",@progbits,_ZN2at6native14lpnorm_cleanupIN3c104HalfELNS0_8NormTypeE1EfLb1EfEEvPKT3_NS0_19TensorListAddressesEi,comdat
.Lfunc_end97:
	.size	_ZN2at6native14lpnorm_cleanupIN3c104HalfELNS0_8NormTypeE1EfLb1EfEEvPKT3_NS0_19TensorListAddressesEi, .Lfunc_end97-_ZN2at6native14lpnorm_cleanupIN3c104HalfELNS0_8NormTypeE1EfLb1EfEEvPKT3_NS0_19TensorListAddressesEi
                                        ; -- End function
	.set _ZN2at6native14lpnorm_cleanupIN3c104HalfELNS0_8NormTypeE1EfLb1EfEEvPKT3_NS0_19TensorListAddressesEi.num_vgpr, 11
	.set _ZN2at6native14lpnorm_cleanupIN3c104HalfELNS0_8NormTypeE1EfLb1EfEEvPKT3_NS0_19TensorListAddressesEi.num_agpr, 0
	.set _ZN2at6native14lpnorm_cleanupIN3c104HalfELNS0_8NormTypeE1EfLb1EfEEvPKT3_NS0_19TensorListAddressesEi.numbered_sgpr, 16
	.set _ZN2at6native14lpnorm_cleanupIN3c104HalfELNS0_8NormTypeE1EfLb1EfEEvPKT3_NS0_19TensorListAddressesEi.num_named_barrier, 0
	.set _ZN2at6native14lpnorm_cleanupIN3c104HalfELNS0_8NormTypeE1EfLb1EfEEvPKT3_NS0_19TensorListAddressesEi.private_seg_size, 0
	.set _ZN2at6native14lpnorm_cleanupIN3c104HalfELNS0_8NormTypeE1EfLb1EfEEvPKT3_NS0_19TensorListAddressesEi.uses_vcc, 1
	.set _ZN2at6native14lpnorm_cleanupIN3c104HalfELNS0_8NormTypeE1EfLb1EfEEvPKT3_NS0_19TensorListAddressesEi.uses_flat_scratch, 0
	.set _ZN2at6native14lpnorm_cleanupIN3c104HalfELNS0_8NormTypeE1EfLb1EfEEvPKT3_NS0_19TensorListAddressesEi.has_dyn_sized_stack, 0
	.set _ZN2at6native14lpnorm_cleanupIN3c104HalfELNS0_8NormTypeE1EfLb1EfEEvPKT3_NS0_19TensorListAddressesEi.has_recursion, 0
	.set _ZN2at6native14lpnorm_cleanupIN3c104HalfELNS0_8NormTypeE1EfLb1EfEEvPKT3_NS0_19TensorListAddressesEi.has_indirect_call, 0
	.section	.AMDGPU.csdata,"",@progbits
; Kernel info:
; codeLenInByte = 660
; TotalNumSgprs: 22
; NumVgprs: 11
; NumAgprs: 0
; TotalNumVgprs: 11
; ScratchSize: 0
; MemoryBound: 0
; FloatMode: 240
; IeeeMode: 1
; LDSByteSize: 2048 bytes/workgroup (compile time only)
; SGPRBlocks: 2
; VGPRBlocks: 1
; NumSGPRsForWavesPerEU: 22
; NumVGPRsForWavesPerEU: 11
; AccumOffset: 12
; Occupancy: 8
; WaveLimiterHint : 0
; COMPUTE_PGM_RSRC2:SCRATCH_EN: 0
; COMPUTE_PGM_RSRC2:USER_SGPR: 2
; COMPUTE_PGM_RSRC2:TRAP_HANDLER: 0
; COMPUTE_PGM_RSRC2:TGID_X_EN: 1
; COMPUTE_PGM_RSRC2:TGID_Y_EN: 0
; COMPUTE_PGM_RSRC2:TGID_Z_EN: 0
; COMPUTE_PGM_RSRC2:TIDIG_COMP_CNT: 0
; COMPUTE_PGM_RSRC3_GFX90A:ACCUM_OFFSET: 2
; COMPUTE_PGM_RSRC3_GFX90A:TG_SPLIT: 0
	.section	.text._ZN2at6native14lpnorm_cleanupIN3c104HalfELNS0_8NormTypeE2EfLb1EfEEvPKT3_NS0_19TensorListAddressesEi,"axG",@progbits,_ZN2at6native14lpnorm_cleanupIN3c104HalfELNS0_8NormTypeE2EfLb1EfEEvPKT3_NS0_19TensorListAddressesEi,comdat
	.protected	_ZN2at6native14lpnorm_cleanupIN3c104HalfELNS0_8NormTypeE2EfLb1EfEEvPKT3_NS0_19TensorListAddressesEi ; -- Begin function _ZN2at6native14lpnorm_cleanupIN3c104HalfELNS0_8NormTypeE2EfLb1EfEEvPKT3_NS0_19TensorListAddressesEi
	.globl	_ZN2at6native14lpnorm_cleanupIN3c104HalfELNS0_8NormTypeE2EfLb1EfEEvPKT3_NS0_19TensorListAddressesEi
	.p2align	8
	.type	_ZN2at6native14lpnorm_cleanupIN3c104HalfELNS0_8NormTypeE2EfLb1EfEEvPKT3_NS0_19TensorListAddressesEi,@function
_ZN2at6native14lpnorm_cleanupIN3c104HalfELNS0_8NormTypeE2EfLb1EfEEvPKT3_NS0_19TensorListAddressesEi: ; @_ZN2at6native14lpnorm_cleanupIN3c104HalfELNS0_8NormTypeE2EfLb1EfEEvPKT3_NS0_19TensorListAddressesEi
; %bb.0:
	s_load_dword s6, s[0:1], 0xc88
	v_mov_b32_e32 v1, 0
	s_waitcnt lgkmcnt(0)
	v_cmp_gt_u32_e32 vcc, s6, v0
	s_and_saveexec_b64 s[4:5], vcc
	s_cbranch_execz .LBB98_4
; %bb.1:
	s_load_dwordx2 s[12:13], s[0:1], 0x0
	s_load_dword s3, s[0:1], 0xc9c
	s_mul_i32 s8, s6, s2
	s_mov_b32 s9, 0
	s_ashr_i32 s7, s6, 31
	s_lshl_b64 s[14:15], s[8:9], 2
	s_waitcnt lgkmcnt(0)
	s_and_b32 s10, s3, 0xffff
	v_mov_b32_e32 v1, 0
	s_add_u32 s12, s12, s14
	v_lshlrev_b32_e32 v2, 2, v0
	v_mov_b32_e32 v3, v1
	s_addc_u32 s13, s13, s15
	s_mov_b32 s11, s9
	v_lshl_add_u64 v[2:3], s[12:13], 0, v[2:3]
	s_lshl_b32 s8, s10, 2
	s_mov_b64 s[12:13], 0
	v_mov_b64_e32 v[4:5], v[0:1]
.LBB98_2:                               ; =>This Inner Loop Header: Depth=1
	global_load_dword v6, v[2:3], off
	v_lshl_add_u64 v[4:5], v[4:5], 0, s[10:11]
	v_cmp_le_u64_e32 vcc, s[6:7], v[4:5]
	v_lshl_add_u64 v[2:3], v[2:3], 0, s[8:9]
	s_or_b64 s[12:13], vcc, s[12:13]
	s_waitcnt vmcnt(0)
	v_add_f32_e32 v1, v1, v6
	s_andn2_b64 exec, exec, s[12:13]
	s_cbranch_execnz .LBB98_2
; %bb.3:
	s_or_b64 exec, exec, s[12:13]
.LBB98_4:
	s_or_b64 exec, exec, s[4:5]
	v_mbcnt_lo_u32_b32 v2, -1, 0
	v_mbcnt_hi_u32_b32 v6, -1, v2
	v_mov_b32_e32 v2, 0x80
	v_lshl_or_b32 v2, v6, 2, v2
	ds_bpermute_b32 v3, v2, v1
	v_and_b32_e32 v7, 63, v6
	v_cmp_gt_u32_e32 vcc, 48, v7
	s_waitcnt lgkmcnt(0)
	s_barrier
	v_cndmask_b32_e64 v4, 0, 16, vcc
	v_add_f32_e32 v5, v1, v3
	v_add_lshl_u32 v1, v4, v6, 2
	ds_bpermute_b32 v4, v1, v5
	v_cmp_gt_u32_e32 vcc, 56, v7
	s_waitcnt lgkmcnt(0)
	v_add_f32_e32 v5, v5, v4
	v_cndmask_b32_e64 v3, 0, 8, vcc
	v_add_lshl_u32 v3, v3, v6, 2
	ds_bpermute_b32 v8, v3, v5
	v_cmp_gt_u32_e32 vcc, 60, v7
	s_waitcnt lgkmcnt(0)
	v_add_f32_e32 v8, v5, v8
	v_cndmask_b32_e64 v4, 0, 4, vcc
	;; [unrolled: 6-line block ×3, first 2 shown]
	v_add_lshl_u32 v5, v5, v6, 2
	ds_bpermute_b32 v10, v5, v9
	v_cmp_ne_u32_e32 vcc, 63, v7
	v_and_b32_e32 v8, 63, v0
	s_waitcnt lgkmcnt(0)
	v_add_f32_e32 v7, v9, v10
	v_addc_co_u32_e32 v6, vcc, 0, v6, vcc
	v_lshlrev_b32_e32 v6, 2, v6
	ds_bpermute_b32 v9, v6, v7
	v_cmp_eq_u32_e32 vcc, 0, v8
	s_and_saveexec_b64 s[4:5], vcc
	s_cbranch_execz .LBB98_6
; %bb.5:
	s_waitcnt lgkmcnt(0)
	v_add_f32_e32 v7, v7, v9
	v_lshrrev_b32_e32 v9, 4, v0
	ds_write_b32 v9, v7
.LBB98_6:
	s_or_b64 exec, exec, s[4:5]
	s_waitcnt lgkmcnt(0)
	s_barrier
	s_load_dword s3, s[0:1], 0xc9c
	v_mov_b32_e32 v7, 0
	s_waitcnt lgkmcnt(0)
	s_bfe_u32 s3, s3, 0xa0006
	v_cmp_gt_u32_e32 vcc, s3, v0
	s_and_saveexec_b64 s[4:5], vcc
; %bb.7:
	v_lshlrev_b32_e32 v7, 2, v8
	ds_read_b32 v7, v7
; %bb.8:
	s_or_b64 exec, exec, s[4:5]
	v_cmp_gt_u32_e32 vcc, 64, v0
	s_and_saveexec_b64 s[4:5], vcc
	s_cbranch_execz .LBB98_10
; %bb.9:
	s_waitcnt lgkmcnt(0)
	ds_bpermute_b32 v2, v2, v7
	s_waitcnt lgkmcnt(0)
	v_add_f32_e32 v2, v7, v2
	ds_bpermute_b32 v1, v1, v2
	s_waitcnt lgkmcnt(0)
	v_add_f32_e32 v1, v2, v1
	;; [unrolled: 3-line block ×6, first 2 shown]
.LBB98_10:
	s_or_b64 exec, exec, s[4:5]
	s_mov_b32 s3, 0
	v_cmp_eq_u32_e32 vcc, 0, v0
	s_and_saveexec_b64 s[4:5], vcc
	s_cbranch_execz .LBB98_12
; %bb.11:
	s_mov_b32 s4, 0xf800000
	s_waitcnt lgkmcnt(0)
	v_mul_f32_e32 v0, 0x4f800000, v7
	v_cmp_gt_f32_e32 vcc, s4, v7
	s_lshl_b64 s[2:3], s[2:3], 3
	s_add_u32 s2, s0, s2
	v_cndmask_b32_e32 v0, v7, v0, vcc
	v_sqrt_f32_e32 v1, v0
	s_addc_u32 s3, s1, s3
	v_add_u32_e32 v2, -1, v1
	v_fma_f32 v3, -v2, v1, v0
	v_cmp_ge_f32_e64 s[0:1], 0, v3
	v_add_u32_e32 v3, 1, v1
	s_nop 0
	v_cndmask_b32_e64 v2, v1, v2, s[0:1]
	v_fma_f32 v1, -v3, v1, v0
	v_cmp_lt_f32_e64 s[0:1], 0, v1
	s_nop 1
	v_cndmask_b32_e64 v1, v2, v3, s[0:1]
	s_load_dwordx2 s[0:1], s[2:3], 0x8
	v_mul_f32_e32 v2, 0x37800000, v1
	v_cndmask_b32_e32 v1, v1, v2, vcc
	v_mov_b32_e32 v2, 0x260
	v_cmp_class_f32_e32 vcc, v0, v2
	s_nop 1
	v_cndmask_b32_e32 v0, v1, v0, vcc
	v_mov_b32_e32 v1, 0
	s_waitcnt lgkmcnt(0)
	global_store_dword v1, v0, s[0:1]
.LBB98_12:
	s_endpgm
	.section	.rodata,"a",@progbits
	.p2align	6, 0x0
	.amdhsa_kernel _ZN2at6native14lpnorm_cleanupIN3c104HalfELNS0_8NormTypeE2EfLb1EfEEvPKT3_NS0_19TensorListAddressesEi
		.amdhsa_group_segment_fixed_size 2048
		.amdhsa_private_segment_fixed_size 0
		.amdhsa_kernarg_size 3472
		.amdhsa_user_sgpr_count 2
		.amdhsa_user_sgpr_dispatch_ptr 0
		.amdhsa_user_sgpr_queue_ptr 0
		.amdhsa_user_sgpr_kernarg_segment_ptr 1
		.amdhsa_user_sgpr_dispatch_id 0
		.amdhsa_user_sgpr_kernarg_preload_length 0
		.amdhsa_user_sgpr_kernarg_preload_offset 0
		.amdhsa_user_sgpr_private_segment_size 0
		.amdhsa_uses_dynamic_stack 0
		.amdhsa_enable_private_segment 0
		.amdhsa_system_sgpr_workgroup_id_x 1
		.amdhsa_system_sgpr_workgroup_id_y 0
		.amdhsa_system_sgpr_workgroup_id_z 0
		.amdhsa_system_sgpr_workgroup_info 0
		.amdhsa_system_vgpr_workitem_id 0
		.amdhsa_next_free_vgpr 11
		.amdhsa_next_free_sgpr 16
		.amdhsa_accum_offset 12
		.amdhsa_reserve_vcc 1
		.amdhsa_float_round_mode_32 0
		.amdhsa_float_round_mode_16_64 0
		.amdhsa_float_denorm_mode_32 3
		.amdhsa_float_denorm_mode_16_64 3
		.amdhsa_dx10_clamp 1
		.amdhsa_ieee_mode 1
		.amdhsa_fp16_overflow 0
		.amdhsa_tg_split 0
		.amdhsa_exception_fp_ieee_invalid_op 0
		.amdhsa_exception_fp_denorm_src 0
		.amdhsa_exception_fp_ieee_div_zero 0
		.amdhsa_exception_fp_ieee_overflow 0
		.amdhsa_exception_fp_ieee_underflow 0
		.amdhsa_exception_fp_ieee_inexact 0
		.amdhsa_exception_int_div_zero 0
	.end_amdhsa_kernel
	.section	.text._ZN2at6native14lpnorm_cleanupIN3c104HalfELNS0_8NormTypeE2EfLb1EfEEvPKT3_NS0_19TensorListAddressesEi,"axG",@progbits,_ZN2at6native14lpnorm_cleanupIN3c104HalfELNS0_8NormTypeE2EfLb1EfEEvPKT3_NS0_19TensorListAddressesEi,comdat
.Lfunc_end98:
	.size	_ZN2at6native14lpnorm_cleanupIN3c104HalfELNS0_8NormTypeE2EfLb1EfEEvPKT3_NS0_19TensorListAddressesEi, .Lfunc_end98-_ZN2at6native14lpnorm_cleanupIN3c104HalfELNS0_8NormTypeE2EfLb1EfEEvPKT3_NS0_19TensorListAddressesEi
                                        ; -- End function
	.set _ZN2at6native14lpnorm_cleanupIN3c104HalfELNS0_8NormTypeE2EfLb1EfEEvPKT3_NS0_19TensorListAddressesEi.num_vgpr, 11
	.set _ZN2at6native14lpnorm_cleanupIN3c104HalfELNS0_8NormTypeE2EfLb1EfEEvPKT3_NS0_19TensorListAddressesEi.num_agpr, 0
	.set _ZN2at6native14lpnorm_cleanupIN3c104HalfELNS0_8NormTypeE2EfLb1EfEEvPKT3_NS0_19TensorListAddressesEi.numbered_sgpr, 16
	.set _ZN2at6native14lpnorm_cleanupIN3c104HalfELNS0_8NormTypeE2EfLb1EfEEvPKT3_NS0_19TensorListAddressesEi.num_named_barrier, 0
	.set _ZN2at6native14lpnorm_cleanupIN3c104HalfELNS0_8NormTypeE2EfLb1EfEEvPKT3_NS0_19TensorListAddressesEi.private_seg_size, 0
	.set _ZN2at6native14lpnorm_cleanupIN3c104HalfELNS0_8NormTypeE2EfLb1EfEEvPKT3_NS0_19TensorListAddressesEi.uses_vcc, 1
	.set _ZN2at6native14lpnorm_cleanupIN3c104HalfELNS0_8NormTypeE2EfLb1EfEEvPKT3_NS0_19TensorListAddressesEi.uses_flat_scratch, 0
	.set _ZN2at6native14lpnorm_cleanupIN3c104HalfELNS0_8NormTypeE2EfLb1EfEEvPKT3_NS0_19TensorListAddressesEi.has_dyn_sized_stack, 0
	.set _ZN2at6native14lpnorm_cleanupIN3c104HalfELNS0_8NormTypeE2EfLb1EfEEvPKT3_NS0_19TensorListAddressesEi.has_recursion, 0
	.set _ZN2at6native14lpnorm_cleanupIN3c104HalfELNS0_8NormTypeE2EfLb1EfEEvPKT3_NS0_19TensorListAddressesEi.has_indirect_call, 0
	.section	.AMDGPU.csdata,"",@progbits
; Kernel info:
; codeLenInByte = 788
; TotalNumSgprs: 22
; NumVgprs: 11
; NumAgprs: 0
; TotalNumVgprs: 11
; ScratchSize: 0
; MemoryBound: 0
; FloatMode: 240
; IeeeMode: 1
; LDSByteSize: 2048 bytes/workgroup (compile time only)
; SGPRBlocks: 2
; VGPRBlocks: 1
; NumSGPRsForWavesPerEU: 22
; NumVGPRsForWavesPerEU: 11
; AccumOffset: 12
; Occupancy: 8
; WaveLimiterHint : 0
; COMPUTE_PGM_RSRC2:SCRATCH_EN: 0
; COMPUTE_PGM_RSRC2:USER_SGPR: 2
; COMPUTE_PGM_RSRC2:TRAP_HANDLER: 0
; COMPUTE_PGM_RSRC2:TGID_X_EN: 1
; COMPUTE_PGM_RSRC2:TGID_Y_EN: 0
; COMPUTE_PGM_RSRC2:TGID_Z_EN: 0
; COMPUTE_PGM_RSRC2:TIDIG_COMP_CNT: 0
; COMPUTE_PGM_RSRC3_GFX90A:ACCUM_OFFSET: 2
; COMPUTE_PGM_RSRC3_GFX90A:TG_SPLIT: 0
	.section	.text._ZN2at6native14lpnorm_cleanupIN3c104HalfELNS0_8NormTypeE3EfLb1EfEEvPKT3_NS0_19TensorListAddressesEi,"axG",@progbits,_ZN2at6native14lpnorm_cleanupIN3c104HalfELNS0_8NormTypeE3EfLb1EfEEvPKT3_NS0_19TensorListAddressesEi,comdat
	.protected	_ZN2at6native14lpnorm_cleanupIN3c104HalfELNS0_8NormTypeE3EfLb1EfEEvPKT3_NS0_19TensorListAddressesEi ; -- Begin function _ZN2at6native14lpnorm_cleanupIN3c104HalfELNS0_8NormTypeE3EfLb1EfEEvPKT3_NS0_19TensorListAddressesEi
	.globl	_ZN2at6native14lpnorm_cleanupIN3c104HalfELNS0_8NormTypeE3EfLb1EfEEvPKT3_NS0_19TensorListAddressesEi
	.p2align	8
	.type	_ZN2at6native14lpnorm_cleanupIN3c104HalfELNS0_8NormTypeE3EfLb1EfEEvPKT3_NS0_19TensorListAddressesEi,@function
_ZN2at6native14lpnorm_cleanupIN3c104HalfELNS0_8NormTypeE3EfLb1EfEEvPKT3_NS0_19TensorListAddressesEi: ; @_ZN2at6native14lpnorm_cleanupIN3c104HalfELNS0_8NormTypeE3EfLb1EfEEvPKT3_NS0_19TensorListAddressesEi
; %bb.0:
	s_load_dword s10, s[0:1], 0xc88
	v_mov_b32_e32 v1, 0
	s_waitcnt lgkmcnt(0)
	v_cmp_gt_u32_e32 vcc, s10, v0
	s_and_saveexec_b64 s[8:9], vcc
	s_cbranch_execz .LBB99_4
; %bb.1:
	s_load_dwordx2 s[4:5], s[0:1], 0x0
	s_load_dword s3, s[0:1], 0xc9c
	s_mul_i32 s12, s10, s2
	s_mov_b32 s13, 0
	s_ashr_i32 s11, s10, 31
	s_lshl_b64 s[6:7], s[12:13], 2
	s_waitcnt lgkmcnt(0)
	s_and_b32 s14, s3, 0xffff
	v_mov_b32_e32 v1, 0
	s_add_u32 s4, s4, s6
	v_lshlrev_b32_e32 v2, 2, v0
	v_mov_b32_e32 v3, v1
	s_addc_u32 s5, s5, s7
	s_mov_b32 s15, s13
	v_lshl_add_u64 v[2:3], s[4:5], 0, v[2:3]
	s_lshl_b32 s12, s14, 2
	s_mov_b64 s[16:17], 0
	v_mov_b64_e32 v[4:5], v[0:1]
.LBB99_2:                               ; =>This Inner Loop Header: Depth=1
	global_load_dword v6, v[2:3], off
	v_lshl_add_u64 v[4:5], v[4:5], 0, s[14:15]
	v_cmp_le_u64_e32 vcc, s[10:11], v[4:5]
	v_lshl_add_u64 v[2:3], v[2:3], 0, s[12:13]
	s_waitcnt vmcnt(0)
	v_cmp_u_f32_e64 s[4:5], v6, v6
	v_cmp_lt_f32_e64 s[6:7], v1, v6
	s_or_b64 s[4:5], s[4:5], s[6:7]
	s_or_b64 s[16:17], vcc, s[16:17]
	v_cndmask_b32_e64 v1, v1, v6, s[4:5]
	s_andn2_b64 exec, exec, s[16:17]
	s_cbranch_execnz .LBB99_2
; %bb.3:
	s_or_b64 exec, exec, s[16:17]
.LBB99_4:
	s_or_b64 exec, exec, s[8:9]
	v_mbcnt_lo_u32_b32 v2, -1, 0
	v_mbcnt_hi_u32_b32 v6, -1, v2
	v_mov_b32_e32 v2, 0x80
	v_lshl_or_b32 v2, v6, 2, v2
	ds_bpermute_b32 v3, v2, v1
	v_and_b32_e32 v9, 63, v6
	v_and_b32_e32 v8, 63, v0
	s_waitcnt lgkmcnt(0)
	s_barrier
	v_cmp_u_f32_e32 vcc, v3, v3
	v_cmp_lt_f32_e64 s[4:5], v1, v3
	s_or_b64 vcc, vcc, s[4:5]
	v_cndmask_b32_e32 v3, v1, v3, vcc
	v_cmp_gt_u32_e32 vcc, 48, v9
	s_nop 1
	v_cndmask_b32_e64 v1, 0, 16, vcc
	v_add_lshl_u32 v1, v1, v6, 2
	ds_bpermute_b32 v4, v1, v3
	s_waitcnt lgkmcnt(0)
	v_cmp_u_f32_e32 vcc, v4, v4
	v_cmp_lt_f32_e64 s[4:5], v3, v4
	s_or_b64 vcc, vcc, s[4:5]
	v_cndmask_b32_e32 v4, v3, v4, vcc
	v_cmp_gt_u32_e32 vcc, 56, v9
	s_nop 1
	v_cndmask_b32_e64 v3, 0, 8, vcc
	v_add_lshl_u32 v3, v3, v6, 2
	ds_bpermute_b32 v5, v3, v4
	s_waitcnt lgkmcnt(0)
	;; [unrolled: 10-line block ×4, first 2 shown]
	v_cmp_u_f32_e32 vcc, v10, v10
	v_cmp_lt_f32_e64 s[4:5], v7, v10
	s_or_b64 vcc, vcc, s[4:5]
	v_cndmask_b32_e32 v7, v7, v10, vcc
	v_cmp_ne_u32_e32 vcc, 63, v9
	s_nop 1
	v_addc_co_u32_e32 v6, vcc, 0, v6, vcc
	v_lshlrev_b32_e32 v6, 2, v6
	ds_bpermute_b32 v9, v6, v7
	v_cmp_eq_u32_e32 vcc, 0, v8
	s_and_saveexec_b64 s[6:7], vcc
	s_cbranch_execz .LBB99_6
; %bb.5:
	s_waitcnt lgkmcnt(0)
	v_cmp_u_f32_e32 vcc, v9, v9
	v_cmp_lt_f32_e64 s[4:5], v7, v9
	s_or_b64 vcc, vcc, s[4:5]
	v_cndmask_b32_e32 v7, v7, v9, vcc
	v_lshrrev_b32_e32 v9, 4, v0
	ds_write_b32 v9, v7
.LBB99_6:
	s_or_b64 exec, exec, s[6:7]
	s_waitcnt lgkmcnt(0)
	s_barrier
	s_load_dword s3, s[0:1], 0xc9c
	v_mov_b32_e32 v7, 0xff7fffff
	s_waitcnt lgkmcnt(0)
	s_bfe_u32 s3, s3, 0xa0006
	v_cmp_gt_u32_e32 vcc, s3, v0
	s_and_saveexec_b64 s[4:5], vcc
; %bb.7:
	v_lshlrev_b32_e32 v7, 2, v8
	ds_read_b32 v7, v7
; %bb.8:
	s_or_b64 exec, exec, s[4:5]
	v_cmp_gt_u32_e32 vcc, 64, v0
	s_and_saveexec_b64 s[6:7], vcc
	s_cbranch_execz .LBB99_10
; %bb.9:
	s_waitcnt lgkmcnt(0)
	ds_bpermute_b32 v2, v2, v7
	s_waitcnt lgkmcnt(0)
	v_cmp_u_f32_e32 vcc, v2, v2
	v_cmp_lt_f32_e64 s[4:5], v7, v2
	s_or_b64 vcc, vcc, s[4:5]
	v_cndmask_b32_e32 v2, v7, v2, vcc
	ds_bpermute_b32 v1, v1, v2
	s_waitcnt lgkmcnt(0)
	v_cmp_u_f32_e32 vcc, v1, v1
	v_cmp_lt_f32_e64 s[4:5], v2, v1
	s_or_b64 vcc, vcc, s[4:5]
	v_cndmask_b32_e32 v1, v2, v1, vcc
	;; [unrolled: 6-line block ×6, first 2 shown]
.LBB99_10:
	s_or_b64 exec, exec, s[6:7]
	s_mov_b32 s3, 0
	v_cmp_eq_u32_e32 vcc, 0, v0
	s_and_saveexec_b64 s[4:5], vcc
	s_cbranch_execz .LBB99_12
; %bb.11:
	s_lshl_b64 s[2:3], s[2:3], 3
	s_add_u32 s0, s0, s2
	s_addc_u32 s1, s1, s3
	s_load_dwordx2 s[0:1], s[0:1], 0x8
	v_mov_b32_e32 v0, 0
	s_waitcnt lgkmcnt(0)
	global_store_dword v0, v7, s[0:1]
.LBB99_12:
	s_endpgm
	.section	.rodata,"a",@progbits
	.p2align	6, 0x0
	.amdhsa_kernel _ZN2at6native14lpnorm_cleanupIN3c104HalfELNS0_8NormTypeE3EfLb1EfEEvPKT3_NS0_19TensorListAddressesEi
		.amdhsa_group_segment_fixed_size 2048
		.amdhsa_private_segment_fixed_size 0
		.amdhsa_kernarg_size 3472
		.amdhsa_user_sgpr_count 2
		.amdhsa_user_sgpr_dispatch_ptr 0
		.amdhsa_user_sgpr_queue_ptr 0
		.amdhsa_user_sgpr_kernarg_segment_ptr 1
		.amdhsa_user_sgpr_dispatch_id 0
		.amdhsa_user_sgpr_kernarg_preload_length 0
		.amdhsa_user_sgpr_kernarg_preload_offset 0
		.amdhsa_user_sgpr_private_segment_size 0
		.amdhsa_uses_dynamic_stack 0
		.amdhsa_enable_private_segment 0
		.amdhsa_system_sgpr_workgroup_id_x 1
		.amdhsa_system_sgpr_workgroup_id_y 0
		.amdhsa_system_sgpr_workgroup_id_z 0
		.amdhsa_system_sgpr_workgroup_info 0
		.amdhsa_system_vgpr_workitem_id 0
		.amdhsa_next_free_vgpr 11
		.amdhsa_next_free_sgpr 18
		.amdhsa_accum_offset 12
		.amdhsa_reserve_vcc 1
		.amdhsa_float_round_mode_32 0
		.amdhsa_float_round_mode_16_64 0
		.amdhsa_float_denorm_mode_32 3
		.amdhsa_float_denorm_mode_16_64 3
		.amdhsa_dx10_clamp 1
		.amdhsa_ieee_mode 1
		.amdhsa_fp16_overflow 0
		.amdhsa_tg_split 0
		.amdhsa_exception_fp_ieee_invalid_op 0
		.amdhsa_exception_fp_denorm_src 0
		.amdhsa_exception_fp_ieee_div_zero 0
		.amdhsa_exception_fp_ieee_overflow 0
		.amdhsa_exception_fp_ieee_underflow 0
		.amdhsa_exception_fp_ieee_inexact 0
		.amdhsa_exception_int_div_zero 0
	.end_amdhsa_kernel
	.section	.text._ZN2at6native14lpnorm_cleanupIN3c104HalfELNS0_8NormTypeE3EfLb1EfEEvPKT3_NS0_19TensorListAddressesEi,"axG",@progbits,_ZN2at6native14lpnorm_cleanupIN3c104HalfELNS0_8NormTypeE3EfLb1EfEEvPKT3_NS0_19TensorListAddressesEi,comdat
.Lfunc_end99:
	.size	_ZN2at6native14lpnorm_cleanupIN3c104HalfELNS0_8NormTypeE3EfLb1EfEEvPKT3_NS0_19TensorListAddressesEi, .Lfunc_end99-_ZN2at6native14lpnorm_cleanupIN3c104HalfELNS0_8NormTypeE3EfLb1EfEEvPKT3_NS0_19TensorListAddressesEi
                                        ; -- End function
	.set _ZN2at6native14lpnorm_cleanupIN3c104HalfELNS0_8NormTypeE3EfLb1EfEEvPKT3_NS0_19TensorListAddressesEi.num_vgpr, 11
	.set _ZN2at6native14lpnorm_cleanupIN3c104HalfELNS0_8NormTypeE3EfLb1EfEEvPKT3_NS0_19TensorListAddressesEi.num_agpr, 0
	.set _ZN2at6native14lpnorm_cleanupIN3c104HalfELNS0_8NormTypeE3EfLb1EfEEvPKT3_NS0_19TensorListAddressesEi.numbered_sgpr, 18
	.set _ZN2at6native14lpnorm_cleanupIN3c104HalfELNS0_8NormTypeE3EfLb1EfEEvPKT3_NS0_19TensorListAddressesEi.num_named_barrier, 0
	.set _ZN2at6native14lpnorm_cleanupIN3c104HalfELNS0_8NormTypeE3EfLb1EfEEvPKT3_NS0_19TensorListAddressesEi.private_seg_size, 0
	.set _ZN2at6native14lpnorm_cleanupIN3c104HalfELNS0_8NormTypeE3EfLb1EfEEvPKT3_NS0_19TensorListAddressesEi.uses_vcc, 1
	.set _ZN2at6native14lpnorm_cleanupIN3c104HalfELNS0_8NormTypeE3EfLb1EfEEvPKT3_NS0_19TensorListAddressesEi.uses_flat_scratch, 0
	.set _ZN2at6native14lpnorm_cleanupIN3c104HalfELNS0_8NormTypeE3EfLb1EfEEvPKT3_NS0_19TensorListAddressesEi.has_dyn_sized_stack, 0
	.set _ZN2at6native14lpnorm_cleanupIN3c104HalfELNS0_8NormTypeE3EfLb1EfEEvPKT3_NS0_19TensorListAddressesEi.has_recursion, 0
	.set _ZN2at6native14lpnorm_cleanupIN3c104HalfELNS0_8NormTypeE3EfLb1EfEEvPKT3_NS0_19TensorListAddressesEi.has_indirect_call, 0
	.section	.AMDGPU.csdata,"",@progbits
; Kernel info:
; codeLenInByte = 900
; TotalNumSgprs: 24
; NumVgprs: 11
; NumAgprs: 0
; TotalNumVgprs: 11
; ScratchSize: 0
; MemoryBound: 0
; FloatMode: 240
; IeeeMode: 1
; LDSByteSize: 2048 bytes/workgroup (compile time only)
; SGPRBlocks: 2
; VGPRBlocks: 1
; NumSGPRsForWavesPerEU: 24
; NumVGPRsForWavesPerEU: 11
; AccumOffset: 12
; Occupancy: 8
; WaveLimiterHint : 0
; COMPUTE_PGM_RSRC2:SCRATCH_EN: 0
; COMPUTE_PGM_RSRC2:USER_SGPR: 2
; COMPUTE_PGM_RSRC2:TRAP_HANDLER: 0
; COMPUTE_PGM_RSRC2:TGID_X_EN: 1
; COMPUTE_PGM_RSRC2:TGID_Y_EN: 0
; COMPUTE_PGM_RSRC2:TGID_Z_EN: 0
; COMPUTE_PGM_RSRC2:TIDIG_COMP_CNT: 0
; COMPUTE_PGM_RSRC3_GFX90A:ACCUM_OFFSET: 2
; COMPUTE_PGM_RSRC3_GFX90A:TG_SPLIT: 0
	.section	.text._ZN2at6native12_GLOBAL__N_125multi_tensor_apply_kernelINS1_18TensorListMetadataILi1EEENS0_13LpNormFunctorIN3c104HalfELNS0_8NormTypeE0ES7_Li1ELi1ELi0EEEJPfiEEEvT_T0_DpT1_,"axG",@progbits,_ZN2at6native12_GLOBAL__N_125multi_tensor_apply_kernelINS1_18TensorListMetadataILi1EEENS0_13LpNormFunctorIN3c104HalfELNS0_8NormTypeE0ES7_Li1ELi1ELi0EEEJPfiEEEvT_T0_DpT1_,comdat
	.globl	_ZN2at6native12_GLOBAL__N_125multi_tensor_apply_kernelINS1_18TensorListMetadataILi1EEENS0_13LpNormFunctorIN3c104HalfELNS0_8NormTypeE0ES7_Li1ELi1ELi0EEEJPfiEEEvT_T0_DpT1_ ; -- Begin function _ZN2at6native12_GLOBAL__N_125multi_tensor_apply_kernelINS1_18TensorListMetadataILi1EEENS0_13LpNormFunctorIN3c104HalfELNS0_8NormTypeE0ES7_Li1ELi1ELi0EEEJPfiEEEvT_T0_DpT1_
	.p2align	8
	.type	_ZN2at6native12_GLOBAL__N_125multi_tensor_apply_kernelINS1_18TensorListMetadataILi1EEENS0_13LpNormFunctorIN3c104HalfELNS0_8NormTypeE0ES7_Li1ELi1ELi0EEEJPfiEEEvT_T0_DpT1_,@function
_ZN2at6native12_GLOBAL__N_125multi_tensor_apply_kernelINS1_18TensorListMetadataILi1EEENS0_13LpNormFunctorIN3c104HalfELNS0_8NormTypeE0ES7_Li1ELi1ELi0EEEJPfiEEEvT_T0_DpT1_: ; @_ZN2at6native12_GLOBAL__N_125multi_tensor_apply_kernelINS1_18TensorListMetadataILi1EEENS0_13LpNormFunctorIN3c104HalfELNS0_8NormTypeE0ES7_Li1ELi1ELi0EEEJPfiEEEvT_T0_DpT1_
; %bb.0:
	v_mov_b32_e32 v1, s2
	global_load_ubyte v1, v1, s[0:1] offset:1760
	s_add_u32 s3, s0, s2
	s_mul_hi_u32 s4, s2, 3
	s_mul_i32 s2, s2, 3
	s_addc_u32 s5, s1, 0
	s_add_u32 s2, s3, s2
	s_addc_u32 s3, s5, s4
	s_load_dword s4, s[2:3], 0x820
	s_mov_b32 s15, 0
	s_waitcnt vmcnt(0)
	v_readfirstlane_b32 s2, v1
	s_and_b32 s16, s2, 0xff
	s_lshl_b32 s5, s16, 3
	s_load_dwordx2 s[2:3], s[0:1], s5 offset:0x370
	s_load_dwordx2 s[6:7], s[0:1], s5 offset:0x0
	s_waitcnt lgkmcnt(0)
	s_ashr_i32 s5, s4, 31
	s_lshl_b64 s[10:11], s[4:5], 16
	s_lshl_b64 s[8:9], s[4:5], 17
	s_add_u32 s12, s6, s8
	s_addc_u32 s13, s7, s9
	s_sub_u32 s10, s2, s10
	s_subb_u32 s11, s3, s11
	s_and_b32 s14, s2, 3
	s_and_b32 s2, s12, 7
	s_mov_b32 s3, s15
	s_or_b64 s[2:3], s[14:15], s[2:3]
	s_cmp_eq_u64 s[2:3], 0
	s_cbranch_scc1 .LBB100_12
; %bb.1:
	v_cmp_lt_i64_e64 s[2:3], s[10:11], 1
	s_and_b64 vcc, exec, s[2:3]
	s_cbranch_vccnz .LBB100_13
; %bb.2:
	s_load_dword s14, s[0:1], 0xd4c
	v_mov_b64_e32 v[2:3], 0x10000
	v_cmp_lt_i64_e32 vcc, s[10:11], v[2:3]
	s_and_b64 s[2:3], vcc, exec
	v_mov_b32_e32 v7, 0
	s_cselect_b32 s3, s11, 0
	s_cselect_b32 s2, s10, 0x10000
	s_waitcnt lgkmcnt(0)
	s_and_b32 s18, s14, 0xffff
	v_mov_b32_e32 v6, v7
	v_mad_u64_u32 v[12:13], s[14:15], s18, 3, v[0:1]
	v_mov_b32_e32 v8, v7
	v_mov_b32_e32 v9, v7
	v_mov_b64_e32 v[2:3], v[6:7]
	s_mov_b32 s5, 0x10000
	s_lshl_b32 s17, s18, 2
	v_lshl_add_u32 v10, s18, 1, v0
	v_add_u32_e32 v14, s18, v0
	s_mov_b64 s[14:15], 0
	v_mov_b64_e32 v[16:17], s[2:3]
	v_mov_b64_e32 v[4:5], v[8:9]
	s_branch .LBB100_4
.LBB100_3:                              ;   in Loop: Header=BB100_4 Depth=1
	s_or_b64 exec, exec, s[2:3]
	s_add_u32 s14, s14, s17
	s_addc_u32 s15, s15, 0
	v_cmp_ge_i64_e32 vcc, s[14:15], v[16:17]
	s_cbranch_vccnz .LBB100_14
.LBB100_4:                              ; =>This Inner Loop Header: Depth=1
	v_add_u32_e32 v6, s14, v0
	v_cmp_gt_i64_e32 vcc, s[10:11], v[6:7]
	v_cmp_gt_u32_e64 s[2:3], s5, v6
	s_and_b64 s[18:19], s[2:3], vcc
	s_and_saveexec_b64 s[2:3], s[18:19]
	s_cbranch_execz .LBB100_6
; %bb.5:                                ;   in Loop: Header=BB100_4 Depth=1
	v_lshl_add_u64 v[8:9], v[6:7], 1, s[12:13]
	global_load_ushort v1, v[8:9], off
	s_waitcnt vmcnt(0)
	v_cmp_neq_f16_e32 vcc, 0, v1
	s_nop 1
	v_cndmask_b32_e64 v1, 0, 1.0, vcc
	v_add_f32_e32 v2, v2, v1
.LBB100_6:                              ;   in Loop: Header=BB100_4 Depth=1
	s_or_b64 exec, exec, s[2:3]
	v_add_u32_e32 v6, s14, v14
	v_cmp_gt_i64_e32 vcc, s[10:11], v[6:7]
	v_cmp_gt_u32_e64 s[2:3], s5, v6
	s_and_b64 s[18:19], s[2:3], vcc
	s_and_saveexec_b64 s[2:3], s[18:19]
	s_cbranch_execz .LBB100_8
; %bb.7:                                ;   in Loop: Header=BB100_4 Depth=1
	v_lshl_add_u64 v[8:9], v[6:7], 1, s[12:13]
	global_load_ushort v1, v[8:9], off
	s_waitcnt vmcnt(0)
	v_cmp_neq_f16_e32 vcc, 0, v1
	s_nop 1
	v_cndmask_b32_e64 v1, 0, 1.0, vcc
	v_add_f32_e32 v3, v3, v1
.LBB100_8:                              ;   in Loop: Header=BB100_4 Depth=1
	s_or_b64 exec, exec, s[2:3]
	v_add_u32_e32 v6, s14, v10
	v_cmp_gt_i64_e32 vcc, s[10:11], v[6:7]
	v_cmp_gt_u32_e64 s[2:3], s5, v6
	s_and_b64 s[18:19], s[2:3], vcc
	s_and_saveexec_b64 s[2:3], s[18:19]
	s_cbranch_execz .LBB100_10
; %bb.9:                                ;   in Loop: Header=BB100_4 Depth=1
	v_lshl_add_u64 v[8:9], v[6:7], 1, s[12:13]
	global_load_ushort v1, v[8:9], off
	s_waitcnt vmcnt(0)
	v_cmp_neq_f16_e32 vcc, 0, v1
	s_nop 1
	v_cndmask_b32_e64 v1, 0, 1.0, vcc
	v_add_f32_e32 v4, v4, v1
.LBB100_10:                             ;   in Loop: Header=BB100_4 Depth=1
	s_or_b64 exec, exec, s[2:3]
	v_add_u32_e32 v6, s14, v12
	v_cmp_gt_i64_e32 vcc, s[10:11], v[6:7]
	v_cmp_gt_u32_e64 s[2:3], s5, v6
	s_and_b64 s[18:19], s[2:3], vcc
	s_and_saveexec_b64 s[2:3], s[18:19]
	s_cbranch_execz .LBB100_3
; %bb.11:                               ;   in Loop: Header=BB100_4 Depth=1
	v_lshl_add_u64 v[8:9], v[6:7], 1, s[12:13]
	global_load_ushort v1, v[8:9], off
	s_waitcnt vmcnt(0)
	v_cmp_neq_f16_e32 vcc, 0, v1
	s_nop 1
	v_cndmask_b32_e64 v1, 0, 1.0, vcc
	v_add_f32_e32 v5, v5, v1
	s_branch .LBB100_3
.LBB100_12:
                                        ; implicit-def: $vgpr2_vgpr3_vgpr4_vgpr5
	s_branch .LBB100_15
.LBB100_13:
	v_mov_b32_e32 v2, 0
	v_mov_b32_e32 v3, v2
	;; [unrolled: 1-line block ×4, first 2 shown]
.LBB100_14:
	s_cbranch_execnz .LBB100_20
.LBB100_15:
	v_mov_b64_e32 v[4:5], 0x10000
	v_cmp_lt_i64_e32 vcc, s[10:11], v[4:5]
	s_and_b64 s[2:3], vcc, exec
	v_mov_b32_e32 v3, 0
	s_cselect_b32 s3, s11, 0
	s_cselect_b32 s2, s10, 0x10000
	v_lshlrev_b32_e32 v2, 2, v0
	v_cmp_gt_i64_e32 vcc, s[2:3], v[2:3]
	s_mov_b32 s13, 0
	v_mov_b32_e32 v2, v3
	v_mov_b32_e32 v4, v3
	v_mov_b32_e32 v5, v3
	s_and_saveexec_b64 s[10:11], vcc
	s_cbranch_execz .LBB100_19
; %bb.16:
	s_load_dword s5, s[0:1], 0xd4c
	v_lshlrev_b32_e32 v2, 3, v0
	v_mov_b32_e32 v1, v3
	s_mov_b32 s15, s13
	v_mov_b64_e32 v[10:11], v[0:1]
	s_waitcnt lgkmcnt(0)
	s_and_b32 s12, s5, 0xffff
	s_add_u32 s6, s6, s8
	s_addc_u32 s7, s7, s9
	v_lshl_add_u64 v[4:5], s[6:7], 0, v[2:3]
	s_lshl_b32 s14, s12, 3
	v_lshl_add_u64 v[8:9], v[4:5], 0, 4
	s_mov_b64 s[6:7], 0
	v_mov_b32_e32 v4, 0
	v_mov_b32_e32 v5, v3
	v_mov_b32_e32 v6, 0
	v_mov_b32_e32 v7, v3
.LBB100_17:                             ; =>This Inner Loop Header: Depth=1
	global_load_dwordx2 v[12:13], v[8:9], off offset:-4
	v_lshl_add_u64 v[10:11], v[10:11], 0, s[12:13]
	v_lshlrev_b64 v[14:15], 2, v[10:11]
	v_cmp_le_i64_e32 vcc, s[2:3], v[14:15]
	s_or_b64 s[6:7], vcc, s[6:7]
	v_lshl_add_u64 v[8:9], v[8:9], 0, s[14:15]
	s_waitcnt vmcnt(0)
	v_cmp_neq_f16_e32 vcc, 0, v12
	v_cmp_neq_f16_sdwa s[8:9], v12, v3 src0_sel:WORD_1 src1_sel:DWORD
	s_nop 0
	v_cndmask_b32_e64 v14, 0, 1.0, vcc
	v_cmp_neq_f16_e32 vcc, 0, v13
	v_cndmask_b32_e64 v15, 0, 1.0, s[8:9]
	v_cmp_neq_f16_sdwa s[8:9], v13, v3 src0_sel:WORD_1 src1_sel:DWORD
	v_cndmask_b32_e64 v12, 0, 1.0, vcc
	v_pk_add_f32 v[4:5], v[4:5], v[14:15]
	v_cndmask_b32_e64 v13, 0, 1.0, s[8:9]
	v_pk_add_f32 v[6:7], v[6:7], v[12:13]
	s_andn2_b64 exec, exec, s[6:7]
	s_cbranch_execnz .LBB100_17
; %bb.18:
	s_or_b64 exec, exec, s[6:7]
	v_mov_b64_e32 v[2:3], v[4:5]
	v_mov_b64_e32 v[4:5], v[6:7]
.LBB100_19:
	s_or_b64 exec, exec, s[10:11]
.LBB100_20:
	v_add_f32_e32 v1, 0, v2
	v_add_f32_e32 v1, v3, v1
	;; [unrolled: 1-line block ×4, first 2 shown]
	v_mbcnt_lo_u32_b32 v1, -1, 0
	v_mbcnt_hi_u32_b32 v6, -1, v1
	v_mov_b32_e32 v1, 0x80
	v_lshl_or_b32 v1, v6, 2, v1
	ds_bpermute_b32 v3, v1, v2
	v_and_b32_e32 v9, 63, v6
	v_cmp_gt_u32_e32 vcc, 48, v9
	s_waitcnt lgkmcnt(0)
	s_barrier
	v_add_f32_e32 v3, v2, v3
	v_cndmask_b32_e64 v2, 0, 16, vcc
	v_add_lshl_u32 v2, v2, v6, 2
	ds_bpermute_b32 v4, v2, v3
	v_cmp_gt_u32_e32 vcc, 56, v9
	s_waitcnt lgkmcnt(0)
	v_add_f32_e32 v4, v3, v4
	v_cndmask_b32_e64 v3, 0, 8, vcc
	v_add_lshl_u32 v3, v3, v6, 2
	ds_bpermute_b32 v5, v3, v4
	v_cmp_gt_u32_e32 vcc, 60, v9
	s_waitcnt lgkmcnt(0)
	;; [unrolled: 6-line block ×3, first 2 shown]
	v_add_f32_e32 v7, v5, v7
	v_cndmask_b32_e64 v8, 0, 2, vcc
	v_add_lshl_u32 v5, v8, v6, 2
	ds_bpermute_b32 v10, v5, v7
	v_cmp_ne_u32_e32 vcc, 63, v9
	v_and_b32_e32 v8, 63, v0
	s_waitcnt lgkmcnt(0)
	v_add_f32_e32 v7, v7, v10
	v_addc_co_u32_e32 v6, vcc, 0, v6, vcc
	v_lshlrev_b32_e32 v6, 2, v6
	ds_bpermute_b32 v9, v6, v7
	v_cmp_eq_u32_e32 vcc, 0, v8
	s_and_saveexec_b64 s[2:3], vcc
	s_cbranch_execz .LBB100_22
; %bb.21:
	v_lshrrev_b32_e32 v10, 4, v0
	s_waitcnt lgkmcnt(0)
	v_add_f32_e32 v7, v7, v9
	ds_write_b32 v10, v7
.LBB100_22:
	s_or_b64 exec, exec, s[2:3]
	s_waitcnt lgkmcnt(0)
	s_barrier
	s_load_dword s2, s[0:1], 0xd4c
	v_mov_b32_e32 v7, 0
	s_waitcnt lgkmcnt(0)
	s_bfe_u32 s2, s2, 0xa0006
	v_cmp_gt_u32_e32 vcc, s2, v0
	s_and_saveexec_b64 s[2:3], vcc
	s_cbranch_execnz .LBB100_26
; %bb.23:
	s_or_b64 exec, exec, s[2:3]
	v_cmp_gt_u32_e32 vcc, 64, v0
	s_and_saveexec_b64 s[2:3], vcc
	s_cbranch_execnz .LBB100_27
.LBB100_24:
	s_or_b64 exec, exec, s[2:3]
	v_cmp_eq_u32_e32 vcc, 0, v0
	s_and_saveexec_b64 s[2:3], vcc
	s_cbranch_execnz .LBB100_28
.LBB100_25:
	s_endpgm
.LBB100_26:
	v_lshlrev_b32_e32 v7, 2, v8
	ds_read_b32 v7, v7
	s_or_b64 exec, exec, s[2:3]
	v_cmp_gt_u32_e32 vcc, 64, v0
	s_and_saveexec_b64 s[2:3], vcc
	s_cbranch_execz .LBB100_24
.LBB100_27:
	s_waitcnt lgkmcnt(0)
	ds_bpermute_b32 v1, v1, v7
	s_waitcnt lgkmcnt(0)
	v_add_f32_e32 v1, v7, v1
	ds_bpermute_b32 v2, v2, v1
	s_waitcnt lgkmcnt(0)
	v_add_f32_e32 v1, v1, v2
	ds_bpermute_b32 v2, v3, v1
	s_waitcnt lgkmcnt(0)
	v_add_f32_e32 v1, v1, v2
	ds_bpermute_b32 v2, v4, v1
	s_waitcnt lgkmcnt(0)
	v_add_f32_e32 v1, v1, v2
	ds_bpermute_b32 v2, v5, v1
	s_waitcnt lgkmcnt(0)
	v_add_f32_e32 v1, v1, v2
	ds_bpermute_b32 v2, v6, v1
	s_waitcnt lgkmcnt(0)
	v_add_f32_e32 v7, v1, v2
	s_or_b64 exec, exec, s[2:3]
	v_cmp_eq_u32_e32 vcc, 0, v0
	s_and_saveexec_b64 s[2:3], vcc
	s_cbranch_execz .LBB100_25
.LBB100_28:
	s_load_dword s5, s[0:1], 0xd20
	s_load_dword s6, s[0:1], 0xd38
	s_load_dwordx2 s[2:3], s[0:1], 0xd30
	v_mov_b32_e32 v0, 0
	s_waitcnt lgkmcnt(0)
	s_add_i32 s0, s5, s16
	s_mul_i32 s0, s0, s6
	s_add_i32 s0, s0, s4
	s_ashr_i32 s1, s0, 31
	s_lshl_b64 s[0:1], s[0:1], 2
	s_add_u32 s0, s2, s0
	s_addc_u32 s1, s3, s1
	global_store_dword v0, v7, s[0:1]
	s_endpgm
	.section	.rodata,"a",@progbits
	.p2align	6, 0x0
	.amdhsa_kernel _ZN2at6native12_GLOBAL__N_125multi_tensor_apply_kernelINS1_18TensorListMetadataILi1EEENS0_13LpNormFunctorIN3c104HalfELNS0_8NormTypeE0ES7_Li1ELi1ELi0EEEJPfiEEEvT_T0_DpT1_
		.amdhsa_group_segment_fixed_size 2048
		.amdhsa_private_segment_fixed_size 0
		.amdhsa_kernarg_size 3648
		.amdhsa_user_sgpr_count 2
		.amdhsa_user_sgpr_dispatch_ptr 0
		.amdhsa_user_sgpr_queue_ptr 0
		.amdhsa_user_sgpr_kernarg_segment_ptr 1
		.amdhsa_user_sgpr_dispatch_id 0
		.amdhsa_user_sgpr_kernarg_preload_length 0
		.amdhsa_user_sgpr_kernarg_preload_offset 0
		.amdhsa_user_sgpr_private_segment_size 0
		.amdhsa_uses_dynamic_stack 0
		.amdhsa_enable_private_segment 0
		.amdhsa_system_sgpr_workgroup_id_x 1
		.amdhsa_system_sgpr_workgroup_id_y 0
		.amdhsa_system_sgpr_workgroup_id_z 0
		.amdhsa_system_sgpr_workgroup_info 0
		.amdhsa_system_vgpr_workitem_id 0
		.amdhsa_next_free_vgpr 18
		.amdhsa_next_free_sgpr 20
		.amdhsa_accum_offset 20
		.amdhsa_reserve_vcc 1
		.amdhsa_float_round_mode_32 0
		.amdhsa_float_round_mode_16_64 0
		.amdhsa_float_denorm_mode_32 3
		.amdhsa_float_denorm_mode_16_64 3
		.amdhsa_dx10_clamp 1
		.amdhsa_ieee_mode 1
		.amdhsa_fp16_overflow 0
		.amdhsa_tg_split 0
		.amdhsa_exception_fp_ieee_invalid_op 0
		.amdhsa_exception_fp_denorm_src 0
		.amdhsa_exception_fp_ieee_div_zero 0
		.amdhsa_exception_fp_ieee_overflow 0
		.amdhsa_exception_fp_ieee_underflow 0
		.amdhsa_exception_fp_ieee_inexact 0
		.amdhsa_exception_int_div_zero 0
	.end_amdhsa_kernel
	.section	.text._ZN2at6native12_GLOBAL__N_125multi_tensor_apply_kernelINS1_18TensorListMetadataILi1EEENS0_13LpNormFunctorIN3c104HalfELNS0_8NormTypeE0ES7_Li1ELi1ELi0EEEJPfiEEEvT_T0_DpT1_,"axG",@progbits,_ZN2at6native12_GLOBAL__N_125multi_tensor_apply_kernelINS1_18TensorListMetadataILi1EEENS0_13LpNormFunctorIN3c104HalfELNS0_8NormTypeE0ES7_Li1ELi1ELi0EEEJPfiEEEvT_T0_DpT1_,comdat
.Lfunc_end100:
	.size	_ZN2at6native12_GLOBAL__N_125multi_tensor_apply_kernelINS1_18TensorListMetadataILi1EEENS0_13LpNormFunctorIN3c104HalfELNS0_8NormTypeE0ES7_Li1ELi1ELi0EEEJPfiEEEvT_T0_DpT1_, .Lfunc_end100-_ZN2at6native12_GLOBAL__N_125multi_tensor_apply_kernelINS1_18TensorListMetadataILi1EEENS0_13LpNormFunctorIN3c104HalfELNS0_8NormTypeE0ES7_Li1ELi1ELi0EEEJPfiEEEvT_T0_DpT1_
                                        ; -- End function
	.set _ZN2at6native12_GLOBAL__N_125multi_tensor_apply_kernelINS1_18TensorListMetadataILi1EEENS0_13LpNormFunctorIN3c104HalfELNS0_8NormTypeE0ES7_Li1ELi1ELi0EEEJPfiEEEvT_T0_DpT1_.num_vgpr, 18
	.set _ZN2at6native12_GLOBAL__N_125multi_tensor_apply_kernelINS1_18TensorListMetadataILi1EEENS0_13LpNormFunctorIN3c104HalfELNS0_8NormTypeE0ES7_Li1ELi1ELi0EEEJPfiEEEvT_T0_DpT1_.num_agpr, 0
	.set _ZN2at6native12_GLOBAL__N_125multi_tensor_apply_kernelINS1_18TensorListMetadataILi1EEENS0_13LpNormFunctorIN3c104HalfELNS0_8NormTypeE0ES7_Li1ELi1ELi0EEEJPfiEEEvT_T0_DpT1_.numbered_sgpr, 20
	.set _ZN2at6native12_GLOBAL__N_125multi_tensor_apply_kernelINS1_18TensorListMetadataILi1EEENS0_13LpNormFunctorIN3c104HalfELNS0_8NormTypeE0ES7_Li1ELi1ELi0EEEJPfiEEEvT_T0_DpT1_.num_named_barrier, 0
	.set _ZN2at6native12_GLOBAL__N_125multi_tensor_apply_kernelINS1_18TensorListMetadataILi1EEENS0_13LpNormFunctorIN3c104HalfELNS0_8NormTypeE0ES7_Li1ELi1ELi0EEEJPfiEEEvT_T0_DpT1_.private_seg_size, 0
	.set _ZN2at6native12_GLOBAL__N_125multi_tensor_apply_kernelINS1_18TensorListMetadataILi1EEENS0_13LpNormFunctorIN3c104HalfELNS0_8NormTypeE0ES7_Li1ELi1ELi0EEEJPfiEEEvT_T0_DpT1_.uses_vcc, 1
	.set _ZN2at6native12_GLOBAL__N_125multi_tensor_apply_kernelINS1_18TensorListMetadataILi1EEENS0_13LpNormFunctorIN3c104HalfELNS0_8NormTypeE0ES7_Li1ELi1ELi0EEEJPfiEEEvT_T0_DpT1_.uses_flat_scratch, 0
	.set _ZN2at6native12_GLOBAL__N_125multi_tensor_apply_kernelINS1_18TensorListMetadataILi1EEENS0_13LpNormFunctorIN3c104HalfELNS0_8NormTypeE0ES7_Li1ELi1ELi0EEEJPfiEEEvT_T0_DpT1_.has_dyn_sized_stack, 0
	.set _ZN2at6native12_GLOBAL__N_125multi_tensor_apply_kernelINS1_18TensorListMetadataILi1EEENS0_13LpNormFunctorIN3c104HalfELNS0_8NormTypeE0ES7_Li1ELi1ELi0EEEJPfiEEEvT_T0_DpT1_.has_recursion, 0
	.set _ZN2at6native12_GLOBAL__N_125multi_tensor_apply_kernelINS1_18TensorListMetadataILi1EEENS0_13LpNormFunctorIN3c104HalfELNS0_8NormTypeE0ES7_Li1ELi1ELi0EEEJPfiEEEvT_T0_DpT1_.has_indirect_call, 0
	.section	.AMDGPU.csdata,"",@progbits
; Kernel info:
; codeLenInByte = 1468
; TotalNumSgprs: 26
; NumVgprs: 18
; NumAgprs: 0
; TotalNumVgprs: 18
; ScratchSize: 0
; MemoryBound: 0
; FloatMode: 240
; IeeeMode: 1
; LDSByteSize: 2048 bytes/workgroup (compile time only)
; SGPRBlocks: 3
; VGPRBlocks: 2
; NumSGPRsForWavesPerEU: 26
; NumVGPRsForWavesPerEU: 18
; AccumOffset: 20
; Occupancy: 8
; WaveLimiterHint : 0
; COMPUTE_PGM_RSRC2:SCRATCH_EN: 0
; COMPUTE_PGM_RSRC2:USER_SGPR: 2
; COMPUTE_PGM_RSRC2:TRAP_HANDLER: 0
; COMPUTE_PGM_RSRC2:TGID_X_EN: 1
; COMPUTE_PGM_RSRC2:TGID_Y_EN: 0
; COMPUTE_PGM_RSRC2:TGID_Z_EN: 0
; COMPUTE_PGM_RSRC2:TIDIG_COMP_CNT: 0
; COMPUTE_PGM_RSRC3_GFX90A:ACCUM_OFFSET: 4
; COMPUTE_PGM_RSRC3_GFX90A:TG_SPLIT: 0
	.section	.text._ZN2at6native12_GLOBAL__N_125multi_tensor_apply_kernelINS1_18TensorListMetadataILi1EEENS0_13LpNormFunctorIN3c104HalfELNS0_8NormTypeE1ES7_Li1ELi1ELi0EEEJPfiEEEvT_T0_DpT1_,"axG",@progbits,_ZN2at6native12_GLOBAL__N_125multi_tensor_apply_kernelINS1_18TensorListMetadataILi1EEENS0_13LpNormFunctorIN3c104HalfELNS0_8NormTypeE1ES7_Li1ELi1ELi0EEEJPfiEEEvT_T0_DpT1_,comdat
	.globl	_ZN2at6native12_GLOBAL__N_125multi_tensor_apply_kernelINS1_18TensorListMetadataILi1EEENS0_13LpNormFunctorIN3c104HalfELNS0_8NormTypeE1ES7_Li1ELi1ELi0EEEJPfiEEEvT_T0_DpT1_ ; -- Begin function _ZN2at6native12_GLOBAL__N_125multi_tensor_apply_kernelINS1_18TensorListMetadataILi1EEENS0_13LpNormFunctorIN3c104HalfELNS0_8NormTypeE1ES7_Li1ELi1ELi0EEEJPfiEEEvT_T0_DpT1_
	.p2align	8
	.type	_ZN2at6native12_GLOBAL__N_125multi_tensor_apply_kernelINS1_18TensorListMetadataILi1EEENS0_13LpNormFunctorIN3c104HalfELNS0_8NormTypeE1ES7_Li1ELi1ELi0EEEJPfiEEEvT_T0_DpT1_,@function
_ZN2at6native12_GLOBAL__N_125multi_tensor_apply_kernelINS1_18TensorListMetadataILi1EEENS0_13LpNormFunctorIN3c104HalfELNS0_8NormTypeE1ES7_Li1ELi1ELi0EEEJPfiEEEvT_T0_DpT1_: ; @_ZN2at6native12_GLOBAL__N_125multi_tensor_apply_kernelINS1_18TensorListMetadataILi1EEENS0_13LpNormFunctorIN3c104HalfELNS0_8NormTypeE1ES7_Li1ELi1ELi0EEEJPfiEEEvT_T0_DpT1_
; %bb.0:
	v_mov_b32_e32 v1, s2
	global_load_ubyte v1, v1, s[0:1] offset:1760
	s_add_u32 s3, s0, s2
	s_mul_hi_u32 s4, s2, 3
	s_mul_i32 s2, s2, 3
	s_addc_u32 s5, s1, 0
	s_add_u32 s2, s3, s2
	s_addc_u32 s3, s5, s4
	s_load_dword s4, s[2:3], 0x820
	s_mov_b32 s15, 0
	s_waitcnt vmcnt(0)
	v_readfirstlane_b32 s2, v1
	s_and_b32 s16, s2, 0xff
	s_lshl_b32 s5, s16, 3
	s_load_dwordx2 s[2:3], s[0:1], s5 offset:0x370
	s_load_dwordx2 s[6:7], s[0:1], s5 offset:0x0
	s_waitcnt lgkmcnt(0)
	s_ashr_i32 s5, s4, 31
	s_lshl_b64 s[10:11], s[4:5], 16
	s_lshl_b64 s[8:9], s[4:5], 17
	s_add_u32 s12, s6, s8
	s_addc_u32 s13, s7, s9
	s_sub_u32 s10, s2, s10
	s_subb_u32 s11, s3, s11
	s_and_b32 s14, s2, 3
	s_and_b32 s2, s12, 7
	s_mov_b32 s3, s15
	s_or_b64 s[2:3], s[14:15], s[2:3]
	s_cmp_eq_u64 s[2:3], 0
	s_cbranch_scc1 .LBB101_12
; %bb.1:
	v_cmp_lt_i64_e64 s[2:3], s[10:11], 1
	s_and_b64 vcc, exec, s[2:3]
	s_cbranch_vccnz .LBB101_13
; %bb.2:
	s_load_dword s14, s[0:1], 0xd4c
	v_mov_b64_e32 v[2:3], 0x10000
	v_cmp_lt_i64_e32 vcc, s[10:11], v[2:3]
	s_and_b64 s[2:3], vcc, exec
	v_mov_b32_e32 v7, 0
	s_cselect_b32 s3, s11, 0
	s_cselect_b32 s2, s10, 0x10000
	s_waitcnt lgkmcnt(0)
	s_and_b32 s18, s14, 0xffff
	v_mov_b32_e32 v6, v7
	v_mad_u64_u32 v[12:13], s[14:15], s18, 3, v[0:1]
	v_mov_b32_e32 v8, v7
	v_mov_b32_e32 v9, v7
	v_mov_b64_e32 v[2:3], v[6:7]
	s_mov_b32 s5, 0x10000
	s_lshl_b32 s17, s18, 2
	v_lshl_add_u32 v10, s18, 1, v0
	v_add_u32_e32 v14, s18, v0
	s_mov_b64 s[14:15], 0
	v_mov_b64_e32 v[16:17], s[2:3]
	v_mov_b64_e32 v[4:5], v[8:9]
	s_branch .LBB101_4
.LBB101_3:                              ;   in Loop: Header=BB101_4 Depth=1
	s_or_b64 exec, exec, s[2:3]
	s_add_u32 s14, s14, s17
	s_addc_u32 s15, s15, 0
	v_cmp_lt_i64_e32 vcc, s[14:15], v[16:17]
	s_cbranch_vccz .LBB101_14
.LBB101_4:                              ; =>This Inner Loop Header: Depth=1
	v_add_u32_e32 v6, s14, v0
	v_cmp_gt_i64_e32 vcc, s[10:11], v[6:7]
	v_cmp_gt_u32_e64 s[2:3], s5, v6
	s_and_b64 s[18:19], s[2:3], vcc
	s_and_saveexec_b64 s[2:3], s[18:19]
	s_cbranch_execz .LBB101_6
; %bb.5:                                ;   in Loop: Header=BB101_4 Depth=1
	v_lshl_add_u64 v[8:9], v[6:7], 1, s[12:13]
	global_load_ushort v1, v[8:9], off
	s_waitcnt vmcnt(0)
	v_cvt_f32_f16_e64 v1, |v1|
	v_add_f32_e32 v2, v2, v1
.LBB101_6:                              ;   in Loop: Header=BB101_4 Depth=1
	s_or_b64 exec, exec, s[2:3]
	v_add_u32_e32 v6, s14, v14
	v_cmp_gt_i64_e32 vcc, s[10:11], v[6:7]
	v_cmp_gt_u32_e64 s[2:3], s5, v6
	s_and_b64 s[18:19], s[2:3], vcc
	s_and_saveexec_b64 s[2:3], s[18:19]
	s_cbranch_execz .LBB101_8
; %bb.7:                                ;   in Loop: Header=BB101_4 Depth=1
	v_lshl_add_u64 v[8:9], v[6:7], 1, s[12:13]
	global_load_ushort v1, v[8:9], off
	s_waitcnt vmcnt(0)
	v_cvt_f32_f16_e64 v1, |v1|
	v_add_f32_e32 v3, v3, v1
.LBB101_8:                              ;   in Loop: Header=BB101_4 Depth=1
	s_or_b64 exec, exec, s[2:3]
	v_add_u32_e32 v6, s14, v10
	v_cmp_gt_i64_e32 vcc, s[10:11], v[6:7]
	v_cmp_gt_u32_e64 s[2:3], s5, v6
	s_and_b64 s[18:19], s[2:3], vcc
	s_and_saveexec_b64 s[2:3], s[18:19]
	s_cbranch_execz .LBB101_10
; %bb.9:                                ;   in Loop: Header=BB101_4 Depth=1
	v_lshl_add_u64 v[8:9], v[6:7], 1, s[12:13]
	global_load_ushort v1, v[8:9], off
	s_waitcnt vmcnt(0)
	v_cvt_f32_f16_e64 v1, |v1|
	v_add_f32_e32 v4, v4, v1
.LBB101_10:                             ;   in Loop: Header=BB101_4 Depth=1
	s_or_b64 exec, exec, s[2:3]
	v_add_u32_e32 v6, s14, v12
	v_cmp_gt_i64_e32 vcc, s[10:11], v[6:7]
	v_cmp_gt_u32_e64 s[2:3], s5, v6
	s_and_b64 s[18:19], s[2:3], vcc
	s_and_saveexec_b64 s[2:3], s[18:19]
	s_cbranch_execz .LBB101_3
; %bb.11:                               ;   in Loop: Header=BB101_4 Depth=1
	v_lshl_add_u64 v[8:9], v[6:7], 1, s[12:13]
	global_load_ushort v1, v[8:9], off
	s_waitcnt vmcnt(0)
	v_cvt_f32_f16_e64 v1, |v1|
	v_add_f32_e32 v5, v5, v1
	s_branch .LBB101_3
.LBB101_12:
                                        ; implicit-def: $vgpr2_vgpr3_vgpr4_vgpr5
	s_branch .LBB101_15
.LBB101_13:
	v_mov_b32_e32 v2, 0
	v_mov_b32_e32 v3, v2
	;; [unrolled: 1-line block ×4, first 2 shown]
.LBB101_14:
	s_cbranch_execnz .LBB101_20
.LBB101_15:
	v_mov_b64_e32 v[4:5], 0x10000
	v_cmp_lt_i64_e32 vcc, s[10:11], v[4:5]
	v_mov_b32_e32 v2, 0
	s_and_b64 s[2:3], vcc, exec
	s_cselect_b32 s3, s11, 0
	s_cselect_b32 s2, s10, 0x10000
	v_lshlrev_b32_e32 v4, 2, v0
	v_mov_b32_e32 v5, v2
	v_cmp_gt_i64_e32 vcc, s[2:3], v[4:5]
	s_mov_b32 s13, 0
	v_mov_b32_e32 v3, v2
	v_mov_b32_e32 v4, v2
	s_and_saveexec_b64 s[10:11], vcc
	s_cbranch_execz .LBB101_19
; %bb.16:
	s_load_dword s5, s[0:1], 0xd4c
	v_lshlrev_b32_e32 v4, 3, v0
	v_mov_b32_e32 v5, v2
	v_mov_b32_e32 v1, v2
	v_mov_b64_e32 v[8:9], v[0:1]
	s_waitcnt lgkmcnt(0)
	s_and_b32 s12, s5, 0xffff
	s_add_u32 s8, s6, s8
	s_addc_u32 s9, s7, s9
	v_lshl_add_u64 v[4:5], s[8:9], 0, v[4:5]
	s_lshl_b32 s6, s12, 3
	v_lshl_add_u64 v[6:7], v[4:5], 0, 4
	s_mov_b32 s7, s13
	s_mov_b64 s[8:9], 0
	v_mov_b32_e32 v3, v2
	v_mov_b32_e32 v4, v2
	;; [unrolled: 1-line block ×3, first 2 shown]
.LBB101_17:                             ; =>This Inner Loop Header: Depth=1
	global_load_dwordx2 v[10:11], v[6:7], off offset:-4
	v_lshl_add_u64 v[8:9], v[8:9], 0, s[12:13]
	v_lshlrev_b64 v[12:13], 2, v[8:9]
	v_cmp_le_i64_e32 vcc, s[2:3], v[12:13]
	v_lshl_add_u64 v[6:7], v[6:7], 0, s[6:7]
	s_or_b64 s[8:9], vcc, s[8:9]
	s_waitcnt vmcnt(0)
	v_cvt_f32_f16_sdwa v15, |v10| dst_sel:DWORD dst_unused:UNUSED_PAD src0_sel:WORD_1
	v_cvt_f32_f16_sdwa v17, |v11| dst_sel:DWORD dst_unused:UNUSED_PAD src0_sel:WORD_1
	v_cvt_f32_f16_e64 v16, |v11|
	v_cvt_f32_f16_e64 v14, |v10|
	v_pk_add_f32 v[4:5], v[4:5], v[16:17]
	v_pk_add_f32 v[2:3], v[2:3], v[14:15]
	s_andn2_b64 exec, exec, s[8:9]
	s_cbranch_execnz .LBB101_17
; %bb.18:
	s_or_b64 exec, exec, s[8:9]
.LBB101_19:
	s_or_b64 exec, exec, s[10:11]
.LBB101_20:
	v_add_f32_e32 v1, 0, v2
	v_add_f32_e32 v1, v3, v1
	v_add_f32_e32 v1, v4, v1
	v_add_f32_e32 v2, v5, v1
	v_mbcnt_lo_u32_b32 v1, -1, 0
	v_mbcnt_hi_u32_b32 v6, -1, v1
	v_mov_b32_e32 v1, 0x80
	v_lshl_or_b32 v1, v6, 2, v1
	ds_bpermute_b32 v3, v1, v2
	v_and_b32_e32 v9, 63, v6
	v_cmp_gt_u32_e32 vcc, 48, v9
	s_waitcnt lgkmcnt(0)
	s_barrier
	v_add_f32_e32 v3, v2, v3
	v_cndmask_b32_e64 v2, 0, 16, vcc
	v_add_lshl_u32 v2, v2, v6, 2
	ds_bpermute_b32 v4, v2, v3
	v_cmp_gt_u32_e32 vcc, 56, v9
	s_waitcnt lgkmcnt(0)
	v_add_f32_e32 v4, v3, v4
	v_cndmask_b32_e64 v3, 0, 8, vcc
	v_add_lshl_u32 v3, v3, v6, 2
	ds_bpermute_b32 v5, v3, v4
	v_cmp_gt_u32_e32 vcc, 60, v9
	s_waitcnt lgkmcnt(0)
	;; [unrolled: 6-line block ×3, first 2 shown]
	v_add_f32_e32 v7, v5, v7
	v_cndmask_b32_e64 v8, 0, 2, vcc
	v_add_lshl_u32 v5, v8, v6, 2
	ds_bpermute_b32 v10, v5, v7
	v_cmp_ne_u32_e32 vcc, 63, v9
	v_and_b32_e32 v8, 63, v0
	s_waitcnt lgkmcnt(0)
	v_add_f32_e32 v7, v7, v10
	v_addc_co_u32_e32 v6, vcc, 0, v6, vcc
	v_lshlrev_b32_e32 v6, 2, v6
	ds_bpermute_b32 v9, v6, v7
	v_cmp_eq_u32_e32 vcc, 0, v8
	s_and_saveexec_b64 s[2:3], vcc
	s_cbranch_execz .LBB101_22
; %bb.21:
	v_lshrrev_b32_e32 v10, 4, v0
	s_waitcnt lgkmcnt(0)
	v_add_f32_e32 v7, v7, v9
	ds_write_b32 v10, v7
.LBB101_22:
	s_or_b64 exec, exec, s[2:3]
	s_waitcnt lgkmcnt(0)
	s_barrier
	s_load_dword s2, s[0:1], 0xd4c
	v_mov_b32_e32 v7, 0
	s_waitcnt lgkmcnt(0)
	s_bfe_u32 s2, s2, 0xa0006
	v_cmp_gt_u32_e32 vcc, s2, v0
	s_and_saveexec_b64 s[2:3], vcc
	s_cbranch_execnz .LBB101_26
; %bb.23:
	s_or_b64 exec, exec, s[2:3]
	v_cmp_gt_u32_e32 vcc, 64, v0
	s_and_saveexec_b64 s[2:3], vcc
	s_cbranch_execnz .LBB101_27
.LBB101_24:
	s_or_b64 exec, exec, s[2:3]
	v_cmp_eq_u32_e32 vcc, 0, v0
	s_and_saveexec_b64 s[2:3], vcc
	s_cbranch_execnz .LBB101_28
.LBB101_25:
	s_endpgm
.LBB101_26:
	v_lshlrev_b32_e32 v7, 2, v8
	ds_read_b32 v7, v7
	s_or_b64 exec, exec, s[2:3]
	v_cmp_gt_u32_e32 vcc, 64, v0
	s_and_saveexec_b64 s[2:3], vcc
	s_cbranch_execz .LBB101_24
.LBB101_27:
	s_waitcnt lgkmcnt(0)
	ds_bpermute_b32 v1, v1, v7
	s_waitcnt lgkmcnt(0)
	v_add_f32_e32 v1, v7, v1
	ds_bpermute_b32 v2, v2, v1
	s_waitcnt lgkmcnt(0)
	v_add_f32_e32 v1, v1, v2
	;; [unrolled: 3-line block ×6, first 2 shown]
	s_or_b64 exec, exec, s[2:3]
	v_cmp_eq_u32_e32 vcc, 0, v0
	s_and_saveexec_b64 s[2:3], vcc
	s_cbranch_execz .LBB101_25
.LBB101_28:
	s_load_dword s5, s[0:1], 0xd20
	s_load_dword s6, s[0:1], 0xd38
	s_load_dwordx2 s[2:3], s[0:1], 0xd30
	v_mov_b32_e32 v0, 0
	s_waitcnt lgkmcnt(0)
	s_add_i32 s0, s5, s16
	s_mul_i32 s0, s0, s6
	s_add_i32 s0, s0, s4
	s_ashr_i32 s1, s0, 31
	s_lshl_b64 s[0:1], s[0:1], 2
	s_add_u32 s0, s2, s0
	s_addc_u32 s1, s3, s1
	global_store_dword v0, v7, s[0:1]
	s_endpgm
	.section	.rodata,"a",@progbits
	.p2align	6, 0x0
	.amdhsa_kernel _ZN2at6native12_GLOBAL__N_125multi_tensor_apply_kernelINS1_18TensorListMetadataILi1EEENS0_13LpNormFunctorIN3c104HalfELNS0_8NormTypeE1ES7_Li1ELi1ELi0EEEJPfiEEEvT_T0_DpT1_
		.amdhsa_group_segment_fixed_size 2048
		.amdhsa_private_segment_fixed_size 0
		.amdhsa_kernarg_size 3648
		.amdhsa_user_sgpr_count 2
		.amdhsa_user_sgpr_dispatch_ptr 0
		.amdhsa_user_sgpr_queue_ptr 0
		.amdhsa_user_sgpr_kernarg_segment_ptr 1
		.amdhsa_user_sgpr_dispatch_id 0
		.amdhsa_user_sgpr_kernarg_preload_length 0
		.amdhsa_user_sgpr_kernarg_preload_offset 0
		.amdhsa_user_sgpr_private_segment_size 0
		.amdhsa_uses_dynamic_stack 0
		.amdhsa_enable_private_segment 0
		.amdhsa_system_sgpr_workgroup_id_x 1
		.amdhsa_system_sgpr_workgroup_id_y 0
		.amdhsa_system_sgpr_workgroup_id_z 0
		.amdhsa_system_sgpr_workgroup_info 0
		.amdhsa_system_vgpr_workitem_id 0
		.amdhsa_next_free_vgpr 18
		.amdhsa_next_free_sgpr 20
		.amdhsa_accum_offset 20
		.amdhsa_reserve_vcc 1
		.amdhsa_float_round_mode_32 0
		.amdhsa_float_round_mode_16_64 0
		.amdhsa_float_denorm_mode_32 3
		.amdhsa_float_denorm_mode_16_64 3
		.amdhsa_dx10_clamp 1
		.amdhsa_ieee_mode 1
		.amdhsa_fp16_overflow 0
		.amdhsa_tg_split 0
		.amdhsa_exception_fp_ieee_invalid_op 0
		.amdhsa_exception_fp_denorm_src 0
		.amdhsa_exception_fp_ieee_div_zero 0
		.amdhsa_exception_fp_ieee_overflow 0
		.amdhsa_exception_fp_ieee_underflow 0
		.amdhsa_exception_fp_ieee_inexact 0
		.amdhsa_exception_int_div_zero 0
	.end_amdhsa_kernel
	.section	.text._ZN2at6native12_GLOBAL__N_125multi_tensor_apply_kernelINS1_18TensorListMetadataILi1EEENS0_13LpNormFunctorIN3c104HalfELNS0_8NormTypeE1ES7_Li1ELi1ELi0EEEJPfiEEEvT_T0_DpT1_,"axG",@progbits,_ZN2at6native12_GLOBAL__N_125multi_tensor_apply_kernelINS1_18TensorListMetadataILi1EEENS0_13LpNormFunctorIN3c104HalfELNS0_8NormTypeE1ES7_Li1ELi1ELi0EEEJPfiEEEvT_T0_DpT1_,comdat
.Lfunc_end101:
	.size	_ZN2at6native12_GLOBAL__N_125multi_tensor_apply_kernelINS1_18TensorListMetadataILi1EEENS0_13LpNormFunctorIN3c104HalfELNS0_8NormTypeE1ES7_Li1ELi1ELi0EEEJPfiEEEvT_T0_DpT1_, .Lfunc_end101-_ZN2at6native12_GLOBAL__N_125multi_tensor_apply_kernelINS1_18TensorListMetadataILi1EEENS0_13LpNormFunctorIN3c104HalfELNS0_8NormTypeE1ES7_Li1ELi1ELi0EEEJPfiEEEvT_T0_DpT1_
                                        ; -- End function
	.set _ZN2at6native12_GLOBAL__N_125multi_tensor_apply_kernelINS1_18TensorListMetadataILi1EEENS0_13LpNormFunctorIN3c104HalfELNS0_8NormTypeE1ES7_Li1ELi1ELi0EEEJPfiEEEvT_T0_DpT1_.num_vgpr, 18
	.set _ZN2at6native12_GLOBAL__N_125multi_tensor_apply_kernelINS1_18TensorListMetadataILi1EEENS0_13LpNormFunctorIN3c104HalfELNS0_8NormTypeE1ES7_Li1ELi1ELi0EEEJPfiEEEvT_T0_DpT1_.num_agpr, 0
	.set _ZN2at6native12_GLOBAL__N_125multi_tensor_apply_kernelINS1_18TensorListMetadataILi1EEENS0_13LpNormFunctorIN3c104HalfELNS0_8NormTypeE1ES7_Li1ELi1ELi0EEEJPfiEEEvT_T0_DpT1_.numbered_sgpr, 20
	.set _ZN2at6native12_GLOBAL__N_125multi_tensor_apply_kernelINS1_18TensorListMetadataILi1EEENS0_13LpNormFunctorIN3c104HalfELNS0_8NormTypeE1ES7_Li1ELi1ELi0EEEJPfiEEEvT_T0_DpT1_.num_named_barrier, 0
	.set _ZN2at6native12_GLOBAL__N_125multi_tensor_apply_kernelINS1_18TensorListMetadataILi1EEENS0_13LpNormFunctorIN3c104HalfELNS0_8NormTypeE1ES7_Li1ELi1ELi0EEEJPfiEEEvT_T0_DpT1_.private_seg_size, 0
	.set _ZN2at6native12_GLOBAL__N_125multi_tensor_apply_kernelINS1_18TensorListMetadataILi1EEENS0_13LpNormFunctorIN3c104HalfELNS0_8NormTypeE1ES7_Li1ELi1ELi0EEEJPfiEEEvT_T0_DpT1_.uses_vcc, 1
	.set _ZN2at6native12_GLOBAL__N_125multi_tensor_apply_kernelINS1_18TensorListMetadataILi1EEENS0_13LpNormFunctorIN3c104HalfELNS0_8NormTypeE1ES7_Li1ELi1ELi0EEEJPfiEEEvT_T0_DpT1_.uses_flat_scratch, 0
	.set _ZN2at6native12_GLOBAL__N_125multi_tensor_apply_kernelINS1_18TensorListMetadataILi1EEENS0_13LpNormFunctorIN3c104HalfELNS0_8NormTypeE1ES7_Li1ELi1ELi0EEEJPfiEEEvT_T0_DpT1_.has_dyn_sized_stack, 0
	.set _ZN2at6native12_GLOBAL__N_125multi_tensor_apply_kernelINS1_18TensorListMetadataILi1EEENS0_13LpNormFunctorIN3c104HalfELNS0_8NormTypeE1ES7_Li1ELi1ELi0EEEJPfiEEEvT_T0_DpT1_.has_recursion, 0
	.set _ZN2at6native12_GLOBAL__N_125multi_tensor_apply_kernelINS1_18TensorListMetadataILi1EEENS0_13LpNormFunctorIN3c104HalfELNS0_8NormTypeE1ES7_Li1ELi1ELi0EEEJPfiEEEvT_T0_DpT1_.has_indirect_call, 0
	.section	.AMDGPU.csdata,"",@progbits
; Kernel info:
; codeLenInByte = 1400
; TotalNumSgprs: 26
; NumVgprs: 18
; NumAgprs: 0
; TotalNumVgprs: 18
; ScratchSize: 0
; MemoryBound: 0
; FloatMode: 240
; IeeeMode: 1
; LDSByteSize: 2048 bytes/workgroup (compile time only)
; SGPRBlocks: 3
; VGPRBlocks: 2
; NumSGPRsForWavesPerEU: 26
; NumVGPRsForWavesPerEU: 18
; AccumOffset: 20
; Occupancy: 8
; WaveLimiterHint : 0
; COMPUTE_PGM_RSRC2:SCRATCH_EN: 0
; COMPUTE_PGM_RSRC2:USER_SGPR: 2
; COMPUTE_PGM_RSRC2:TRAP_HANDLER: 0
; COMPUTE_PGM_RSRC2:TGID_X_EN: 1
; COMPUTE_PGM_RSRC2:TGID_Y_EN: 0
; COMPUTE_PGM_RSRC2:TGID_Z_EN: 0
; COMPUTE_PGM_RSRC2:TIDIG_COMP_CNT: 0
; COMPUTE_PGM_RSRC3_GFX90A:ACCUM_OFFSET: 4
; COMPUTE_PGM_RSRC3_GFX90A:TG_SPLIT: 0
	.section	.text._ZN2at6native12_GLOBAL__N_125multi_tensor_apply_kernelINS1_18TensorListMetadataILi1EEENS0_13LpNormFunctorIN3c104HalfELNS0_8NormTypeE2ES7_Li1ELi1ELi0EEEJPfiEEEvT_T0_DpT1_,"axG",@progbits,_ZN2at6native12_GLOBAL__N_125multi_tensor_apply_kernelINS1_18TensorListMetadataILi1EEENS0_13LpNormFunctorIN3c104HalfELNS0_8NormTypeE2ES7_Li1ELi1ELi0EEEJPfiEEEvT_T0_DpT1_,comdat
	.globl	_ZN2at6native12_GLOBAL__N_125multi_tensor_apply_kernelINS1_18TensorListMetadataILi1EEENS0_13LpNormFunctorIN3c104HalfELNS0_8NormTypeE2ES7_Li1ELi1ELi0EEEJPfiEEEvT_T0_DpT1_ ; -- Begin function _ZN2at6native12_GLOBAL__N_125multi_tensor_apply_kernelINS1_18TensorListMetadataILi1EEENS0_13LpNormFunctorIN3c104HalfELNS0_8NormTypeE2ES7_Li1ELi1ELi0EEEJPfiEEEvT_T0_DpT1_
	.p2align	8
	.type	_ZN2at6native12_GLOBAL__N_125multi_tensor_apply_kernelINS1_18TensorListMetadataILi1EEENS0_13LpNormFunctorIN3c104HalfELNS0_8NormTypeE2ES7_Li1ELi1ELi0EEEJPfiEEEvT_T0_DpT1_,@function
_ZN2at6native12_GLOBAL__N_125multi_tensor_apply_kernelINS1_18TensorListMetadataILi1EEENS0_13LpNormFunctorIN3c104HalfELNS0_8NormTypeE2ES7_Li1ELi1ELi0EEEJPfiEEEvT_T0_DpT1_: ; @_ZN2at6native12_GLOBAL__N_125multi_tensor_apply_kernelINS1_18TensorListMetadataILi1EEENS0_13LpNormFunctorIN3c104HalfELNS0_8NormTypeE2ES7_Li1ELi1ELi0EEEJPfiEEEvT_T0_DpT1_
; %bb.0:
	v_mov_b32_e32 v1, s2
	global_load_ubyte v1, v1, s[0:1] offset:1760
	s_add_u32 s3, s0, s2
	s_mul_hi_u32 s4, s2, 3
	s_mul_i32 s2, s2, 3
	s_addc_u32 s5, s1, 0
	s_add_u32 s2, s3, s2
	s_addc_u32 s3, s5, s4
	s_load_dword s4, s[2:3], 0x820
	s_mov_b32 s15, 0
	s_waitcnt vmcnt(0)
	v_readfirstlane_b32 s2, v1
	s_and_b32 s16, s2, 0xff
	s_lshl_b32 s5, s16, 3
	s_load_dwordx2 s[2:3], s[0:1], s5 offset:0x370
	s_load_dwordx2 s[6:7], s[0:1], s5 offset:0x0
	s_waitcnt lgkmcnt(0)
	s_ashr_i32 s5, s4, 31
	s_lshl_b64 s[10:11], s[4:5], 16
	s_lshl_b64 s[8:9], s[4:5], 17
	s_add_u32 s12, s6, s8
	s_addc_u32 s13, s7, s9
	s_sub_u32 s10, s2, s10
	s_subb_u32 s11, s3, s11
	s_and_b32 s14, s2, 3
	s_and_b32 s2, s12, 7
	s_mov_b32 s3, s15
	s_or_b64 s[2:3], s[14:15], s[2:3]
	s_cmp_eq_u64 s[2:3], 0
	s_cbranch_scc1 .LBB102_12
; %bb.1:
	v_cmp_lt_i64_e64 s[2:3], s[10:11], 1
	s_and_b64 vcc, exec, s[2:3]
	s_cbranch_vccnz .LBB102_13
; %bb.2:
	s_load_dword s14, s[0:1], 0xd4c
	v_mov_b64_e32 v[2:3], 0x10000
	v_cmp_lt_i64_e32 vcc, s[10:11], v[2:3]
	s_and_b64 s[2:3], vcc, exec
	v_mov_b32_e32 v7, 0
	s_cselect_b32 s3, s11, 0
	s_cselect_b32 s2, s10, 0x10000
	s_waitcnt lgkmcnt(0)
	s_and_b32 s18, s14, 0xffff
	v_mov_b32_e32 v6, v7
	v_mad_u64_u32 v[12:13], s[14:15], s18, 3, v[0:1]
	v_mov_b32_e32 v8, v7
	v_mov_b32_e32 v9, v7
	v_mov_b64_e32 v[2:3], v[6:7]
	s_mov_b32 s5, 0x10000
	s_lshl_b32 s17, s18, 2
	v_lshl_add_u32 v10, s18, 1, v0
	v_add_u32_e32 v14, s18, v0
	s_mov_b64 s[14:15], 0
	v_mov_b64_e32 v[16:17], s[2:3]
	v_mov_b64_e32 v[4:5], v[8:9]
	s_branch .LBB102_4
.LBB102_3:                              ;   in Loop: Header=BB102_4 Depth=1
	s_or_b64 exec, exec, s[2:3]
	s_add_u32 s14, s14, s17
	s_addc_u32 s15, s15, 0
	v_cmp_lt_i64_e32 vcc, s[14:15], v[16:17]
	s_cbranch_vccz .LBB102_14
.LBB102_4:                              ; =>This Inner Loop Header: Depth=1
	v_add_u32_e32 v6, s14, v0
	v_cmp_gt_i64_e32 vcc, s[10:11], v[6:7]
	v_cmp_gt_u32_e64 s[2:3], s5, v6
	s_and_b64 s[18:19], s[2:3], vcc
	s_and_saveexec_b64 s[2:3], s[18:19]
	s_cbranch_execz .LBB102_6
; %bb.5:                                ;   in Loop: Header=BB102_4 Depth=1
	v_lshl_add_u64 v[8:9], v[6:7], 1, s[12:13]
	global_load_ushort v1, v[8:9], off
	s_waitcnt vmcnt(0)
	v_fma_mix_f32 v2, v1, v1, v2 op_sel_hi:[1,1,0]
.LBB102_6:                              ;   in Loop: Header=BB102_4 Depth=1
	s_or_b64 exec, exec, s[2:3]
	v_add_u32_e32 v6, s14, v14
	v_cmp_gt_i64_e32 vcc, s[10:11], v[6:7]
	v_cmp_gt_u32_e64 s[2:3], s5, v6
	s_and_b64 s[18:19], s[2:3], vcc
	s_and_saveexec_b64 s[2:3], s[18:19]
	s_cbranch_execz .LBB102_8
; %bb.7:                                ;   in Loop: Header=BB102_4 Depth=1
	v_lshl_add_u64 v[8:9], v[6:7], 1, s[12:13]
	global_load_ushort v1, v[8:9], off
	s_waitcnt vmcnt(0)
	v_fma_mix_f32 v3, v1, v1, v3 op_sel_hi:[1,1,0]
.LBB102_8:                              ;   in Loop: Header=BB102_4 Depth=1
	s_or_b64 exec, exec, s[2:3]
	v_add_u32_e32 v6, s14, v10
	v_cmp_gt_i64_e32 vcc, s[10:11], v[6:7]
	v_cmp_gt_u32_e64 s[2:3], s5, v6
	s_and_b64 s[18:19], s[2:3], vcc
	s_and_saveexec_b64 s[2:3], s[18:19]
	s_cbranch_execz .LBB102_10
; %bb.9:                                ;   in Loop: Header=BB102_4 Depth=1
	v_lshl_add_u64 v[8:9], v[6:7], 1, s[12:13]
	global_load_ushort v1, v[8:9], off
	s_waitcnt vmcnt(0)
	v_fma_mix_f32 v4, v1, v1, v4 op_sel_hi:[1,1,0]
.LBB102_10:                             ;   in Loop: Header=BB102_4 Depth=1
	s_or_b64 exec, exec, s[2:3]
	v_add_u32_e32 v6, s14, v12
	v_cmp_gt_i64_e32 vcc, s[10:11], v[6:7]
	v_cmp_gt_u32_e64 s[2:3], s5, v6
	s_and_b64 s[18:19], s[2:3], vcc
	s_and_saveexec_b64 s[2:3], s[18:19]
	s_cbranch_execz .LBB102_3
; %bb.11:                               ;   in Loop: Header=BB102_4 Depth=1
	v_lshl_add_u64 v[8:9], v[6:7], 1, s[12:13]
	global_load_ushort v1, v[8:9], off
	s_waitcnt vmcnt(0)
	v_fma_mix_f32 v5, v1, v1, v5 op_sel_hi:[1,1,0]
	s_branch .LBB102_3
.LBB102_12:
                                        ; implicit-def: $vgpr2_vgpr3_vgpr4_vgpr5
	s_branch .LBB102_15
.LBB102_13:
	v_mov_b32_e32 v2, 0
	v_mov_b32_e32 v3, v2
	;; [unrolled: 1-line block ×4, first 2 shown]
.LBB102_14:
	s_cbranch_execnz .LBB102_20
.LBB102_15:
	v_mov_b64_e32 v[4:5], 0x10000
	v_cmp_lt_i64_e32 vcc, s[10:11], v[4:5]
	v_mov_b32_e32 v2, 0
	s_and_b64 s[2:3], vcc, exec
	s_cselect_b32 s3, s11, 0
	s_cselect_b32 s2, s10, 0x10000
	v_lshlrev_b32_e32 v4, 2, v0
	v_mov_b32_e32 v5, v2
	v_cmp_gt_i64_e32 vcc, s[2:3], v[4:5]
	s_mov_b32 s13, 0
	v_mov_b32_e32 v3, v2
	v_mov_b32_e32 v4, v2
	s_and_saveexec_b64 s[10:11], vcc
	s_cbranch_execz .LBB102_19
; %bb.16:
	s_load_dword s5, s[0:1], 0xd4c
	v_lshlrev_b32_e32 v4, 3, v0
	v_mov_b32_e32 v5, v2
	v_mov_b32_e32 v1, v2
	v_mov_b64_e32 v[8:9], v[0:1]
	s_waitcnt lgkmcnt(0)
	s_and_b32 s12, s5, 0xffff
	s_add_u32 s8, s6, s8
	s_addc_u32 s9, s7, s9
	v_lshl_add_u64 v[4:5], s[8:9], 0, v[4:5]
	s_lshl_b32 s6, s12, 3
	v_lshl_add_u64 v[6:7], v[4:5], 0, 4
	s_mov_b32 s7, s13
	s_mov_b64 s[8:9], 0
	v_mov_b32_e32 v3, v2
	v_mov_b32_e32 v4, v2
	;; [unrolled: 1-line block ×3, first 2 shown]
.LBB102_17:                             ; =>This Inner Loop Header: Depth=1
	global_load_dwordx2 v[10:11], v[6:7], off offset:-4
	v_lshl_add_u64 v[8:9], v[8:9], 0, s[12:13]
	v_lshlrev_b64 v[12:13], 2, v[8:9]
	v_cmp_le_i64_e32 vcc, s[2:3], v[12:13]
	v_lshl_add_u64 v[6:7], v[6:7], 0, s[6:7]
	s_or_b64 s[8:9], vcc, s[8:9]
	s_waitcnt vmcnt(0)
	v_cvt_f32_f16_sdwa v15, v10 dst_sel:DWORD dst_unused:UNUSED_PAD src0_sel:WORD_1
	v_cvt_f32_f16_sdwa v17, v11 dst_sel:DWORD dst_unused:UNUSED_PAD src0_sel:WORD_1
	v_cvt_f32_f16_e32 v16, v11
	v_cvt_f32_f16_e32 v14, v10
	v_pk_fma_f32 v[4:5], v[16:17], v[16:17], v[4:5]
	v_pk_fma_f32 v[2:3], v[14:15], v[14:15], v[2:3]
	s_andn2_b64 exec, exec, s[8:9]
	s_cbranch_execnz .LBB102_17
; %bb.18:
	s_or_b64 exec, exec, s[8:9]
.LBB102_19:
	s_or_b64 exec, exec, s[10:11]
.LBB102_20:
	v_add_f32_e32 v1, 0, v2
	v_add_f32_e32 v1, v3, v1
	;; [unrolled: 1-line block ×4, first 2 shown]
	v_mbcnt_lo_u32_b32 v1, -1, 0
	v_mbcnt_hi_u32_b32 v6, -1, v1
	v_mov_b32_e32 v1, 0x80
	v_lshl_or_b32 v1, v6, 2, v1
	ds_bpermute_b32 v3, v1, v2
	v_and_b32_e32 v9, 63, v6
	v_cmp_gt_u32_e32 vcc, 48, v9
	s_waitcnt lgkmcnt(0)
	s_barrier
	v_add_f32_e32 v3, v2, v3
	v_cndmask_b32_e64 v2, 0, 16, vcc
	v_add_lshl_u32 v2, v2, v6, 2
	ds_bpermute_b32 v4, v2, v3
	v_cmp_gt_u32_e32 vcc, 56, v9
	s_waitcnt lgkmcnt(0)
	v_add_f32_e32 v4, v3, v4
	v_cndmask_b32_e64 v3, 0, 8, vcc
	v_add_lshl_u32 v3, v3, v6, 2
	ds_bpermute_b32 v5, v3, v4
	v_cmp_gt_u32_e32 vcc, 60, v9
	s_waitcnt lgkmcnt(0)
	;; [unrolled: 6-line block ×3, first 2 shown]
	v_add_f32_e32 v7, v5, v7
	v_cndmask_b32_e64 v8, 0, 2, vcc
	v_add_lshl_u32 v5, v8, v6, 2
	ds_bpermute_b32 v10, v5, v7
	v_cmp_ne_u32_e32 vcc, 63, v9
	v_and_b32_e32 v8, 63, v0
	s_waitcnt lgkmcnt(0)
	v_add_f32_e32 v7, v7, v10
	v_addc_co_u32_e32 v6, vcc, 0, v6, vcc
	v_lshlrev_b32_e32 v6, 2, v6
	ds_bpermute_b32 v9, v6, v7
	v_cmp_eq_u32_e32 vcc, 0, v8
	s_and_saveexec_b64 s[2:3], vcc
	s_cbranch_execz .LBB102_22
; %bb.21:
	v_lshrrev_b32_e32 v10, 4, v0
	s_waitcnt lgkmcnt(0)
	v_add_f32_e32 v7, v7, v9
	ds_write_b32 v10, v7
.LBB102_22:
	s_or_b64 exec, exec, s[2:3]
	s_waitcnt lgkmcnt(0)
	s_barrier
	s_load_dword s2, s[0:1], 0xd4c
	v_mov_b32_e32 v7, 0
	s_waitcnt lgkmcnt(0)
	s_bfe_u32 s2, s2, 0xa0006
	v_cmp_gt_u32_e32 vcc, s2, v0
	s_and_saveexec_b64 s[2:3], vcc
	s_cbranch_execnz .LBB102_26
; %bb.23:
	s_or_b64 exec, exec, s[2:3]
	v_cmp_gt_u32_e32 vcc, 64, v0
	s_and_saveexec_b64 s[2:3], vcc
	s_cbranch_execnz .LBB102_27
.LBB102_24:
	s_or_b64 exec, exec, s[2:3]
	v_cmp_eq_u32_e32 vcc, 0, v0
	s_and_saveexec_b64 s[2:3], vcc
	s_cbranch_execnz .LBB102_28
.LBB102_25:
	s_endpgm
.LBB102_26:
	v_lshlrev_b32_e32 v7, 2, v8
	ds_read_b32 v7, v7
	s_or_b64 exec, exec, s[2:3]
	v_cmp_gt_u32_e32 vcc, 64, v0
	s_and_saveexec_b64 s[2:3], vcc
	s_cbranch_execz .LBB102_24
.LBB102_27:
	s_waitcnt lgkmcnt(0)
	ds_bpermute_b32 v1, v1, v7
	s_waitcnt lgkmcnt(0)
	v_add_f32_e32 v1, v7, v1
	ds_bpermute_b32 v2, v2, v1
	s_waitcnt lgkmcnt(0)
	v_add_f32_e32 v1, v1, v2
	;; [unrolled: 3-line block ×6, first 2 shown]
	s_or_b64 exec, exec, s[2:3]
	v_cmp_eq_u32_e32 vcc, 0, v0
	s_and_saveexec_b64 s[2:3], vcc
	s_cbranch_execz .LBB102_25
.LBB102_28:
	s_load_dword s5, s[0:1], 0xd20
	s_load_dword s6, s[0:1], 0xd38
	s_load_dwordx2 s[2:3], s[0:1], 0xd30
	v_mov_b32_e32 v0, 0
	s_waitcnt lgkmcnt(0)
	s_add_i32 s0, s5, s16
	s_mul_i32 s0, s0, s6
	s_add_i32 s0, s0, s4
	s_ashr_i32 s1, s0, 31
	s_lshl_b64 s[0:1], s[0:1], 2
	s_add_u32 s0, s2, s0
	s_addc_u32 s1, s3, s1
	global_store_dword v0, v7, s[0:1]
	s_endpgm
	.section	.rodata,"a",@progbits
	.p2align	6, 0x0
	.amdhsa_kernel _ZN2at6native12_GLOBAL__N_125multi_tensor_apply_kernelINS1_18TensorListMetadataILi1EEENS0_13LpNormFunctorIN3c104HalfELNS0_8NormTypeE2ES7_Li1ELi1ELi0EEEJPfiEEEvT_T0_DpT1_
		.amdhsa_group_segment_fixed_size 2048
		.amdhsa_private_segment_fixed_size 0
		.amdhsa_kernarg_size 3648
		.amdhsa_user_sgpr_count 2
		.amdhsa_user_sgpr_dispatch_ptr 0
		.amdhsa_user_sgpr_queue_ptr 0
		.amdhsa_user_sgpr_kernarg_segment_ptr 1
		.amdhsa_user_sgpr_dispatch_id 0
		.amdhsa_user_sgpr_kernarg_preload_length 0
		.amdhsa_user_sgpr_kernarg_preload_offset 0
		.amdhsa_user_sgpr_private_segment_size 0
		.amdhsa_uses_dynamic_stack 0
		.amdhsa_enable_private_segment 0
		.amdhsa_system_sgpr_workgroup_id_x 1
		.amdhsa_system_sgpr_workgroup_id_y 0
		.amdhsa_system_sgpr_workgroup_id_z 0
		.amdhsa_system_sgpr_workgroup_info 0
		.amdhsa_system_vgpr_workitem_id 0
		.amdhsa_next_free_vgpr 18
		.amdhsa_next_free_sgpr 20
		.amdhsa_accum_offset 20
		.amdhsa_reserve_vcc 1
		.amdhsa_float_round_mode_32 0
		.amdhsa_float_round_mode_16_64 0
		.amdhsa_float_denorm_mode_32 3
		.amdhsa_float_denorm_mode_16_64 3
		.amdhsa_dx10_clamp 1
		.amdhsa_ieee_mode 1
		.amdhsa_fp16_overflow 0
		.amdhsa_tg_split 0
		.amdhsa_exception_fp_ieee_invalid_op 0
		.amdhsa_exception_fp_denorm_src 0
		.amdhsa_exception_fp_ieee_div_zero 0
		.amdhsa_exception_fp_ieee_overflow 0
		.amdhsa_exception_fp_ieee_underflow 0
		.amdhsa_exception_fp_ieee_inexact 0
		.amdhsa_exception_int_div_zero 0
	.end_amdhsa_kernel
	.section	.text._ZN2at6native12_GLOBAL__N_125multi_tensor_apply_kernelINS1_18TensorListMetadataILi1EEENS0_13LpNormFunctorIN3c104HalfELNS0_8NormTypeE2ES7_Li1ELi1ELi0EEEJPfiEEEvT_T0_DpT1_,"axG",@progbits,_ZN2at6native12_GLOBAL__N_125multi_tensor_apply_kernelINS1_18TensorListMetadataILi1EEENS0_13LpNormFunctorIN3c104HalfELNS0_8NormTypeE2ES7_Li1ELi1ELi0EEEJPfiEEEvT_T0_DpT1_,comdat
.Lfunc_end102:
	.size	_ZN2at6native12_GLOBAL__N_125multi_tensor_apply_kernelINS1_18TensorListMetadataILi1EEENS0_13LpNormFunctorIN3c104HalfELNS0_8NormTypeE2ES7_Li1ELi1ELi0EEEJPfiEEEvT_T0_DpT1_, .Lfunc_end102-_ZN2at6native12_GLOBAL__N_125multi_tensor_apply_kernelINS1_18TensorListMetadataILi1EEENS0_13LpNormFunctorIN3c104HalfELNS0_8NormTypeE2ES7_Li1ELi1ELi0EEEJPfiEEEvT_T0_DpT1_
                                        ; -- End function
	.set _ZN2at6native12_GLOBAL__N_125multi_tensor_apply_kernelINS1_18TensorListMetadataILi1EEENS0_13LpNormFunctorIN3c104HalfELNS0_8NormTypeE2ES7_Li1ELi1ELi0EEEJPfiEEEvT_T0_DpT1_.num_vgpr, 18
	.set _ZN2at6native12_GLOBAL__N_125multi_tensor_apply_kernelINS1_18TensorListMetadataILi1EEENS0_13LpNormFunctorIN3c104HalfELNS0_8NormTypeE2ES7_Li1ELi1ELi0EEEJPfiEEEvT_T0_DpT1_.num_agpr, 0
	.set _ZN2at6native12_GLOBAL__N_125multi_tensor_apply_kernelINS1_18TensorListMetadataILi1EEENS0_13LpNormFunctorIN3c104HalfELNS0_8NormTypeE2ES7_Li1ELi1ELi0EEEJPfiEEEvT_T0_DpT1_.numbered_sgpr, 20
	.set _ZN2at6native12_GLOBAL__N_125multi_tensor_apply_kernelINS1_18TensorListMetadataILi1EEENS0_13LpNormFunctorIN3c104HalfELNS0_8NormTypeE2ES7_Li1ELi1ELi0EEEJPfiEEEvT_T0_DpT1_.num_named_barrier, 0
	.set _ZN2at6native12_GLOBAL__N_125multi_tensor_apply_kernelINS1_18TensorListMetadataILi1EEENS0_13LpNormFunctorIN3c104HalfELNS0_8NormTypeE2ES7_Li1ELi1ELi0EEEJPfiEEEvT_T0_DpT1_.private_seg_size, 0
	.set _ZN2at6native12_GLOBAL__N_125multi_tensor_apply_kernelINS1_18TensorListMetadataILi1EEENS0_13LpNormFunctorIN3c104HalfELNS0_8NormTypeE2ES7_Li1ELi1ELi0EEEJPfiEEEvT_T0_DpT1_.uses_vcc, 1
	.set _ZN2at6native12_GLOBAL__N_125multi_tensor_apply_kernelINS1_18TensorListMetadataILi1EEENS0_13LpNormFunctorIN3c104HalfELNS0_8NormTypeE2ES7_Li1ELi1ELi0EEEJPfiEEEvT_T0_DpT1_.uses_flat_scratch, 0
	.set _ZN2at6native12_GLOBAL__N_125multi_tensor_apply_kernelINS1_18TensorListMetadataILi1EEENS0_13LpNormFunctorIN3c104HalfELNS0_8NormTypeE2ES7_Li1ELi1ELi0EEEJPfiEEEvT_T0_DpT1_.has_dyn_sized_stack, 0
	.set _ZN2at6native12_GLOBAL__N_125multi_tensor_apply_kernelINS1_18TensorListMetadataILi1EEENS0_13LpNormFunctorIN3c104HalfELNS0_8NormTypeE2ES7_Li1ELi1ELi0EEEJPfiEEEvT_T0_DpT1_.has_recursion, 0
	.set _ZN2at6native12_GLOBAL__N_125multi_tensor_apply_kernelINS1_18TensorListMetadataILi1EEENS0_13LpNormFunctorIN3c104HalfELNS0_8NormTypeE2ES7_Li1ELi1ELi0EEEJPfiEEEvT_T0_DpT1_.has_indirect_call, 0
	.section	.AMDGPU.csdata,"",@progbits
; Kernel info:
; codeLenInByte = 1376
; TotalNumSgprs: 26
; NumVgprs: 18
; NumAgprs: 0
; TotalNumVgprs: 18
; ScratchSize: 0
; MemoryBound: 0
; FloatMode: 240
; IeeeMode: 1
; LDSByteSize: 2048 bytes/workgroup (compile time only)
; SGPRBlocks: 3
; VGPRBlocks: 2
; NumSGPRsForWavesPerEU: 26
; NumVGPRsForWavesPerEU: 18
; AccumOffset: 20
; Occupancy: 8
; WaveLimiterHint : 0
; COMPUTE_PGM_RSRC2:SCRATCH_EN: 0
; COMPUTE_PGM_RSRC2:USER_SGPR: 2
; COMPUTE_PGM_RSRC2:TRAP_HANDLER: 0
; COMPUTE_PGM_RSRC2:TGID_X_EN: 1
; COMPUTE_PGM_RSRC2:TGID_Y_EN: 0
; COMPUTE_PGM_RSRC2:TGID_Z_EN: 0
; COMPUTE_PGM_RSRC2:TIDIG_COMP_CNT: 0
; COMPUTE_PGM_RSRC3_GFX90A:ACCUM_OFFSET: 4
; COMPUTE_PGM_RSRC3_GFX90A:TG_SPLIT: 0
	.section	.text._ZN2at6native12_GLOBAL__N_125multi_tensor_apply_kernelINS1_18TensorListMetadataILi1EEENS0_13LpNormFunctorIN3c104HalfELNS0_8NormTypeE3ES7_Li1ELi1ELi0EEEJPfiEEEvT_T0_DpT1_,"axG",@progbits,_ZN2at6native12_GLOBAL__N_125multi_tensor_apply_kernelINS1_18TensorListMetadataILi1EEENS0_13LpNormFunctorIN3c104HalfELNS0_8NormTypeE3ES7_Li1ELi1ELi0EEEJPfiEEEvT_T0_DpT1_,comdat
	.globl	_ZN2at6native12_GLOBAL__N_125multi_tensor_apply_kernelINS1_18TensorListMetadataILi1EEENS0_13LpNormFunctorIN3c104HalfELNS0_8NormTypeE3ES7_Li1ELi1ELi0EEEJPfiEEEvT_T0_DpT1_ ; -- Begin function _ZN2at6native12_GLOBAL__N_125multi_tensor_apply_kernelINS1_18TensorListMetadataILi1EEENS0_13LpNormFunctorIN3c104HalfELNS0_8NormTypeE3ES7_Li1ELi1ELi0EEEJPfiEEEvT_T0_DpT1_
	.p2align	8
	.type	_ZN2at6native12_GLOBAL__N_125multi_tensor_apply_kernelINS1_18TensorListMetadataILi1EEENS0_13LpNormFunctorIN3c104HalfELNS0_8NormTypeE3ES7_Li1ELi1ELi0EEEJPfiEEEvT_T0_DpT1_,@function
_ZN2at6native12_GLOBAL__N_125multi_tensor_apply_kernelINS1_18TensorListMetadataILi1EEENS0_13LpNormFunctorIN3c104HalfELNS0_8NormTypeE3ES7_Li1ELi1ELi0EEEJPfiEEEvT_T0_DpT1_: ; @_ZN2at6native12_GLOBAL__N_125multi_tensor_apply_kernelINS1_18TensorListMetadataILi1EEENS0_13LpNormFunctorIN3c104HalfELNS0_8NormTypeE3ES7_Li1ELi1ELi0EEEJPfiEEEvT_T0_DpT1_
; %bb.0:
	v_mov_b32_e32 v1, s2
	global_load_ubyte v1, v1, s[0:1] offset:1760
	s_add_u32 s3, s0, s2
	s_mul_hi_u32 s4, s2, 3
	s_mul_i32 s2, s2, 3
	s_addc_u32 s5, s1, 0
	s_add_u32 s2, s3, s2
	s_addc_u32 s3, s5, s4
	s_load_dword s14, s[2:3], 0x820
	s_mov_b32 s13, 0
	s_waitcnt lgkmcnt(0)
	s_ashr_i32 s15, s14, 31
	s_lshl_b64 s[8:9], s[14:15], 16
	s_waitcnt vmcnt(0)
	v_readfirstlane_b32 s2, v1
	s_and_b32 s26, s2, 0xff
	s_lshl_b32 s6, s26, 3
	s_load_dwordx2 s[2:3], s[0:1], s6 offset:0x370
	s_load_dwordx2 s[4:5], s[0:1], s6 offset:0x0
	s_lshl_b64 s[6:7], s[14:15], 17
	s_waitcnt lgkmcnt(0)
	s_add_u32 s10, s4, s6
	s_addc_u32 s11, s5, s7
	s_sub_u32 s8, s2, s8
	s_subb_u32 s9, s3, s9
	s_and_b32 s12, s2, 3
	s_and_b32 s2, s10, 7
	s_mov_b32 s3, s13
	s_or_b64 s[2:3], s[12:13], s[2:3]
	s_cmp_eq_u64 s[2:3], 0
	s_cbranch_scc1 .LBB103_12
; %bb.1:
	v_cmp_lt_i64_e64 s[2:3], s[8:9], 1
	s_and_b64 vcc, exec, s[2:3]
	s_cbranch_vccnz .LBB103_13
; %bb.2:
	v_mov_b64_e32 v[2:3], 0x10000
	v_cmp_lt_i64_e32 vcc, s[8:9], v[2:3]
	s_and_b64 s[2:3], vcc, exec
	s_load_dword s2, s[0:1], 0xd4c
	v_mov_b32_e32 v7, 0
	v_mov_b32_e32 v6, v7
	s_cselect_b32 s13, s9, 0
	s_cselect_b32 s12, s8, 0x10000
	s_waitcnt lgkmcnt(0)
	s_and_b32 s16, s2, 0xffff
	v_mov_b32_e32 v8, v7
	v_mov_b32_e32 v9, v7
	v_mov_b64_e32 v[2:3], v[6:7]
	s_mov_b32 s15, 0x10000
	s_lshl_b32 s20, s16, 2
	v_lshl_add_u32 v10, s16, 1, v0
	v_mad_u64_u32 v[12:13], s[2:3], s16, 3, v[0:1]
	v_add_u32_e32 v14, s16, v0
	s_mov_b64 s[16:17], 0
	v_mov_b64_e32 v[4:5], v[8:9]
	s_branch .LBB103_4
.LBB103_3:                              ;   in Loop: Header=BB103_4 Depth=1
	s_or_b64 exec, exec, s[18:19]
	s_add_u32 s16, s16, s20
	s_addc_u32 s17, s17, 0
	v_mov_b64_e32 v[8:9], s[12:13]
	v_cmp_lt_i64_e32 vcc, s[16:17], v[8:9]
	s_cbranch_vccz .LBB103_14
.LBB103_4:                              ; =>This Inner Loop Header: Depth=1
	v_add_u32_e32 v6, s16, v0
	v_cmp_gt_i64_e32 vcc, s[8:9], v[6:7]
	v_cmp_gt_u32_e64 s[2:3], s15, v6
	s_and_b64 s[2:3], s[2:3], vcc
	s_and_saveexec_b64 s[18:19], s[2:3]
	s_cbranch_execz .LBB103_6
; %bb.5:                                ;   in Loop: Header=BB103_4 Depth=1
	v_lshl_add_u64 v[8:9], v[6:7], 1, s[10:11]
	global_load_ushort v1, v[8:9], off
	s_waitcnt vmcnt(0)
	v_cvt_f32_f16_e64 v6, |v1|
	v_cmp_u_f16_e32 vcc, v1, v1
	v_cmp_lt_f32_e64 s[2:3], v2, v6
	s_or_b64 vcc, vcc, s[2:3]
	v_cndmask_b32_e32 v2, v2, v6, vcc
.LBB103_6:                              ;   in Loop: Header=BB103_4 Depth=1
	s_or_b64 exec, exec, s[18:19]
	v_add_u32_e32 v6, s16, v14
	v_cmp_gt_i64_e32 vcc, s[8:9], v[6:7]
	v_cmp_gt_u32_e64 s[2:3], s15, v6
	s_and_b64 s[2:3], s[2:3], vcc
	s_and_saveexec_b64 s[18:19], s[2:3]
	s_cbranch_execz .LBB103_8
; %bb.7:                                ;   in Loop: Header=BB103_4 Depth=1
	v_lshl_add_u64 v[8:9], v[6:7], 1, s[10:11]
	global_load_ushort v1, v[8:9], off
	s_waitcnt vmcnt(0)
	v_cvt_f32_f16_e64 v6, |v1|
	v_cmp_u_f16_e32 vcc, v1, v1
	v_cmp_lt_f32_e64 s[2:3], v3, v6
	s_or_b64 vcc, vcc, s[2:3]
	v_cndmask_b32_e32 v3, v3, v6, vcc
.LBB103_8:                              ;   in Loop: Header=BB103_4 Depth=1
	s_or_b64 exec, exec, s[18:19]
	v_add_u32_e32 v6, s16, v10
	v_cmp_gt_i64_e32 vcc, s[8:9], v[6:7]
	v_cmp_gt_u32_e64 s[2:3], s15, v6
	s_and_b64 s[2:3], s[2:3], vcc
	s_and_saveexec_b64 s[18:19], s[2:3]
	s_cbranch_execz .LBB103_10
; %bb.9:                                ;   in Loop: Header=BB103_4 Depth=1
	v_lshl_add_u64 v[8:9], v[6:7], 1, s[10:11]
	global_load_ushort v1, v[8:9], off
	s_waitcnt vmcnt(0)
	v_cvt_f32_f16_e64 v6, |v1|
	v_cmp_u_f16_e32 vcc, v1, v1
	v_cmp_lt_f32_e64 s[2:3], v4, v6
	s_or_b64 vcc, vcc, s[2:3]
	v_cndmask_b32_e32 v4, v4, v6, vcc
.LBB103_10:                             ;   in Loop: Header=BB103_4 Depth=1
	s_or_b64 exec, exec, s[18:19]
	v_add_u32_e32 v6, s16, v12
	v_cmp_gt_i64_e32 vcc, s[8:9], v[6:7]
	v_cmp_gt_u32_e64 s[2:3], s15, v6
	s_and_b64 s[2:3], s[2:3], vcc
	s_and_saveexec_b64 s[18:19], s[2:3]
	s_cbranch_execz .LBB103_3
; %bb.11:                               ;   in Loop: Header=BB103_4 Depth=1
	v_lshl_add_u64 v[8:9], v[6:7], 1, s[10:11]
	global_load_ushort v1, v[8:9], off
	s_waitcnt vmcnt(0)
	v_cvt_f32_f16_e64 v6, |v1|
	v_cmp_u_f16_e32 vcc, v1, v1
	v_cmp_lt_f32_e64 s[2:3], v5, v6
	s_or_b64 vcc, vcc, s[2:3]
	v_cndmask_b32_e32 v5, v5, v6, vcc
	s_branch .LBB103_3
.LBB103_12:
                                        ; implicit-def: $vgpr2_vgpr3_vgpr4_vgpr5
	s_branch .LBB103_15
.LBB103_13:
	v_mov_b32_e32 v2, 0
	v_mov_b32_e32 v3, v2
	;; [unrolled: 1-line block ×4, first 2 shown]
.LBB103_14:
	s_cbranch_execnz .LBB103_20
.LBB103_15:
	v_mov_b64_e32 v[4:5], 0x10000
	v_cmp_lt_i64_e32 vcc, s[8:9], v[4:5]
	s_and_b64 s[2:3], vcc, exec
	v_mov_b32_e32 v3, 0
	s_cselect_b32 s17, s9, 0
	s_cselect_b32 s16, s8, 0x10000
	v_lshlrev_b32_e32 v2, 2, v0
	v_cmp_gt_i64_e32 vcc, s[16:17], v[2:3]
	s_mov_b32 s21, 0
	v_mov_b32_e32 v2, v3
	v_mov_b32_e32 v4, v3
	;; [unrolled: 1-line block ×3, first 2 shown]
	s_and_saveexec_b64 s[18:19], vcc
	s_cbranch_execz .LBB103_19
; %bb.16:
	s_load_dword s2, s[0:1], 0xd4c
	v_lshlrev_b32_e32 v2, 3, v0
	v_mov_b32_e32 v1, v3
	s_mov_b32 s23, s21
	s_mov_b64 s[24:25], 0
	s_waitcnt lgkmcnt(0)
	s_and_b32 s20, s2, 0xffff
	s_add_u32 s2, s4, s6
	s_addc_u32 s3, s5, s7
	v_lshl_add_u64 v[4:5], s[2:3], 0, v[2:3]
	s_lshl_b32 s22, s20, 3
	v_lshl_add_u64 v[8:9], v[4:5], 0, 4
	v_mov_b64_e32 v[10:11], v[0:1]
	v_mov_b32_e32 v5, 0
	v_mov_b32_e32 v6, 0
	;; [unrolled: 1-line block ×3, first 2 shown]
.LBB103_17:                             ; =>This Inner Loop Header: Depth=1
	global_load_dwordx2 v[12:13], v[8:9], off offset:-4
	v_lshl_add_u64 v[10:11], v[10:11], 0, s[20:21]
	v_lshlrev_b64 v[14:15], 2, v[10:11]
	v_cmp_le_i64_e32 vcc, s[16:17], v[14:15]
	v_lshl_add_u64 v[8:9], v[8:9], 0, s[22:23]
	s_waitcnt vmcnt(0)
	v_cvt_f32_f16_e64 v1, |v12|
	v_cvt_f32_f16_sdwa v2, |v12| dst_sel:DWORD dst_unused:UNUSED_PAD src0_sel:WORD_1
	v_cvt_f32_f16_e64 v4, |v13|
	v_cmp_u_f16_e64 s[2:3], v12, v12
	v_cmp_u_f16_sdwa s[28:29], v12, v12 src0_sel:WORD_1 src1_sel:WORD_1
	v_cvt_f32_f16_sdwa v12, |v13| dst_sel:DWORD dst_unused:UNUSED_PAD src0_sel:WORD_1
	v_cmp_lt_f32_e64 s[6:7], v3, v1
	v_cmp_lt_f32_e64 s[8:9], v5, v2
	s_or_b64 s[2:3], s[2:3], s[6:7]
	v_cmp_u_f16_e64 s[4:5], v13, v13
	v_cmp_lt_f32_e64 s[10:11], v6, v4
	v_cndmask_b32_e64 v3, v3, v1, s[2:3]
	s_or_b64 s[2:3], s[28:29], s[8:9]
	v_cmp_u_f16_sdwa s[30:31], v13, v13 src0_sel:WORD_1 src1_sel:WORD_1
	v_cmp_lt_f32_e64 s[12:13], v7, v12
	v_cndmask_b32_e64 v5, v5, v2, s[2:3]
	s_or_b64 s[2:3], s[4:5], s[10:11]
	v_cndmask_b32_e64 v6, v6, v4, s[2:3]
	s_or_b64 s[2:3], s[30:31], s[12:13]
	s_or_b64 s[24:25], vcc, s[24:25]
	v_cndmask_b32_e64 v7, v7, v12, s[2:3]
	s_andn2_b64 exec, exec, s[24:25]
	s_cbranch_execnz .LBB103_17
; %bb.18:
	s_or_b64 exec, exec, s[24:25]
	v_mov_b32_e32 v4, v3
	v_mov_b64_e32 v[2:3], v[4:5]
	v_mov_b64_e32 v[4:5], v[6:7]
.LBB103_19:
	s_or_b64 exec, exec, s[18:19]
.LBB103_20:
	v_cmp_nge_f32_e32 vcc, 0, v2
	v_and_b32_e32 v8, 63, v0
	s_nop 0
	v_cndmask_b32_e32 v1, 0, v2, vcc
	v_cmp_u_f32_e32 vcc, v3, v3
	v_cmp_lt_f32_e64 s[2:3], v1, v3
	s_or_b64 vcc, vcc, s[2:3]
	v_cndmask_b32_e32 v1, v1, v3, vcc
	v_cmp_u_f32_e32 vcc, v4, v4
	v_cmp_lt_f32_e64 s[2:3], v1, v4
	s_or_b64 vcc, vcc, s[2:3]
	;; [unrolled: 4-line block ×3, first 2 shown]
	v_cndmask_b32_e32 v2, v1, v5, vcc
	v_mbcnt_lo_u32_b32 v1, -1, 0
	v_mbcnt_hi_u32_b32 v6, -1, v1
	v_mov_b32_e32 v1, 0x80
	v_lshl_or_b32 v1, v6, 2, v1
	ds_bpermute_b32 v3, v1, v2
	v_and_b32_e32 v9, 63, v6
	s_barrier
	s_waitcnt lgkmcnt(0)
	v_cmp_u_f32_e32 vcc, v3, v3
	v_cmp_lt_f32_e64 s[2:3], v2, v3
	s_or_b64 vcc, vcc, s[2:3]
	v_cndmask_b32_e32 v3, v2, v3, vcc
	v_cmp_gt_u32_e32 vcc, 48, v9
	s_nop 1
	v_cndmask_b32_e64 v2, 0, 16, vcc
	v_add_lshl_u32 v2, v2, v6, 2
	ds_bpermute_b32 v4, v2, v3
	s_waitcnt lgkmcnt(0)
	v_cmp_u_f32_e32 vcc, v4, v4
	v_cmp_lt_f32_e64 s[2:3], v3, v4
	s_or_b64 vcc, vcc, s[2:3]
	v_cndmask_b32_e32 v4, v3, v4, vcc
	v_cmp_gt_u32_e32 vcc, 56, v9
	s_nop 1
	v_cndmask_b32_e64 v3, 0, 8, vcc
	v_add_lshl_u32 v3, v3, v6, 2
	ds_bpermute_b32 v5, v3, v4
	s_waitcnt lgkmcnt(0)
	v_cmp_u_f32_e32 vcc, v5, v5
	v_cmp_lt_f32_e64 s[2:3], v4, v5
	s_or_b64 vcc, vcc, s[2:3]
	v_cndmask_b32_e32 v5, v4, v5, vcc
	v_cmp_gt_u32_e32 vcc, 60, v9
	s_nop 1
	v_cndmask_b32_e64 v4, 0, 4, vcc
	v_add_lshl_u32 v4, v4, v6, 2
	ds_bpermute_b32 v7, v4, v5
	s_waitcnt lgkmcnt(0)
	v_cmp_u_f32_e32 vcc, v7, v7
	v_cmp_lt_f32_e64 s[2:3], v5, v7
	s_or_b64 vcc, vcc, s[2:3]
	v_cndmask_b32_e32 v7, v5, v7, vcc
	v_cmp_gt_u32_e32 vcc, 62, v9
	s_nop 1
	v_cndmask_b32_e64 v5, 0, 2, vcc
	v_add_lshl_u32 v5, v5, v6, 2
	ds_bpermute_b32 v10, v5, v7
	s_waitcnt lgkmcnt(0)
	v_cmp_u_f32_e32 vcc, v10, v10
	v_cmp_lt_f32_e64 s[2:3], v7, v10
	s_or_b64 vcc, vcc, s[2:3]
	v_cndmask_b32_e32 v7, v7, v10, vcc
	v_cmp_ne_u32_e32 vcc, 63, v9
	s_nop 1
	v_addc_co_u32_e32 v6, vcc, 0, v6, vcc
	v_lshlrev_b32_e32 v6, 2, v6
	ds_bpermute_b32 v9, v6, v7
	v_cmp_eq_u32_e32 vcc, 0, v8
	s_and_saveexec_b64 s[4:5], vcc
	s_cbranch_execz .LBB103_22
; %bb.21:
	s_waitcnt lgkmcnt(0)
	v_cmp_u_f32_e32 vcc, v9, v9
	v_cmp_lt_f32_e64 s[2:3], v7, v9
	s_or_b64 vcc, vcc, s[2:3]
	v_lshrrev_b32_e32 v10, 4, v0
	v_cndmask_b32_e32 v7, v7, v9, vcc
	ds_write_b32 v10, v7
.LBB103_22:
	s_or_b64 exec, exec, s[4:5]
	s_waitcnt lgkmcnt(0)
	s_barrier
	s_load_dword s2, s[0:1], 0xd4c
	v_mov_b32_e32 v7, 0xff7fffff
	s_waitcnt lgkmcnt(0)
	s_bfe_u32 s2, s2, 0xa0006
	v_cmp_gt_u32_e32 vcc, s2, v0
	s_and_saveexec_b64 s[2:3], vcc
	s_cbranch_execnz .LBB103_26
; %bb.23:
	s_or_b64 exec, exec, s[2:3]
	v_cmp_gt_u32_e32 vcc, 64, v0
	s_and_saveexec_b64 s[4:5], vcc
	s_cbranch_execnz .LBB103_27
.LBB103_24:
	s_or_b64 exec, exec, s[4:5]
	v_cmp_eq_u32_e32 vcc, 0, v0
	s_and_saveexec_b64 s[2:3], vcc
	s_cbranch_execnz .LBB103_28
.LBB103_25:
	s_endpgm
.LBB103_26:
	v_lshlrev_b32_e32 v7, 2, v8
	ds_read_b32 v7, v7
	s_or_b64 exec, exec, s[2:3]
	v_cmp_gt_u32_e32 vcc, 64, v0
	s_and_saveexec_b64 s[4:5], vcc
	s_cbranch_execz .LBB103_24
.LBB103_27:
	s_waitcnt lgkmcnt(0)
	ds_bpermute_b32 v1, v1, v7
	s_waitcnt lgkmcnt(0)
	v_cmp_u_f32_e32 vcc, v1, v1
	v_cmp_lt_f32_e64 s[2:3], v7, v1
	s_or_b64 vcc, vcc, s[2:3]
	v_cndmask_b32_e32 v1, v7, v1, vcc
	ds_bpermute_b32 v2, v2, v1
	s_waitcnt lgkmcnt(0)
	v_cmp_u_f32_e32 vcc, v2, v2
	v_cmp_lt_f32_e64 s[2:3], v1, v2
	s_or_b64 vcc, vcc, s[2:3]
	v_cndmask_b32_e32 v1, v1, v2, vcc
	;; [unrolled: 6-line block ×6, first 2 shown]
	s_or_b64 exec, exec, s[4:5]
	v_cmp_eq_u32_e32 vcc, 0, v0
	s_and_saveexec_b64 s[2:3], vcc
	s_cbranch_execz .LBB103_25
.LBB103_28:
	s_load_dword s4, s[0:1], 0xd20
	s_load_dword s5, s[0:1], 0xd38
	s_load_dwordx2 s[2:3], s[0:1], 0xd30
	v_mov_b32_e32 v0, 0
	s_waitcnt lgkmcnt(0)
	s_add_i32 s0, s4, s26
	s_mul_i32 s0, s0, s5
	s_add_i32 s0, s0, s14
	s_ashr_i32 s1, s0, 31
	s_lshl_b64 s[0:1], s[0:1], 2
	s_add_u32 s0, s2, s0
	s_addc_u32 s1, s3, s1
	global_store_dword v0, v7, s[0:1]
	s_endpgm
	.section	.rodata,"a",@progbits
	.p2align	6, 0x0
	.amdhsa_kernel _ZN2at6native12_GLOBAL__N_125multi_tensor_apply_kernelINS1_18TensorListMetadataILi1EEENS0_13LpNormFunctorIN3c104HalfELNS0_8NormTypeE3ES7_Li1ELi1ELi0EEEJPfiEEEvT_T0_DpT1_
		.amdhsa_group_segment_fixed_size 2048
		.amdhsa_private_segment_fixed_size 0
		.amdhsa_kernarg_size 3648
		.amdhsa_user_sgpr_count 2
		.amdhsa_user_sgpr_dispatch_ptr 0
		.amdhsa_user_sgpr_queue_ptr 0
		.amdhsa_user_sgpr_kernarg_segment_ptr 1
		.amdhsa_user_sgpr_dispatch_id 0
		.amdhsa_user_sgpr_kernarg_preload_length 0
		.amdhsa_user_sgpr_kernarg_preload_offset 0
		.amdhsa_user_sgpr_private_segment_size 0
		.amdhsa_uses_dynamic_stack 0
		.amdhsa_enable_private_segment 0
		.amdhsa_system_sgpr_workgroup_id_x 1
		.amdhsa_system_sgpr_workgroup_id_y 0
		.amdhsa_system_sgpr_workgroup_id_z 0
		.amdhsa_system_sgpr_workgroup_info 0
		.amdhsa_system_vgpr_workitem_id 0
		.amdhsa_next_free_vgpr 16
		.amdhsa_next_free_sgpr 32
		.amdhsa_accum_offset 16
		.amdhsa_reserve_vcc 1
		.amdhsa_float_round_mode_32 0
		.amdhsa_float_round_mode_16_64 0
		.amdhsa_float_denorm_mode_32 3
		.amdhsa_float_denorm_mode_16_64 3
		.amdhsa_dx10_clamp 1
		.amdhsa_ieee_mode 1
		.amdhsa_fp16_overflow 0
		.amdhsa_tg_split 0
		.amdhsa_exception_fp_ieee_invalid_op 0
		.amdhsa_exception_fp_denorm_src 0
		.amdhsa_exception_fp_ieee_div_zero 0
		.amdhsa_exception_fp_ieee_overflow 0
		.amdhsa_exception_fp_ieee_underflow 0
		.amdhsa_exception_fp_ieee_inexact 0
		.amdhsa_exception_int_div_zero 0
	.end_amdhsa_kernel
	.section	.text._ZN2at6native12_GLOBAL__N_125multi_tensor_apply_kernelINS1_18TensorListMetadataILi1EEENS0_13LpNormFunctorIN3c104HalfELNS0_8NormTypeE3ES7_Li1ELi1ELi0EEEJPfiEEEvT_T0_DpT1_,"axG",@progbits,_ZN2at6native12_GLOBAL__N_125multi_tensor_apply_kernelINS1_18TensorListMetadataILi1EEENS0_13LpNormFunctorIN3c104HalfELNS0_8NormTypeE3ES7_Li1ELi1ELi0EEEJPfiEEEvT_T0_DpT1_,comdat
.Lfunc_end103:
	.size	_ZN2at6native12_GLOBAL__N_125multi_tensor_apply_kernelINS1_18TensorListMetadataILi1EEENS0_13LpNormFunctorIN3c104HalfELNS0_8NormTypeE3ES7_Li1ELi1ELi0EEEJPfiEEEvT_T0_DpT1_, .Lfunc_end103-_ZN2at6native12_GLOBAL__N_125multi_tensor_apply_kernelINS1_18TensorListMetadataILi1EEENS0_13LpNormFunctorIN3c104HalfELNS0_8NormTypeE3ES7_Li1ELi1ELi0EEEJPfiEEEvT_T0_DpT1_
                                        ; -- End function
	.set _ZN2at6native12_GLOBAL__N_125multi_tensor_apply_kernelINS1_18TensorListMetadataILi1EEENS0_13LpNormFunctorIN3c104HalfELNS0_8NormTypeE3ES7_Li1ELi1ELi0EEEJPfiEEEvT_T0_DpT1_.num_vgpr, 16
	.set _ZN2at6native12_GLOBAL__N_125multi_tensor_apply_kernelINS1_18TensorListMetadataILi1EEENS0_13LpNormFunctorIN3c104HalfELNS0_8NormTypeE3ES7_Li1ELi1ELi0EEEJPfiEEEvT_T0_DpT1_.num_agpr, 0
	.set _ZN2at6native12_GLOBAL__N_125multi_tensor_apply_kernelINS1_18TensorListMetadataILi1EEENS0_13LpNormFunctorIN3c104HalfELNS0_8NormTypeE3ES7_Li1ELi1ELi0EEEJPfiEEEvT_T0_DpT1_.numbered_sgpr, 32
	.set _ZN2at6native12_GLOBAL__N_125multi_tensor_apply_kernelINS1_18TensorListMetadataILi1EEENS0_13LpNormFunctorIN3c104HalfELNS0_8NormTypeE3ES7_Li1ELi1ELi0EEEJPfiEEEvT_T0_DpT1_.num_named_barrier, 0
	.set _ZN2at6native12_GLOBAL__N_125multi_tensor_apply_kernelINS1_18TensorListMetadataILi1EEENS0_13LpNormFunctorIN3c104HalfELNS0_8NormTypeE3ES7_Li1ELi1ELi0EEEJPfiEEEvT_T0_DpT1_.private_seg_size, 0
	.set _ZN2at6native12_GLOBAL__N_125multi_tensor_apply_kernelINS1_18TensorListMetadataILi1EEENS0_13LpNormFunctorIN3c104HalfELNS0_8NormTypeE3ES7_Li1ELi1ELi0EEEJPfiEEEvT_T0_DpT1_.uses_vcc, 1
	.set _ZN2at6native12_GLOBAL__N_125multi_tensor_apply_kernelINS1_18TensorListMetadataILi1EEENS0_13LpNormFunctorIN3c104HalfELNS0_8NormTypeE3ES7_Li1ELi1ELi0EEEJPfiEEEvT_T0_DpT1_.uses_flat_scratch, 0
	.set _ZN2at6native12_GLOBAL__N_125multi_tensor_apply_kernelINS1_18TensorListMetadataILi1EEENS0_13LpNormFunctorIN3c104HalfELNS0_8NormTypeE3ES7_Li1ELi1ELi0EEEJPfiEEEvT_T0_DpT1_.has_dyn_sized_stack, 0
	.set _ZN2at6native12_GLOBAL__N_125multi_tensor_apply_kernelINS1_18TensorListMetadataILi1EEENS0_13LpNormFunctorIN3c104HalfELNS0_8NormTypeE3ES7_Li1ELi1ELi0EEEJPfiEEEvT_T0_DpT1_.has_recursion, 0
	.set _ZN2at6native12_GLOBAL__N_125multi_tensor_apply_kernelINS1_18TensorListMetadataILi1EEENS0_13LpNormFunctorIN3c104HalfELNS0_8NormTypeE3ES7_Li1ELi1ELi0EEEJPfiEEEvT_T0_DpT1_.has_indirect_call, 0
	.section	.AMDGPU.csdata,"",@progbits
; Kernel info:
; codeLenInByte = 1844
; TotalNumSgprs: 38
; NumVgprs: 16
; NumAgprs: 0
; TotalNumVgprs: 16
; ScratchSize: 0
; MemoryBound: 0
; FloatMode: 240
; IeeeMode: 1
; LDSByteSize: 2048 bytes/workgroup (compile time only)
; SGPRBlocks: 4
; VGPRBlocks: 1
; NumSGPRsForWavesPerEU: 38
; NumVGPRsForWavesPerEU: 16
; AccumOffset: 16
; Occupancy: 8
; WaveLimiterHint : 0
; COMPUTE_PGM_RSRC2:SCRATCH_EN: 0
; COMPUTE_PGM_RSRC2:USER_SGPR: 2
; COMPUTE_PGM_RSRC2:TRAP_HANDLER: 0
; COMPUTE_PGM_RSRC2:TGID_X_EN: 1
; COMPUTE_PGM_RSRC2:TGID_Y_EN: 0
; COMPUTE_PGM_RSRC2:TGID_Z_EN: 0
; COMPUTE_PGM_RSRC2:TIDIG_COMP_CNT: 0
; COMPUTE_PGM_RSRC3_GFX90A:ACCUM_OFFSET: 3
; COMPUTE_PGM_RSRC3_GFX90A:TG_SPLIT: 0
	.section	.text._ZN2at6native14lpnorm_cleanupIN3c104HalfELNS0_8NormTypeE0ES3_Lb1EfEEvPKT3_NS0_19TensorListAddressesEi,"axG",@progbits,_ZN2at6native14lpnorm_cleanupIN3c104HalfELNS0_8NormTypeE0ES3_Lb1EfEEvPKT3_NS0_19TensorListAddressesEi,comdat
	.protected	_ZN2at6native14lpnorm_cleanupIN3c104HalfELNS0_8NormTypeE0ES3_Lb1EfEEvPKT3_NS0_19TensorListAddressesEi ; -- Begin function _ZN2at6native14lpnorm_cleanupIN3c104HalfELNS0_8NormTypeE0ES3_Lb1EfEEvPKT3_NS0_19TensorListAddressesEi
	.globl	_ZN2at6native14lpnorm_cleanupIN3c104HalfELNS0_8NormTypeE0ES3_Lb1EfEEvPKT3_NS0_19TensorListAddressesEi
	.p2align	8
	.type	_ZN2at6native14lpnorm_cleanupIN3c104HalfELNS0_8NormTypeE0ES3_Lb1EfEEvPKT3_NS0_19TensorListAddressesEi,@function
_ZN2at6native14lpnorm_cleanupIN3c104HalfELNS0_8NormTypeE0ES3_Lb1EfEEvPKT3_NS0_19TensorListAddressesEi: ; @_ZN2at6native14lpnorm_cleanupIN3c104HalfELNS0_8NormTypeE0ES3_Lb1EfEEvPKT3_NS0_19TensorListAddressesEi
; %bb.0:
	s_load_dword s6, s[0:1], 0xc88
	v_mov_b32_e32 v1, 0
	s_waitcnt lgkmcnt(0)
	v_cmp_gt_u32_e32 vcc, s6, v0
	s_and_saveexec_b64 s[4:5], vcc
	s_cbranch_execz .LBB104_4
; %bb.1:
	s_load_dwordx2 s[12:13], s[0:1], 0x0
	s_load_dword s3, s[0:1], 0xc9c
	s_mul_i32 s8, s6, s2
	s_mov_b32 s9, 0
	s_ashr_i32 s7, s6, 31
	s_lshl_b64 s[14:15], s[8:9], 2
	s_waitcnt lgkmcnt(0)
	s_and_b32 s10, s3, 0xffff
	v_mov_b32_e32 v1, 0
	s_add_u32 s12, s12, s14
	v_lshlrev_b32_e32 v2, 2, v0
	v_mov_b32_e32 v3, v1
	s_addc_u32 s13, s13, s15
	s_mov_b32 s11, s9
	v_lshl_add_u64 v[2:3], s[12:13], 0, v[2:3]
	s_lshl_b32 s8, s10, 2
	s_mov_b64 s[12:13], 0
	v_mov_b64_e32 v[4:5], v[0:1]
.LBB104_2:                              ; =>This Inner Loop Header: Depth=1
	global_load_dword v6, v[2:3], off
	v_lshl_add_u64 v[4:5], v[4:5], 0, s[10:11]
	v_cmp_le_u64_e32 vcc, s[6:7], v[4:5]
	v_lshl_add_u64 v[2:3], v[2:3], 0, s[8:9]
	s_or_b64 s[12:13], vcc, s[12:13]
	s_waitcnt vmcnt(0)
	v_add_f32_e32 v1, v1, v6
	s_andn2_b64 exec, exec, s[12:13]
	s_cbranch_execnz .LBB104_2
; %bb.3:
	s_or_b64 exec, exec, s[12:13]
.LBB104_4:
	s_or_b64 exec, exec, s[4:5]
	v_mbcnt_lo_u32_b32 v2, -1, 0
	v_mbcnt_hi_u32_b32 v6, -1, v2
	v_mov_b32_e32 v2, 0x80
	v_lshl_or_b32 v2, v6, 2, v2
	ds_bpermute_b32 v3, v2, v1
	v_and_b32_e32 v7, 63, v6
	v_cmp_gt_u32_e32 vcc, 48, v7
	s_waitcnt lgkmcnt(0)
	s_barrier
	v_cndmask_b32_e64 v4, 0, 16, vcc
	v_add_f32_e32 v5, v1, v3
	v_add_lshl_u32 v1, v4, v6, 2
	ds_bpermute_b32 v4, v1, v5
	v_cmp_gt_u32_e32 vcc, 56, v7
	s_waitcnt lgkmcnt(0)
	v_add_f32_e32 v5, v5, v4
	v_cndmask_b32_e64 v3, 0, 8, vcc
	v_add_lshl_u32 v3, v3, v6, 2
	ds_bpermute_b32 v8, v3, v5
	v_cmp_gt_u32_e32 vcc, 60, v7
	s_waitcnt lgkmcnt(0)
	v_add_f32_e32 v8, v5, v8
	v_cndmask_b32_e64 v4, 0, 4, vcc
	;; [unrolled: 6-line block ×3, first 2 shown]
	v_add_lshl_u32 v5, v5, v6, 2
	ds_bpermute_b32 v10, v5, v9
	v_cmp_ne_u32_e32 vcc, 63, v7
	v_and_b32_e32 v8, 63, v0
	s_waitcnt lgkmcnt(0)
	v_add_f32_e32 v7, v9, v10
	v_addc_co_u32_e32 v6, vcc, 0, v6, vcc
	v_lshlrev_b32_e32 v6, 2, v6
	ds_bpermute_b32 v9, v6, v7
	v_cmp_eq_u32_e32 vcc, 0, v8
	s_and_saveexec_b64 s[4:5], vcc
	s_cbranch_execz .LBB104_6
; %bb.5:
	s_waitcnt lgkmcnt(0)
	v_add_f32_e32 v7, v7, v9
	v_lshrrev_b32_e32 v9, 4, v0
	ds_write_b32 v9, v7
.LBB104_6:
	s_or_b64 exec, exec, s[4:5]
	s_waitcnt lgkmcnt(0)
	s_barrier
	s_load_dword s3, s[0:1], 0xc9c
	v_mov_b32_e32 v7, 0
	s_waitcnt lgkmcnt(0)
	s_bfe_u32 s3, s3, 0xa0006
	v_cmp_gt_u32_e32 vcc, s3, v0
	s_and_saveexec_b64 s[4:5], vcc
; %bb.7:
	v_lshlrev_b32_e32 v7, 2, v8
	ds_read_b32 v7, v7
; %bb.8:
	s_or_b64 exec, exec, s[4:5]
	v_cmp_gt_u32_e32 vcc, 64, v0
	s_and_saveexec_b64 s[4:5], vcc
	s_cbranch_execz .LBB104_10
; %bb.9:
	s_waitcnt lgkmcnt(0)
	ds_bpermute_b32 v2, v2, v7
	s_waitcnt lgkmcnt(0)
	v_add_f32_e32 v2, v7, v2
	ds_bpermute_b32 v1, v1, v2
	s_waitcnt lgkmcnt(0)
	v_add_f32_e32 v1, v2, v1
	ds_bpermute_b32 v2, v3, v1
	s_waitcnt lgkmcnt(0)
	v_add_f32_e32 v1, v1, v2
	ds_bpermute_b32 v2, v4, v1
	s_waitcnt lgkmcnt(0)
	v_add_f32_e32 v1, v1, v2
	ds_bpermute_b32 v2, v5, v1
	s_waitcnt lgkmcnt(0)
	v_add_f32_e32 v1, v1, v2
	ds_bpermute_b32 v2, v6, v1
	s_waitcnt lgkmcnt(0)
	v_add_f32_e32 v7, v1, v2
.LBB104_10:
	s_or_b64 exec, exec, s[4:5]
	s_mov_b32 s3, 0
	v_cmp_eq_u32_e32 vcc, 0, v0
	s_and_saveexec_b64 s[4:5], vcc
	s_cbranch_execz .LBB104_12
; %bb.11:
	s_lshl_b64 s[2:3], s[2:3], 3
	s_add_u32 s0, s0, s2
	s_addc_u32 s1, s1, s3
	s_load_dwordx2 s[0:1], s[0:1], 0x8
	s_waitcnt lgkmcnt(0)
	v_cvt_f16_f32_e32 v0, v7
	v_mov_b32_e32 v1, 0
	global_store_short v1, v0, s[0:1]
.LBB104_12:
	s_endpgm
	.section	.rodata,"a",@progbits
	.p2align	6, 0x0
	.amdhsa_kernel _ZN2at6native14lpnorm_cleanupIN3c104HalfELNS0_8NormTypeE0ES3_Lb1EfEEvPKT3_NS0_19TensorListAddressesEi
		.amdhsa_group_segment_fixed_size 2048
		.amdhsa_private_segment_fixed_size 0
		.amdhsa_kernarg_size 3472
		.amdhsa_user_sgpr_count 2
		.amdhsa_user_sgpr_dispatch_ptr 0
		.amdhsa_user_sgpr_queue_ptr 0
		.amdhsa_user_sgpr_kernarg_segment_ptr 1
		.amdhsa_user_sgpr_dispatch_id 0
		.amdhsa_user_sgpr_kernarg_preload_length 0
		.amdhsa_user_sgpr_kernarg_preload_offset 0
		.amdhsa_user_sgpr_private_segment_size 0
		.amdhsa_uses_dynamic_stack 0
		.amdhsa_enable_private_segment 0
		.amdhsa_system_sgpr_workgroup_id_x 1
		.amdhsa_system_sgpr_workgroup_id_y 0
		.amdhsa_system_sgpr_workgroup_id_z 0
		.amdhsa_system_sgpr_workgroup_info 0
		.amdhsa_system_vgpr_workitem_id 0
		.amdhsa_next_free_vgpr 11
		.amdhsa_next_free_sgpr 16
		.amdhsa_accum_offset 12
		.amdhsa_reserve_vcc 1
		.amdhsa_float_round_mode_32 0
		.amdhsa_float_round_mode_16_64 0
		.amdhsa_float_denorm_mode_32 3
		.amdhsa_float_denorm_mode_16_64 3
		.amdhsa_dx10_clamp 1
		.amdhsa_ieee_mode 1
		.amdhsa_fp16_overflow 0
		.amdhsa_tg_split 0
		.amdhsa_exception_fp_ieee_invalid_op 0
		.amdhsa_exception_fp_denorm_src 0
		.amdhsa_exception_fp_ieee_div_zero 0
		.amdhsa_exception_fp_ieee_overflow 0
		.amdhsa_exception_fp_ieee_underflow 0
		.amdhsa_exception_fp_ieee_inexact 0
		.amdhsa_exception_int_div_zero 0
	.end_amdhsa_kernel
	.section	.text._ZN2at6native14lpnorm_cleanupIN3c104HalfELNS0_8NormTypeE0ES3_Lb1EfEEvPKT3_NS0_19TensorListAddressesEi,"axG",@progbits,_ZN2at6native14lpnorm_cleanupIN3c104HalfELNS0_8NormTypeE0ES3_Lb1EfEEvPKT3_NS0_19TensorListAddressesEi,comdat
.Lfunc_end104:
	.size	_ZN2at6native14lpnorm_cleanupIN3c104HalfELNS0_8NormTypeE0ES3_Lb1EfEEvPKT3_NS0_19TensorListAddressesEi, .Lfunc_end104-_ZN2at6native14lpnorm_cleanupIN3c104HalfELNS0_8NormTypeE0ES3_Lb1EfEEvPKT3_NS0_19TensorListAddressesEi
                                        ; -- End function
	.set _ZN2at6native14lpnorm_cleanupIN3c104HalfELNS0_8NormTypeE0ES3_Lb1EfEEvPKT3_NS0_19TensorListAddressesEi.num_vgpr, 11
	.set _ZN2at6native14lpnorm_cleanupIN3c104HalfELNS0_8NormTypeE0ES3_Lb1EfEEvPKT3_NS0_19TensorListAddressesEi.num_agpr, 0
	.set _ZN2at6native14lpnorm_cleanupIN3c104HalfELNS0_8NormTypeE0ES3_Lb1EfEEvPKT3_NS0_19TensorListAddressesEi.numbered_sgpr, 16
	.set _ZN2at6native14lpnorm_cleanupIN3c104HalfELNS0_8NormTypeE0ES3_Lb1EfEEvPKT3_NS0_19TensorListAddressesEi.num_named_barrier, 0
	.set _ZN2at6native14lpnorm_cleanupIN3c104HalfELNS0_8NormTypeE0ES3_Lb1EfEEvPKT3_NS0_19TensorListAddressesEi.private_seg_size, 0
	.set _ZN2at6native14lpnorm_cleanupIN3c104HalfELNS0_8NormTypeE0ES3_Lb1EfEEvPKT3_NS0_19TensorListAddressesEi.uses_vcc, 1
	.set _ZN2at6native14lpnorm_cleanupIN3c104HalfELNS0_8NormTypeE0ES3_Lb1EfEEvPKT3_NS0_19TensorListAddressesEi.uses_flat_scratch, 0
	.set _ZN2at6native14lpnorm_cleanupIN3c104HalfELNS0_8NormTypeE0ES3_Lb1EfEEvPKT3_NS0_19TensorListAddressesEi.has_dyn_sized_stack, 0
	.set _ZN2at6native14lpnorm_cleanupIN3c104HalfELNS0_8NormTypeE0ES3_Lb1EfEEvPKT3_NS0_19TensorListAddressesEi.has_recursion, 0
	.set _ZN2at6native14lpnorm_cleanupIN3c104HalfELNS0_8NormTypeE0ES3_Lb1EfEEvPKT3_NS0_19TensorListAddressesEi.has_indirect_call, 0
	.section	.AMDGPU.csdata,"",@progbits
; Kernel info:
; codeLenInByte = 664
; TotalNumSgprs: 22
; NumVgprs: 11
; NumAgprs: 0
; TotalNumVgprs: 11
; ScratchSize: 0
; MemoryBound: 0
; FloatMode: 240
; IeeeMode: 1
; LDSByteSize: 2048 bytes/workgroup (compile time only)
; SGPRBlocks: 2
; VGPRBlocks: 1
; NumSGPRsForWavesPerEU: 22
; NumVGPRsForWavesPerEU: 11
; AccumOffset: 12
; Occupancy: 8
; WaveLimiterHint : 0
; COMPUTE_PGM_RSRC2:SCRATCH_EN: 0
; COMPUTE_PGM_RSRC2:USER_SGPR: 2
; COMPUTE_PGM_RSRC2:TRAP_HANDLER: 0
; COMPUTE_PGM_RSRC2:TGID_X_EN: 1
; COMPUTE_PGM_RSRC2:TGID_Y_EN: 0
; COMPUTE_PGM_RSRC2:TGID_Z_EN: 0
; COMPUTE_PGM_RSRC2:TIDIG_COMP_CNT: 0
; COMPUTE_PGM_RSRC3_GFX90A:ACCUM_OFFSET: 2
; COMPUTE_PGM_RSRC3_GFX90A:TG_SPLIT: 0
	.section	.text._ZN2at6native14lpnorm_cleanupIN3c104HalfELNS0_8NormTypeE1ES3_Lb1EfEEvPKT3_NS0_19TensorListAddressesEi,"axG",@progbits,_ZN2at6native14lpnorm_cleanupIN3c104HalfELNS0_8NormTypeE1ES3_Lb1EfEEvPKT3_NS0_19TensorListAddressesEi,comdat
	.protected	_ZN2at6native14lpnorm_cleanupIN3c104HalfELNS0_8NormTypeE1ES3_Lb1EfEEvPKT3_NS0_19TensorListAddressesEi ; -- Begin function _ZN2at6native14lpnorm_cleanupIN3c104HalfELNS0_8NormTypeE1ES3_Lb1EfEEvPKT3_NS0_19TensorListAddressesEi
	.globl	_ZN2at6native14lpnorm_cleanupIN3c104HalfELNS0_8NormTypeE1ES3_Lb1EfEEvPKT3_NS0_19TensorListAddressesEi
	.p2align	8
	.type	_ZN2at6native14lpnorm_cleanupIN3c104HalfELNS0_8NormTypeE1ES3_Lb1EfEEvPKT3_NS0_19TensorListAddressesEi,@function
_ZN2at6native14lpnorm_cleanupIN3c104HalfELNS0_8NormTypeE1ES3_Lb1EfEEvPKT3_NS0_19TensorListAddressesEi: ; @_ZN2at6native14lpnorm_cleanupIN3c104HalfELNS0_8NormTypeE1ES3_Lb1EfEEvPKT3_NS0_19TensorListAddressesEi
; %bb.0:
	s_load_dword s6, s[0:1], 0xc88
	v_mov_b32_e32 v1, 0
	s_waitcnt lgkmcnt(0)
	v_cmp_gt_u32_e32 vcc, s6, v0
	s_and_saveexec_b64 s[4:5], vcc
	s_cbranch_execz .LBB105_4
; %bb.1:
	s_load_dwordx2 s[12:13], s[0:1], 0x0
	s_load_dword s3, s[0:1], 0xc9c
	s_mul_i32 s8, s6, s2
	s_mov_b32 s9, 0
	s_ashr_i32 s7, s6, 31
	s_lshl_b64 s[14:15], s[8:9], 2
	s_waitcnt lgkmcnt(0)
	s_and_b32 s10, s3, 0xffff
	v_mov_b32_e32 v1, 0
	s_add_u32 s12, s12, s14
	v_lshlrev_b32_e32 v2, 2, v0
	v_mov_b32_e32 v3, v1
	s_addc_u32 s13, s13, s15
	s_mov_b32 s11, s9
	v_lshl_add_u64 v[2:3], s[12:13], 0, v[2:3]
	s_lshl_b32 s8, s10, 2
	s_mov_b64 s[12:13], 0
	v_mov_b64_e32 v[4:5], v[0:1]
.LBB105_2:                              ; =>This Inner Loop Header: Depth=1
	global_load_dword v6, v[2:3], off
	v_lshl_add_u64 v[4:5], v[4:5], 0, s[10:11]
	v_cmp_le_u64_e32 vcc, s[6:7], v[4:5]
	v_lshl_add_u64 v[2:3], v[2:3], 0, s[8:9]
	s_or_b64 s[12:13], vcc, s[12:13]
	s_waitcnt vmcnt(0)
	v_add_f32_e32 v1, v1, v6
	s_andn2_b64 exec, exec, s[12:13]
	s_cbranch_execnz .LBB105_2
; %bb.3:
	s_or_b64 exec, exec, s[12:13]
.LBB105_4:
	s_or_b64 exec, exec, s[4:5]
	v_mbcnt_lo_u32_b32 v2, -1, 0
	v_mbcnt_hi_u32_b32 v6, -1, v2
	v_mov_b32_e32 v2, 0x80
	v_lshl_or_b32 v2, v6, 2, v2
	ds_bpermute_b32 v3, v2, v1
	v_and_b32_e32 v7, 63, v6
	v_cmp_gt_u32_e32 vcc, 48, v7
	s_waitcnt lgkmcnt(0)
	s_barrier
	v_cndmask_b32_e64 v4, 0, 16, vcc
	v_add_f32_e32 v5, v1, v3
	v_add_lshl_u32 v1, v4, v6, 2
	ds_bpermute_b32 v4, v1, v5
	v_cmp_gt_u32_e32 vcc, 56, v7
	s_waitcnt lgkmcnt(0)
	v_add_f32_e32 v5, v5, v4
	v_cndmask_b32_e64 v3, 0, 8, vcc
	v_add_lshl_u32 v3, v3, v6, 2
	ds_bpermute_b32 v8, v3, v5
	v_cmp_gt_u32_e32 vcc, 60, v7
	s_waitcnt lgkmcnt(0)
	v_add_f32_e32 v8, v5, v8
	v_cndmask_b32_e64 v4, 0, 4, vcc
	;; [unrolled: 6-line block ×3, first 2 shown]
	v_add_lshl_u32 v5, v5, v6, 2
	ds_bpermute_b32 v10, v5, v9
	v_cmp_ne_u32_e32 vcc, 63, v7
	v_and_b32_e32 v8, 63, v0
	s_waitcnt lgkmcnt(0)
	v_add_f32_e32 v7, v9, v10
	v_addc_co_u32_e32 v6, vcc, 0, v6, vcc
	v_lshlrev_b32_e32 v6, 2, v6
	ds_bpermute_b32 v9, v6, v7
	v_cmp_eq_u32_e32 vcc, 0, v8
	s_and_saveexec_b64 s[4:5], vcc
	s_cbranch_execz .LBB105_6
; %bb.5:
	s_waitcnt lgkmcnt(0)
	v_add_f32_e32 v7, v7, v9
	v_lshrrev_b32_e32 v9, 4, v0
	ds_write_b32 v9, v7
.LBB105_6:
	s_or_b64 exec, exec, s[4:5]
	s_waitcnt lgkmcnt(0)
	s_barrier
	s_load_dword s3, s[0:1], 0xc9c
	v_mov_b32_e32 v7, 0
	s_waitcnt lgkmcnt(0)
	s_bfe_u32 s3, s3, 0xa0006
	v_cmp_gt_u32_e32 vcc, s3, v0
	s_and_saveexec_b64 s[4:5], vcc
; %bb.7:
	v_lshlrev_b32_e32 v7, 2, v8
	ds_read_b32 v7, v7
; %bb.8:
	s_or_b64 exec, exec, s[4:5]
	v_cmp_gt_u32_e32 vcc, 64, v0
	s_and_saveexec_b64 s[4:5], vcc
	s_cbranch_execz .LBB105_10
; %bb.9:
	s_waitcnt lgkmcnt(0)
	ds_bpermute_b32 v2, v2, v7
	s_waitcnt lgkmcnt(0)
	v_add_f32_e32 v2, v7, v2
	ds_bpermute_b32 v1, v1, v2
	s_waitcnt lgkmcnt(0)
	v_add_f32_e32 v1, v2, v1
	;; [unrolled: 3-line block ×6, first 2 shown]
.LBB105_10:
	s_or_b64 exec, exec, s[4:5]
	s_mov_b32 s3, 0
	v_cmp_eq_u32_e32 vcc, 0, v0
	s_and_saveexec_b64 s[4:5], vcc
	s_cbranch_execz .LBB105_12
; %bb.11:
	s_lshl_b64 s[2:3], s[2:3], 3
	s_add_u32 s0, s0, s2
	s_addc_u32 s1, s1, s3
	s_load_dwordx2 s[0:1], s[0:1], 0x8
	s_waitcnt lgkmcnt(0)
	v_cvt_f16_f32_e32 v0, v7
	v_mov_b32_e32 v1, 0
	global_store_short v1, v0, s[0:1]
.LBB105_12:
	s_endpgm
	.section	.rodata,"a",@progbits
	.p2align	6, 0x0
	.amdhsa_kernel _ZN2at6native14lpnorm_cleanupIN3c104HalfELNS0_8NormTypeE1ES3_Lb1EfEEvPKT3_NS0_19TensorListAddressesEi
		.amdhsa_group_segment_fixed_size 2048
		.amdhsa_private_segment_fixed_size 0
		.amdhsa_kernarg_size 3472
		.amdhsa_user_sgpr_count 2
		.amdhsa_user_sgpr_dispatch_ptr 0
		.amdhsa_user_sgpr_queue_ptr 0
		.amdhsa_user_sgpr_kernarg_segment_ptr 1
		.amdhsa_user_sgpr_dispatch_id 0
		.amdhsa_user_sgpr_kernarg_preload_length 0
		.amdhsa_user_sgpr_kernarg_preload_offset 0
		.amdhsa_user_sgpr_private_segment_size 0
		.amdhsa_uses_dynamic_stack 0
		.amdhsa_enable_private_segment 0
		.amdhsa_system_sgpr_workgroup_id_x 1
		.amdhsa_system_sgpr_workgroup_id_y 0
		.amdhsa_system_sgpr_workgroup_id_z 0
		.amdhsa_system_sgpr_workgroup_info 0
		.amdhsa_system_vgpr_workitem_id 0
		.amdhsa_next_free_vgpr 11
		.amdhsa_next_free_sgpr 16
		.amdhsa_accum_offset 12
		.amdhsa_reserve_vcc 1
		.amdhsa_float_round_mode_32 0
		.amdhsa_float_round_mode_16_64 0
		.amdhsa_float_denorm_mode_32 3
		.amdhsa_float_denorm_mode_16_64 3
		.amdhsa_dx10_clamp 1
		.amdhsa_ieee_mode 1
		.amdhsa_fp16_overflow 0
		.amdhsa_tg_split 0
		.amdhsa_exception_fp_ieee_invalid_op 0
		.amdhsa_exception_fp_denorm_src 0
		.amdhsa_exception_fp_ieee_div_zero 0
		.amdhsa_exception_fp_ieee_overflow 0
		.amdhsa_exception_fp_ieee_underflow 0
		.amdhsa_exception_fp_ieee_inexact 0
		.amdhsa_exception_int_div_zero 0
	.end_amdhsa_kernel
	.section	.text._ZN2at6native14lpnorm_cleanupIN3c104HalfELNS0_8NormTypeE1ES3_Lb1EfEEvPKT3_NS0_19TensorListAddressesEi,"axG",@progbits,_ZN2at6native14lpnorm_cleanupIN3c104HalfELNS0_8NormTypeE1ES3_Lb1EfEEvPKT3_NS0_19TensorListAddressesEi,comdat
.Lfunc_end105:
	.size	_ZN2at6native14lpnorm_cleanupIN3c104HalfELNS0_8NormTypeE1ES3_Lb1EfEEvPKT3_NS0_19TensorListAddressesEi, .Lfunc_end105-_ZN2at6native14lpnorm_cleanupIN3c104HalfELNS0_8NormTypeE1ES3_Lb1EfEEvPKT3_NS0_19TensorListAddressesEi
                                        ; -- End function
	.set _ZN2at6native14lpnorm_cleanupIN3c104HalfELNS0_8NormTypeE1ES3_Lb1EfEEvPKT3_NS0_19TensorListAddressesEi.num_vgpr, 11
	.set _ZN2at6native14lpnorm_cleanupIN3c104HalfELNS0_8NormTypeE1ES3_Lb1EfEEvPKT3_NS0_19TensorListAddressesEi.num_agpr, 0
	.set _ZN2at6native14lpnorm_cleanupIN3c104HalfELNS0_8NormTypeE1ES3_Lb1EfEEvPKT3_NS0_19TensorListAddressesEi.numbered_sgpr, 16
	.set _ZN2at6native14lpnorm_cleanupIN3c104HalfELNS0_8NormTypeE1ES3_Lb1EfEEvPKT3_NS0_19TensorListAddressesEi.num_named_barrier, 0
	.set _ZN2at6native14lpnorm_cleanupIN3c104HalfELNS0_8NormTypeE1ES3_Lb1EfEEvPKT3_NS0_19TensorListAddressesEi.private_seg_size, 0
	.set _ZN2at6native14lpnorm_cleanupIN3c104HalfELNS0_8NormTypeE1ES3_Lb1EfEEvPKT3_NS0_19TensorListAddressesEi.uses_vcc, 1
	.set _ZN2at6native14lpnorm_cleanupIN3c104HalfELNS0_8NormTypeE1ES3_Lb1EfEEvPKT3_NS0_19TensorListAddressesEi.uses_flat_scratch, 0
	.set _ZN2at6native14lpnorm_cleanupIN3c104HalfELNS0_8NormTypeE1ES3_Lb1EfEEvPKT3_NS0_19TensorListAddressesEi.has_dyn_sized_stack, 0
	.set _ZN2at6native14lpnorm_cleanupIN3c104HalfELNS0_8NormTypeE1ES3_Lb1EfEEvPKT3_NS0_19TensorListAddressesEi.has_recursion, 0
	.set _ZN2at6native14lpnorm_cleanupIN3c104HalfELNS0_8NormTypeE1ES3_Lb1EfEEvPKT3_NS0_19TensorListAddressesEi.has_indirect_call, 0
	.section	.AMDGPU.csdata,"",@progbits
; Kernel info:
; codeLenInByte = 664
; TotalNumSgprs: 22
; NumVgprs: 11
; NumAgprs: 0
; TotalNumVgprs: 11
; ScratchSize: 0
; MemoryBound: 0
; FloatMode: 240
; IeeeMode: 1
; LDSByteSize: 2048 bytes/workgroup (compile time only)
; SGPRBlocks: 2
; VGPRBlocks: 1
; NumSGPRsForWavesPerEU: 22
; NumVGPRsForWavesPerEU: 11
; AccumOffset: 12
; Occupancy: 8
; WaveLimiterHint : 0
; COMPUTE_PGM_RSRC2:SCRATCH_EN: 0
; COMPUTE_PGM_RSRC2:USER_SGPR: 2
; COMPUTE_PGM_RSRC2:TRAP_HANDLER: 0
; COMPUTE_PGM_RSRC2:TGID_X_EN: 1
; COMPUTE_PGM_RSRC2:TGID_Y_EN: 0
; COMPUTE_PGM_RSRC2:TGID_Z_EN: 0
; COMPUTE_PGM_RSRC2:TIDIG_COMP_CNT: 0
; COMPUTE_PGM_RSRC3_GFX90A:ACCUM_OFFSET: 2
; COMPUTE_PGM_RSRC3_GFX90A:TG_SPLIT: 0
	.section	.text._ZN2at6native14lpnorm_cleanupIN3c104HalfELNS0_8NormTypeE2ES3_Lb1EfEEvPKT3_NS0_19TensorListAddressesEi,"axG",@progbits,_ZN2at6native14lpnorm_cleanupIN3c104HalfELNS0_8NormTypeE2ES3_Lb1EfEEvPKT3_NS0_19TensorListAddressesEi,comdat
	.protected	_ZN2at6native14lpnorm_cleanupIN3c104HalfELNS0_8NormTypeE2ES3_Lb1EfEEvPKT3_NS0_19TensorListAddressesEi ; -- Begin function _ZN2at6native14lpnorm_cleanupIN3c104HalfELNS0_8NormTypeE2ES3_Lb1EfEEvPKT3_NS0_19TensorListAddressesEi
	.globl	_ZN2at6native14lpnorm_cleanupIN3c104HalfELNS0_8NormTypeE2ES3_Lb1EfEEvPKT3_NS0_19TensorListAddressesEi
	.p2align	8
	.type	_ZN2at6native14lpnorm_cleanupIN3c104HalfELNS0_8NormTypeE2ES3_Lb1EfEEvPKT3_NS0_19TensorListAddressesEi,@function
_ZN2at6native14lpnorm_cleanupIN3c104HalfELNS0_8NormTypeE2ES3_Lb1EfEEvPKT3_NS0_19TensorListAddressesEi: ; @_ZN2at6native14lpnorm_cleanupIN3c104HalfELNS0_8NormTypeE2ES3_Lb1EfEEvPKT3_NS0_19TensorListAddressesEi
; %bb.0:
	s_load_dword s6, s[0:1], 0xc88
	v_mov_b32_e32 v1, 0
	s_waitcnt lgkmcnt(0)
	v_cmp_gt_u32_e32 vcc, s6, v0
	s_and_saveexec_b64 s[4:5], vcc
	s_cbranch_execz .LBB106_4
; %bb.1:
	s_load_dwordx2 s[12:13], s[0:1], 0x0
	s_load_dword s3, s[0:1], 0xc9c
	s_mul_i32 s8, s6, s2
	s_mov_b32 s9, 0
	s_ashr_i32 s7, s6, 31
	s_lshl_b64 s[14:15], s[8:9], 2
	s_waitcnt lgkmcnt(0)
	s_and_b32 s10, s3, 0xffff
	v_mov_b32_e32 v1, 0
	s_add_u32 s12, s12, s14
	v_lshlrev_b32_e32 v2, 2, v0
	v_mov_b32_e32 v3, v1
	s_addc_u32 s13, s13, s15
	s_mov_b32 s11, s9
	v_lshl_add_u64 v[2:3], s[12:13], 0, v[2:3]
	s_lshl_b32 s8, s10, 2
	s_mov_b64 s[12:13], 0
	v_mov_b64_e32 v[4:5], v[0:1]
.LBB106_2:                              ; =>This Inner Loop Header: Depth=1
	global_load_dword v6, v[2:3], off
	v_lshl_add_u64 v[4:5], v[4:5], 0, s[10:11]
	v_cmp_le_u64_e32 vcc, s[6:7], v[4:5]
	v_lshl_add_u64 v[2:3], v[2:3], 0, s[8:9]
	s_or_b64 s[12:13], vcc, s[12:13]
	s_waitcnt vmcnt(0)
	v_add_f32_e32 v1, v1, v6
	s_andn2_b64 exec, exec, s[12:13]
	s_cbranch_execnz .LBB106_2
; %bb.3:
	s_or_b64 exec, exec, s[12:13]
.LBB106_4:
	s_or_b64 exec, exec, s[4:5]
	v_mbcnt_lo_u32_b32 v2, -1, 0
	v_mbcnt_hi_u32_b32 v6, -1, v2
	v_mov_b32_e32 v2, 0x80
	v_lshl_or_b32 v2, v6, 2, v2
	ds_bpermute_b32 v3, v2, v1
	v_and_b32_e32 v7, 63, v6
	v_cmp_gt_u32_e32 vcc, 48, v7
	s_waitcnt lgkmcnt(0)
	s_barrier
	v_cndmask_b32_e64 v4, 0, 16, vcc
	v_add_f32_e32 v5, v1, v3
	v_add_lshl_u32 v1, v4, v6, 2
	ds_bpermute_b32 v4, v1, v5
	v_cmp_gt_u32_e32 vcc, 56, v7
	s_waitcnt lgkmcnt(0)
	v_add_f32_e32 v5, v5, v4
	v_cndmask_b32_e64 v3, 0, 8, vcc
	v_add_lshl_u32 v3, v3, v6, 2
	ds_bpermute_b32 v8, v3, v5
	v_cmp_gt_u32_e32 vcc, 60, v7
	s_waitcnt lgkmcnt(0)
	v_add_f32_e32 v8, v5, v8
	v_cndmask_b32_e64 v4, 0, 4, vcc
	;; [unrolled: 6-line block ×3, first 2 shown]
	v_add_lshl_u32 v5, v5, v6, 2
	ds_bpermute_b32 v10, v5, v9
	v_cmp_ne_u32_e32 vcc, 63, v7
	v_and_b32_e32 v8, 63, v0
	s_waitcnt lgkmcnt(0)
	v_add_f32_e32 v7, v9, v10
	v_addc_co_u32_e32 v6, vcc, 0, v6, vcc
	v_lshlrev_b32_e32 v6, 2, v6
	ds_bpermute_b32 v9, v6, v7
	v_cmp_eq_u32_e32 vcc, 0, v8
	s_and_saveexec_b64 s[4:5], vcc
	s_cbranch_execz .LBB106_6
; %bb.5:
	s_waitcnt lgkmcnt(0)
	v_add_f32_e32 v7, v7, v9
	v_lshrrev_b32_e32 v9, 4, v0
	ds_write_b32 v9, v7
.LBB106_6:
	s_or_b64 exec, exec, s[4:5]
	s_waitcnt lgkmcnt(0)
	s_barrier
	s_load_dword s3, s[0:1], 0xc9c
	v_mov_b32_e32 v7, 0
	s_waitcnt lgkmcnt(0)
	s_bfe_u32 s3, s3, 0xa0006
	v_cmp_gt_u32_e32 vcc, s3, v0
	s_and_saveexec_b64 s[4:5], vcc
; %bb.7:
	v_lshlrev_b32_e32 v7, 2, v8
	ds_read_b32 v7, v7
; %bb.8:
	s_or_b64 exec, exec, s[4:5]
	v_cmp_gt_u32_e32 vcc, 64, v0
	s_and_saveexec_b64 s[4:5], vcc
	s_cbranch_execz .LBB106_10
; %bb.9:
	s_waitcnt lgkmcnt(0)
	ds_bpermute_b32 v2, v2, v7
	s_waitcnt lgkmcnt(0)
	v_add_f32_e32 v2, v7, v2
	ds_bpermute_b32 v1, v1, v2
	s_waitcnt lgkmcnt(0)
	v_add_f32_e32 v1, v2, v1
	;; [unrolled: 3-line block ×6, first 2 shown]
.LBB106_10:
	s_or_b64 exec, exec, s[4:5]
	s_mov_b32 s3, 0
	v_cmp_eq_u32_e32 vcc, 0, v0
	s_and_saveexec_b64 s[4:5], vcc
	s_cbranch_execz .LBB106_12
; %bb.11:
	s_mov_b32 s4, 0xf800000
	s_waitcnt lgkmcnt(0)
	v_mul_f32_e32 v0, 0x4f800000, v7
	v_cmp_gt_f32_e32 vcc, s4, v7
	s_lshl_b64 s[2:3], s[2:3], 3
	s_add_u32 s2, s0, s2
	v_cndmask_b32_e32 v0, v7, v0, vcc
	v_sqrt_f32_e32 v1, v0
	s_addc_u32 s3, s1, s3
	v_add_u32_e32 v2, -1, v1
	v_fma_f32 v3, -v2, v1, v0
	v_cmp_ge_f32_e64 s[0:1], 0, v3
	v_add_u32_e32 v3, 1, v1
	s_nop 0
	v_cndmask_b32_e64 v2, v1, v2, s[0:1]
	v_fma_f32 v1, -v3, v1, v0
	v_cmp_lt_f32_e64 s[0:1], 0, v1
	s_nop 1
	v_cndmask_b32_e64 v1, v2, v3, s[0:1]
	v_mul_f32_e32 v2, 0x37800000, v1
	v_cndmask_b32_e32 v1, v1, v2, vcc
	v_mov_b32_e32 v2, 0x260
	v_cmp_class_f32_e32 vcc, v0, v2
	s_load_dwordx2 s[0:1], s[2:3], 0x8
	s_nop 0
	v_cndmask_b32_e32 v0, v1, v0, vcc
	v_cvt_f16_f32_e32 v0, v0
	v_mov_b32_e32 v1, 0
	s_waitcnt lgkmcnt(0)
	global_store_short v1, v0, s[0:1]
.LBB106_12:
	s_endpgm
	.section	.rodata,"a",@progbits
	.p2align	6, 0x0
	.amdhsa_kernel _ZN2at6native14lpnorm_cleanupIN3c104HalfELNS0_8NormTypeE2ES3_Lb1EfEEvPKT3_NS0_19TensorListAddressesEi
		.amdhsa_group_segment_fixed_size 2048
		.amdhsa_private_segment_fixed_size 0
		.amdhsa_kernarg_size 3472
		.amdhsa_user_sgpr_count 2
		.amdhsa_user_sgpr_dispatch_ptr 0
		.amdhsa_user_sgpr_queue_ptr 0
		.amdhsa_user_sgpr_kernarg_segment_ptr 1
		.amdhsa_user_sgpr_dispatch_id 0
		.amdhsa_user_sgpr_kernarg_preload_length 0
		.amdhsa_user_sgpr_kernarg_preload_offset 0
		.amdhsa_user_sgpr_private_segment_size 0
		.amdhsa_uses_dynamic_stack 0
		.amdhsa_enable_private_segment 0
		.amdhsa_system_sgpr_workgroup_id_x 1
		.amdhsa_system_sgpr_workgroup_id_y 0
		.amdhsa_system_sgpr_workgroup_id_z 0
		.amdhsa_system_sgpr_workgroup_info 0
		.amdhsa_system_vgpr_workitem_id 0
		.amdhsa_next_free_vgpr 11
		.amdhsa_next_free_sgpr 16
		.amdhsa_accum_offset 12
		.amdhsa_reserve_vcc 1
		.amdhsa_float_round_mode_32 0
		.amdhsa_float_round_mode_16_64 0
		.amdhsa_float_denorm_mode_32 3
		.amdhsa_float_denorm_mode_16_64 3
		.amdhsa_dx10_clamp 1
		.amdhsa_ieee_mode 1
		.amdhsa_fp16_overflow 0
		.amdhsa_tg_split 0
		.amdhsa_exception_fp_ieee_invalid_op 0
		.amdhsa_exception_fp_denorm_src 0
		.amdhsa_exception_fp_ieee_div_zero 0
		.amdhsa_exception_fp_ieee_overflow 0
		.amdhsa_exception_fp_ieee_underflow 0
		.amdhsa_exception_fp_ieee_inexact 0
		.amdhsa_exception_int_div_zero 0
	.end_amdhsa_kernel
	.section	.text._ZN2at6native14lpnorm_cleanupIN3c104HalfELNS0_8NormTypeE2ES3_Lb1EfEEvPKT3_NS0_19TensorListAddressesEi,"axG",@progbits,_ZN2at6native14lpnorm_cleanupIN3c104HalfELNS0_8NormTypeE2ES3_Lb1EfEEvPKT3_NS0_19TensorListAddressesEi,comdat
.Lfunc_end106:
	.size	_ZN2at6native14lpnorm_cleanupIN3c104HalfELNS0_8NormTypeE2ES3_Lb1EfEEvPKT3_NS0_19TensorListAddressesEi, .Lfunc_end106-_ZN2at6native14lpnorm_cleanupIN3c104HalfELNS0_8NormTypeE2ES3_Lb1EfEEvPKT3_NS0_19TensorListAddressesEi
                                        ; -- End function
	.set _ZN2at6native14lpnorm_cleanupIN3c104HalfELNS0_8NormTypeE2ES3_Lb1EfEEvPKT3_NS0_19TensorListAddressesEi.num_vgpr, 11
	.set _ZN2at6native14lpnorm_cleanupIN3c104HalfELNS0_8NormTypeE2ES3_Lb1EfEEvPKT3_NS0_19TensorListAddressesEi.num_agpr, 0
	.set _ZN2at6native14lpnorm_cleanupIN3c104HalfELNS0_8NormTypeE2ES3_Lb1EfEEvPKT3_NS0_19TensorListAddressesEi.numbered_sgpr, 16
	.set _ZN2at6native14lpnorm_cleanupIN3c104HalfELNS0_8NormTypeE2ES3_Lb1EfEEvPKT3_NS0_19TensorListAddressesEi.num_named_barrier, 0
	.set _ZN2at6native14lpnorm_cleanupIN3c104HalfELNS0_8NormTypeE2ES3_Lb1EfEEvPKT3_NS0_19TensorListAddressesEi.private_seg_size, 0
	.set _ZN2at6native14lpnorm_cleanupIN3c104HalfELNS0_8NormTypeE2ES3_Lb1EfEEvPKT3_NS0_19TensorListAddressesEi.uses_vcc, 1
	.set _ZN2at6native14lpnorm_cleanupIN3c104HalfELNS0_8NormTypeE2ES3_Lb1EfEEvPKT3_NS0_19TensorListAddressesEi.uses_flat_scratch, 0
	.set _ZN2at6native14lpnorm_cleanupIN3c104HalfELNS0_8NormTypeE2ES3_Lb1EfEEvPKT3_NS0_19TensorListAddressesEi.has_dyn_sized_stack, 0
	.set _ZN2at6native14lpnorm_cleanupIN3c104HalfELNS0_8NormTypeE2ES3_Lb1EfEEvPKT3_NS0_19TensorListAddressesEi.has_recursion, 0
	.set _ZN2at6native14lpnorm_cleanupIN3c104HalfELNS0_8NormTypeE2ES3_Lb1EfEEvPKT3_NS0_19TensorListAddressesEi.has_indirect_call, 0
	.section	.AMDGPU.csdata,"",@progbits
; Kernel info:
; codeLenInByte = 792
; TotalNumSgprs: 22
; NumVgprs: 11
; NumAgprs: 0
; TotalNumVgprs: 11
; ScratchSize: 0
; MemoryBound: 0
; FloatMode: 240
; IeeeMode: 1
; LDSByteSize: 2048 bytes/workgroup (compile time only)
; SGPRBlocks: 2
; VGPRBlocks: 1
; NumSGPRsForWavesPerEU: 22
; NumVGPRsForWavesPerEU: 11
; AccumOffset: 12
; Occupancy: 8
; WaveLimiterHint : 0
; COMPUTE_PGM_RSRC2:SCRATCH_EN: 0
; COMPUTE_PGM_RSRC2:USER_SGPR: 2
; COMPUTE_PGM_RSRC2:TRAP_HANDLER: 0
; COMPUTE_PGM_RSRC2:TGID_X_EN: 1
; COMPUTE_PGM_RSRC2:TGID_Y_EN: 0
; COMPUTE_PGM_RSRC2:TGID_Z_EN: 0
; COMPUTE_PGM_RSRC2:TIDIG_COMP_CNT: 0
; COMPUTE_PGM_RSRC3_GFX90A:ACCUM_OFFSET: 2
; COMPUTE_PGM_RSRC3_GFX90A:TG_SPLIT: 0
	.section	.text._ZN2at6native14lpnorm_cleanupIN3c104HalfELNS0_8NormTypeE3ES3_Lb1EfEEvPKT3_NS0_19TensorListAddressesEi,"axG",@progbits,_ZN2at6native14lpnorm_cleanupIN3c104HalfELNS0_8NormTypeE3ES3_Lb1EfEEvPKT3_NS0_19TensorListAddressesEi,comdat
	.protected	_ZN2at6native14lpnorm_cleanupIN3c104HalfELNS0_8NormTypeE3ES3_Lb1EfEEvPKT3_NS0_19TensorListAddressesEi ; -- Begin function _ZN2at6native14lpnorm_cleanupIN3c104HalfELNS0_8NormTypeE3ES3_Lb1EfEEvPKT3_NS0_19TensorListAddressesEi
	.globl	_ZN2at6native14lpnorm_cleanupIN3c104HalfELNS0_8NormTypeE3ES3_Lb1EfEEvPKT3_NS0_19TensorListAddressesEi
	.p2align	8
	.type	_ZN2at6native14lpnorm_cleanupIN3c104HalfELNS0_8NormTypeE3ES3_Lb1EfEEvPKT3_NS0_19TensorListAddressesEi,@function
_ZN2at6native14lpnorm_cleanupIN3c104HalfELNS0_8NormTypeE3ES3_Lb1EfEEvPKT3_NS0_19TensorListAddressesEi: ; @_ZN2at6native14lpnorm_cleanupIN3c104HalfELNS0_8NormTypeE3ES3_Lb1EfEEvPKT3_NS0_19TensorListAddressesEi
; %bb.0:
	s_load_dword s10, s[0:1], 0xc88
	v_mov_b32_e32 v1, 0
	s_waitcnt lgkmcnt(0)
	v_cmp_gt_u32_e32 vcc, s10, v0
	s_and_saveexec_b64 s[8:9], vcc
	s_cbranch_execz .LBB107_4
; %bb.1:
	s_load_dwordx2 s[4:5], s[0:1], 0x0
	s_load_dword s3, s[0:1], 0xc9c
	s_mul_i32 s12, s10, s2
	s_mov_b32 s13, 0
	s_ashr_i32 s11, s10, 31
	s_lshl_b64 s[6:7], s[12:13], 2
	s_waitcnt lgkmcnt(0)
	s_and_b32 s14, s3, 0xffff
	v_mov_b32_e32 v1, 0
	s_add_u32 s4, s4, s6
	v_lshlrev_b32_e32 v2, 2, v0
	v_mov_b32_e32 v3, v1
	s_addc_u32 s5, s5, s7
	s_mov_b32 s15, s13
	v_lshl_add_u64 v[2:3], s[4:5], 0, v[2:3]
	s_lshl_b32 s12, s14, 2
	s_mov_b64 s[16:17], 0
	v_mov_b64_e32 v[4:5], v[0:1]
.LBB107_2:                              ; =>This Inner Loop Header: Depth=1
	global_load_dword v6, v[2:3], off
	v_lshl_add_u64 v[4:5], v[4:5], 0, s[14:15]
	v_cmp_le_u64_e32 vcc, s[10:11], v[4:5]
	v_lshl_add_u64 v[2:3], v[2:3], 0, s[12:13]
	s_waitcnt vmcnt(0)
	v_cmp_u_f32_e64 s[4:5], v6, v6
	v_cmp_lt_f32_e64 s[6:7], v1, v6
	s_or_b64 s[4:5], s[4:5], s[6:7]
	s_or_b64 s[16:17], vcc, s[16:17]
	v_cndmask_b32_e64 v1, v1, v6, s[4:5]
	s_andn2_b64 exec, exec, s[16:17]
	s_cbranch_execnz .LBB107_2
; %bb.3:
	s_or_b64 exec, exec, s[16:17]
.LBB107_4:
	s_or_b64 exec, exec, s[8:9]
	v_mbcnt_lo_u32_b32 v2, -1, 0
	v_mbcnt_hi_u32_b32 v6, -1, v2
	v_mov_b32_e32 v2, 0x80
	v_lshl_or_b32 v2, v6, 2, v2
	ds_bpermute_b32 v3, v2, v1
	v_and_b32_e32 v9, 63, v6
	v_and_b32_e32 v8, 63, v0
	s_waitcnt lgkmcnt(0)
	s_barrier
	v_cmp_u_f32_e32 vcc, v3, v3
	v_cmp_lt_f32_e64 s[4:5], v1, v3
	s_or_b64 vcc, vcc, s[4:5]
	v_cndmask_b32_e32 v3, v1, v3, vcc
	v_cmp_gt_u32_e32 vcc, 48, v9
	s_nop 1
	v_cndmask_b32_e64 v1, 0, 16, vcc
	v_add_lshl_u32 v1, v1, v6, 2
	ds_bpermute_b32 v4, v1, v3
	s_waitcnt lgkmcnt(0)
	v_cmp_u_f32_e32 vcc, v4, v4
	v_cmp_lt_f32_e64 s[4:5], v3, v4
	s_or_b64 vcc, vcc, s[4:5]
	v_cndmask_b32_e32 v4, v3, v4, vcc
	v_cmp_gt_u32_e32 vcc, 56, v9
	s_nop 1
	v_cndmask_b32_e64 v3, 0, 8, vcc
	v_add_lshl_u32 v3, v3, v6, 2
	ds_bpermute_b32 v5, v3, v4
	s_waitcnt lgkmcnt(0)
	;; [unrolled: 10-line block ×4, first 2 shown]
	v_cmp_u_f32_e32 vcc, v10, v10
	v_cmp_lt_f32_e64 s[4:5], v7, v10
	s_or_b64 vcc, vcc, s[4:5]
	v_cndmask_b32_e32 v7, v7, v10, vcc
	v_cmp_ne_u32_e32 vcc, 63, v9
	s_nop 1
	v_addc_co_u32_e32 v6, vcc, 0, v6, vcc
	v_lshlrev_b32_e32 v6, 2, v6
	ds_bpermute_b32 v9, v6, v7
	v_cmp_eq_u32_e32 vcc, 0, v8
	s_and_saveexec_b64 s[6:7], vcc
	s_cbranch_execz .LBB107_6
; %bb.5:
	s_waitcnt lgkmcnt(0)
	v_cmp_u_f32_e32 vcc, v9, v9
	v_cmp_lt_f32_e64 s[4:5], v7, v9
	s_or_b64 vcc, vcc, s[4:5]
	v_cndmask_b32_e32 v7, v7, v9, vcc
	v_lshrrev_b32_e32 v9, 4, v0
	ds_write_b32 v9, v7
.LBB107_6:
	s_or_b64 exec, exec, s[6:7]
	s_waitcnt lgkmcnt(0)
	s_barrier
	s_load_dword s3, s[0:1], 0xc9c
	v_mov_b32_e32 v7, 0xff7fffff
	s_waitcnt lgkmcnt(0)
	s_bfe_u32 s3, s3, 0xa0006
	v_cmp_gt_u32_e32 vcc, s3, v0
	s_and_saveexec_b64 s[4:5], vcc
; %bb.7:
	v_lshlrev_b32_e32 v7, 2, v8
	ds_read_b32 v7, v7
; %bb.8:
	s_or_b64 exec, exec, s[4:5]
	v_cmp_gt_u32_e32 vcc, 64, v0
	s_and_saveexec_b64 s[6:7], vcc
	s_cbranch_execz .LBB107_10
; %bb.9:
	s_waitcnt lgkmcnt(0)
	ds_bpermute_b32 v2, v2, v7
	s_waitcnt lgkmcnt(0)
	v_cmp_u_f32_e32 vcc, v2, v2
	v_cmp_lt_f32_e64 s[4:5], v7, v2
	s_or_b64 vcc, vcc, s[4:5]
	v_cndmask_b32_e32 v2, v7, v2, vcc
	ds_bpermute_b32 v1, v1, v2
	s_waitcnt lgkmcnt(0)
	v_cmp_u_f32_e32 vcc, v1, v1
	v_cmp_lt_f32_e64 s[4:5], v2, v1
	s_or_b64 vcc, vcc, s[4:5]
	v_cndmask_b32_e32 v1, v2, v1, vcc
	;; [unrolled: 6-line block ×6, first 2 shown]
.LBB107_10:
	s_or_b64 exec, exec, s[6:7]
	s_mov_b32 s3, 0
	v_cmp_eq_u32_e32 vcc, 0, v0
	s_and_saveexec_b64 s[4:5], vcc
	s_cbranch_execz .LBB107_12
; %bb.11:
	s_lshl_b64 s[2:3], s[2:3], 3
	s_add_u32 s0, s0, s2
	s_addc_u32 s1, s1, s3
	s_load_dwordx2 s[0:1], s[0:1], 0x8
	s_waitcnt lgkmcnt(0)
	v_cvt_f16_f32_e32 v0, v7
	v_mov_b32_e32 v1, 0
	global_store_short v1, v0, s[0:1]
.LBB107_12:
	s_endpgm
	.section	.rodata,"a",@progbits
	.p2align	6, 0x0
	.amdhsa_kernel _ZN2at6native14lpnorm_cleanupIN3c104HalfELNS0_8NormTypeE3ES3_Lb1EfEEvPKT3_NS0_19TensorListAddressesEi
		.amdhsa_group_segment_fixed_size 2048
		.amdhsa_private_segment_fixed_size 0
		.amdhsa_kernarg_size 3472
		.amdhsa_user_sgpr_count 2
		.amdhsa_user_sgpr_dispatch_ptr 0
		.amdhsa_user_sgpr_queue_ptr 0
		.amdhsa_user_sgpr_kernarg_segment_ptr 1
		.amdhsa_user_sgpr_dispatch_id 0
		.amdhsa_user_sgpr_kernarg_preload_length 0
		.amdhsa_user_sgpr_kernarg_preload_offset 0
		.amdhsa_user_sgpr_private_segment_size 0
		.amdhsa_uses_dynamic_stack 0
		.amdhsa_enable_private_segment 0
		.amdhsa_system_sgpr_workgroup_id_x 1
		.amdhsa_system_sgpr_workgroup_id_y 0
		.amdhsa_system_sgpr_workgroup_id_z 0
		.amdhsa_system_sgpr_workgroup_info 0
		.amdhsa_system_vgpr_workitem_id 0
		.amdhsa_next_free_vgpr 11
		.amdhsa_next_free_sgpr 18
		.amdhsa_accum_offset 12
		.amdhsa_reserve_vcc 1
		.amdhsa_float_round_mode_32 0
		.amdhsa_float_round_mode_16_64 0
		.amdhsa_float_denorm_mode_32 3
		.amdhsa_float_denorm_mode_16_64 3
		.amdhsa_dx10_clamp 1
		.amdhsa_ieee_mode 1
		.amdhsa_fp16_overflow 0
		.amdhsa_tg_split 0
		.amdhsa_exception_fp_ieee_invalid_op 0
		.amdhsa_exception_fp_denorm_src 0
		.amdhsa_exception_fp_ieee_div_zero 0
		.amdhsa_exception_fp_ieee_overflow 0
		.amdhsa_exception_fp_ieee_underflow 0
		.amdhsa_exception_fp_ieee_inexact 0
		.amdhsa_exception_int_div_zero 0
	.end_amdhsa_kernel
	.section	.text._ZN2at6native14lpnorm_cleanupIN3c104HalfELNS0_8NormTypeE3ES3_Lb1EfEEvPKT3_NS0_19TensorListAddressesEi,"axG",@progbits,_ZN2at6native14lpnorm_cleanupIN3c104HalfELNS0_8NormTypeE3ES3_Lb1EfEEvPKT3_NS0_19TensorListAddressesEi,comdat
.Lfunc_end107:
	.size	_ZN2at6native14lpnorm_cleanupIN3c104HalfELNS0_8NormTypeE3ES3_Lb1EfEEvPKT3_NS0_19TensorListAddressesEi, .Lfunc_end107-_ZN2at6native14lpnorm_cleanupIN3c104HalfELNS0_8NormTypeE3ES3_Lb1EfEEvPKT3_NS0_19TensorListAddressesEi
                                        ; -- End function
	.set _ZN2at6native14lpnorm_cleanupIN3c104HalfELNS0_8NormTypeE3ES3_Lb1EfEEvPKT3_NS0_19TensorListAddressesEi.num_vgpr, 11
	.set _ZN2at6native14lpnorm_cleanupIN3c104HalfELNS0_8NormTypeE3ES3_Lb1EfEEvPKT3_NS0_19TensorListAddressesEi.num_agpr, 0
	.set _ZN2at6native14lpnorm_cleanupIN3c104HalfELNS0_8NormTypeE3ES3_Lb1EfEEvPKT3_NS0_19TensorListAddressesEi.numbered_sgpr, 18
	.set _ZN2at6native14lpnorm_cleanupIN3c104HalfELNS0_8NormTypeE3ES3_Lb1EfEEvPKT3_NS0_19TensorListAddressesEi.num_named_barrier, 0
	.set _ZN2at6native14lpnorm_cleanupIN3c104HalfELNS0_8NormTypeE3ES3_Lb1EfEEvPKT3_NS0_19TensorListAddressesEi.private_seg_size, 0
	.set _ZN2at6native14lpnorm_cleanupIN3c104HalfELNS0_8NormTypeE3ES3_Lb1EfEEvPKT3_NS0_19TensorListAddressesEi.uses_vcc, 1
	.set _ZN2at6native14lpnorm_cleanupIN3c104HalfELNS0_8NormTypeE3ES3_Lb1EfEEvPKT3_NS0_19TensorListAddressesEi.uses_flat_scratch, 0
	.set _ZN2at6native14lpnorm_cleanupIN3c104HalfELNS0_8NormTypeE3ES3_Lb1EfEEvPKT3_NS0_19TensorListAddressesEi.has_dyn_sized_stack, 0
	.set _ZN2at6native14lpnorm_cleanupIN3c104HalfELNS0_8NormTypeE3ES3_Lb1EfEEvPKT3_NS0_19TensorListAddressesEi.has_recursion, 0
	.set _ZN2at6native14lpnorm_cleanupIN3c104HalfELNS0_8NormTypeE3ES3_Lb1EfEEvPKT3_NS0_19TensorListAddressesEi.has_indirect_call, 0
	.section	.AMDGPU.csdata,"",@progbits
; Kernel info:
; codeLenInByte = 904
; TotalNumSgprs: 24
; NumVgprs: 11
; NumAgprs: 0
; TotalNumVgprs: 11
; ScratchSize: 0
; MemoryBound: 0
; FloatMode: 240
; IeeeMode: 1
; LDSByteSize: 2048 bytes/workgroup (compile time only)
; SGPRBlocks: 2
; VGPRBlocks: 1
; NumSGPRsForWavesPerEU: 24
; NumVGPRsForWavesPerEU: 11
; AccumOffset: 12
; Occupancy: 8
; WaveLimiterHint : 0
; COMPUTE_PGM_RSRC2:SCRATCH_EN: 0
; COMPUTE_PGM_RSRC2:USER_SGPR: 2
; COMPUTE_PGM_RSRC2:TRAP_HANDLER: 0
; COMPUTE_PGM_RSRC2:TGID_X_EN: 1
; COMPUTE_PGM_RSRC2:TGID_Y_EN: 0
; COMPUTE_PGM_RSRC2:TGID_Z_EN: 0
; COMPUTE_PGM_RSRC2:TIDIG_COMP_CNT: 0
; COMPUTE_PGM_RSRC3_GFX90A:ACCUM_OFFSET: 2
; COMPUTE_PGM_RSRC3_GFX90A:TG_SPLIT: 0
	.section	.text._ZN2at6native12_GLOBAL__N_125multi_tensor_apply_kernelINS1_18TensorListMetadataILi1EEENS0_13LpNormFunctorIN3c104HalfELNS0_8NormTypeE0ENS6_8BFloat16ELi1ELi1ELi0EEEJPfiEEEvT_T0_DpT1_,"axG",@progbits,_ZN2at6native12_GLOBAL__N_125multi_tensor_apply_kernelINS1_18TensorListMetadataILi1EEENS0_13LpNormFunctorIN3c104HalfELNS0_8NormTypeE0ENS6_8BFloat16ELi1ELi1ELi0EEEJPfiEEEvT_T0_DpT1_,comdat
	.globl	_ZN2at6native12_GLOBAL__N_125multi_tensor_apply_kernelINS1_18TensorListMetadataILi1EEENS0_13LpNormFunctorIN3c104HalfELNS0_8NormTypeE0ENS6_8BFloat16ELi1ELi1ELi0EEEJPfiEEEvT_T0_DpT1_ ; -- Begin function _ZN2at6native12_GLOBAL__N_125multi_tensor_apply_kernelINS1_18TensorListMetadataILi1EEENS0_13LpNormFunctorIN3c104HalfELNS0_8NormTypeE0ENS6_8BFloat16ELi1ELi1ELi0EEEJPfiEEEvT_T0_DpT1_
	.p2align	8
	.type	_ZN2at6native12_GLOBAL__N_125multi_tensor_apply_kernelINS1_18TensorListMetadataILi1EEENS0_13LpNormFunctorIN3c104HalfELNS0_8NormTypeE0ENS6_8BFloat16ELi1ELi1ELi0EEEJPfiEEEvT_T0_DpT1_,@function
_ZN2at6native12_GLOBAL__N_125multi_tensor_apply_kernelINS1_18TensorListMetadataILi1EEENS0_13LpNormFunctorIN3c104HalfELNS0_8NormTypeE0ENS6_8BFloat16ELi1ELi1ELi0EEEJPfiEEEvT_T0_DpT1_: ; @_ZN2at6native12_GLOBAL__N_125multi_tensor_apply_kernelINS1_18TensorListMetadataILi1EEENS0_13LpNormFunctorIN3c104HalfELNS0_8NormTypeE0ENS6_8BFloat16ELi1ELi1ELi0EEEJPfiEEEvT_T0_DpT1_
; %bb.0:
	v_mov_b32_e32 v1, s2
	global_load_ubyte v1, v1, s[0:1] offset:1760
	s_add_u32 s3, s0, s2
	s_mul_hi_u32 s4, s2, 3
	s_mul_i32 s2, s2, 3
	s_addc_u32 s5, s1, 0
	s_add_u32 s2, s3, s2
	s_addc_u32 s3, s5, s4
	s_load_dword s4, s[2:3], 0x820
	s_mov_b32 s15, 0
	s_waitcnt vmcnt(0)
	v_readfirstlane_b32 s2, v1
	s_and_b32 s16, s2, 0xff
	s_lshl_b32 s5, s16, 3
	s_load_dwordx2 s[2:3], s[0:1], s5 offset:0x370
	s_load_dwordx2 s[6:7], s[0:1], s5 offset:0x0
	s_waitcnt lgkmcnt(0)
	s_ashr_i32 s5, s4, 31
	s_lshl_b64 s[10:11], s[4:5], 16
	s_lshl_b64 s[8:9], s[4:5], 17
	s_add_u32 s12, s6, s8
	s_addc_u32 s13, s7, s9
	s_sub_u32 s10, s2, s10
	s_subb_u32 s11, s3, s11
	s_and_b32 s14, s2, 3
	s_and_b32 s2, s12, 7
	s_mov_b32 s3, s15
	s_or_b64 s[2:3], s[14:15], s[2:3]
	s_cmp_eq_u64 s[2:3], 0
	s_cbranch_scc1 .LBB108_12
; %bb.1:
	v_cmp_lt_i64_e64 s[2:3], s[10:11], 1
	s_and_b64 vcc, exec, s[2:3]
	s_cbranch_vccnz .LBB108_13
; %bb.2:
	s_load_dword s14, s[0:1], 0xd4c
	v_mov_b64_e32 v[2:3], 0x10000
	v_cmp_lt_i64_e32 vcc, s[10:11], v[2:3]
	s_and_b64 s[2:3], vcc, exec
	v_mov_b32_e32 v7, 0
	s_cselect_b32 s3, s11, 0
	s_cselect_b32 s2, s10, 0x10000
	s_waitcnt lgkmcnt(0)
	s_and_b32 s18, s14, 0xffff
	v_mov_b32_e32 v6, v7
	v_mad_u64_u32 v[12:13], s[14:15], s18, 3, v[0:1]
	v_mov_b32_e32 v8, v7
	v_mov_b32_e32 v9, v7
	v_mov_b64_e32 v[2:3], v[6:7]
	s_mov_b32 s5, 0x10000
	s_lshl_b32 s17, s18, 2
	v_lshl_add_u32 v10, s18, 1, v0
	v_add_u32_e32 v14, s18, v0
	s_mov_b64 s[14:15], 0
	v_mov_b64_e32 v[16:17], s[2:3]
	v_mov_b64_e32 v[4:5], v[8:9]
	s_branch .LBB108_4
.LBB108_3:                              ;   in Loop: Header=BB108_4 Depth=1
	s_or_b64 exec, exec, s[2:3]
	s_add_u32 s14, s14, s17
	s_addc_u32 s15, s15, 0
	v_cmp_ge_i64_e32 vcc, s[14:15], v[16:17]
	s_cbranch_vccnz .LBB108_14
.LBB108_4:                              ; =>This Inner Loop Header: Depth=1
	v_add_u32_e32 v6, s14, v0
	v_cmp_gt_i64_e32 vcc, s[10:11], v[6:7]
	v_cmp_gt_u32_e64 s[2:3], s5, v6
	s_and_b64 s[18:19], s[2:3], vcc
	s_and_saveexec_b64 s[2:3], s[18:19]
	s_cbranch_execz .LBB108_6
; %bb.5:                                ;   in Loop: Header=BB108_4 Depth=1
	v_lshl_add_u64 v[8:9], v[6:7], 1, s[12:13]
	global_load_ushort v1, v[8:9], off
	s_waitcnt vmcnt(0)
	v_cmp_neq_f16_e32 vcc, 0, v1
	s_nop 1
	v_cndmask_b32_e64 v1, 0, 1.0, vcc
	v_add_f32_e32 v2, v2, v1
.LBB108_6:                              ;   in Loop: Header=BB108_4 Depth=1
	s_or_b64 exec, exec, s[2:3]
	v_add_u32_e32 v6, s14, v14
	v_cmp_gt_i64_e32 vcc, s[10:11], v[6:7]
	v_cmp_gt_u32_e64 s[2:3], s5, v6
	s_and_b64 s[18:19], s[2:3], vcc
	s_and_saveexec_b64 s[2:3], s[18:19]
	s_cbranch_execz .LBB108_8
; %bb.7:                                ;   in Loop: Header=BB108_4 Depth=1
	v_lshl_add_u64 v[8:9], v[6:7], 1, s[12:13]
	global_load_ushort v1, v[8:9], off
	s_waitcnt vmcnt(0)
	v_cmp_neq_f16_e32 vcc, 0, v1
	s_nop 1
	v_cndmask_b32_e64 v1, 0, 1.0, vcc
	v_add_f32_e32 v3, v3, v1
.LBB108_8:                              ;   in Loop: Header=BB108_4 Depth=1
	s_or_b64 exec, exec, s[2:3]
	v_add_u32_e32 v6, s14, v10
	v_cmp_gt_i64_e32 vcc, s[10:11], v[6:7]
	v_cmp_gt_u32_e64 s[2:3], s5, v6
	s_and_b64 s[18:19], s[2:3], vcc
	s_and_saveexec_b64 s[2:3], s[18:19]
	s_cbranch_execz .LBB108_10
; %bb.9:                                ;   in Loop: Header=BB108_4 Depth=1
	v_lshl_add_u64 v[8:9], v[6:7], 1, s[12:13]
	global_load_ushort v1, v[8:9], off
	s_waitcnt vmcnt(0)
	v_cmp_neq_f16_e32 vcc, 0, v1
	s_nop 1
	v_cndmask_b32_e64 v1, 0, 1.0, vcc
	v_add_f32_e32 v4, v4, v1
.LBB108_10:                             ;   in Loop: Header=BB108_4 Depth=1
	s_or_b64 exec, exec, s[2:3]
	v_add_u32_e32 v6, s14, v12
	v_cmp_gt_i64_e32 vcc, s[10:11], v[6:7]
	v_cmp_gt_u32_e64 s[2:3], s5, v6
	s_and_b64 s[18:19], s[2:3], vcc
	s_and_saveexec_b64 s[2:3], s[18:19]
	s_cbranch_execz .LBB108_3
; %bb.11:                               ;   in Loop: Header=BB108_4 Depth=1
	v_lshl_add_u64 v[8:9], v[6:7], 1, s[12:13]
	global_load_ushort v1, v[8:9], off
	s_waitcnt vmcnt(0)
	v_cmp_neq_f16_e32 vcc, 0, v1
	s_nop 1
	v_cndmask_b32_e64 v1, 0, 1.0, vcc
	v_add_f32_e32 v5, v5, v1
	s_branch .LBB108_3
.LBB108_12:
                                        ; implicit-def: $vgpr2_vgpr3_vgpr4_vgpr5
	s_branch .LBB108_15
.LBB108_13:
	v_mov_b32_e32 v2, 0
	v_mov_b32_e32 v3, v2
	;; [unrolled: 1-line block ×4, first 2 shown]
.LBB108_14:
	s_cbranch_execnz .LBB108_20
.LBB108_15:
	v_mov_b64_e32 v[4:5], 0x10000
	v_cmp_lt_i64_e32 vcc, s[10:11], v[4:5]
	s_and_b64 s[2:3], vcc, exec
	v_mov_b32_e32 v3, 0
	s_cselect_b32 s3, s11, 0
	s_cselect_b32 s2, s10, 0x10000
	v_lshlrev_b32_e32 v2, 2, v0
	v_cmp_gt_i64_e32 vcc, s[2:3], v[2:3]
	s_mov_b32 s13, 0
	v_mov_b32_e32 v2, v3
	v_mov_b32_e32 v4, v3
	;; [unrolled: 1-line block ×3, first 2 shown]
	s_and_saveexec_b64 s[10:11], vcc
	s_cbranch_execz .LBB108_19
; %bb.16:
	s_load_dword s5, s[0:1], 0xd4c
	v_lshlrev_b32_e32 v2, 3, v0
	v_mov_b32_e32 v1, v3
	s_mov_b32 s15, s13
	v_mov_b64_e32 v[10:11], v[0:1]
	s_waitcnt lgkmcnt(0)
	s_and_b32 s12, s5, 0xffff
	s_add_u32 s6, s6, s8
	s_addc_u32 s7, s7, s9
	v_lshl_add_u64 v[4:5], s[6:7], 0, v[2:3]
	s_lshl_b32 s14, s12, 3
	v_lshl_add_u64 v[8:9], v[4:5], 0, 4
	s_mov_b64 s[6:7], 0
	v_mov_b32_e32 v4, 0
	v_mov_b32_e32 v5, v3
	;; [unrolled: 1-line block ×4, first 2 shown]
.LBB108_17:                             ; =>This Inner Loop Header: Depth=1
	global_load_dwordx2 v[12:13], v[8:9], off offset:-4
	v_lshl_add_u64 v[10:11], v[10:11], 0, s[12:13]
	v_lshlrev_b64 v[14:15], 2, v[10:11]
	v_cmp_le_i64_e32 vcc, s[2:3], v[14:15]
	s_or_b64 s[6:7], vcc, s[6:7]
	v_lshl_add_u64 v[8:9], v[8:9], 0, s[14:15]
	s_waitcnt vmcnt(0)
	v_cmp_neq_f16_e32 vcc, 0, v12
	v_cmp_neq_f16_sdwa s[8:9], v12, v3 src0_sel:WORD_1 src1_sel:DWORD
	s_nop 0
	v_cndmask_b32_e64 v14, 0, 1.0, vcc
	v_cmp_neq_f16_e32 vcc, 0, v13
	v_cndmask_b32_e64 v15, 0, 1.0, s[8:9]
	v_cmp_neq_f16_sdwa s[8:9], v13, v3 src0_sel:WORD_1 src1_sel:DWORD
	v_cndmask_b32_e64 v12, 0, 1.0, vcc
	v_pk_add_f32 v[4:5], v[4:5], v[14:15]
	v_cndmask_b32_e64 v13, 0, 1.0, s[8:9]
	v_pk_add_f32 v[6:7], v[6:7], v[12:13]
	s_andn2_b64 exec, exec, s[6:7]
	s_cbranch_execnz .LBB108_17
; %bb.18:
	s_or_b64 exec, exec, s[6:7]
	v_mov_b64_e32 v[2:3], v[4:5]
	v_mov_b64_e32 v[4:5], v[6:7]
.LBB108_19:
	s_or_b64 exec, exec, s[10:11]
.LBB108_20:
	v_add_f32_e32 v1, 0, v2
	v_add_f32_e32 v1, v3, v1
	v_add_f32_e32 v1, v4, v1
	v_add_f32_e32 v2, v5, v1
	v_mbcnt_lo_u32_b32 v1, -1, 0
	v_mbcnt_hi_u32_b32 v6, -1, v1
	v_mov_b32_e32 v1, 0x80
	v_lshl_or_b32 v1, v6, 2, v1
	ds_bpermute_b32 v3, v1, v2
	v_and_b32_e32 v9, 63, v6
	v_cmp_gt_u32_e32 vcc, 48, v9
	s_waitcnt lgkmcnt(0)
	s_barrier
	v_add_f32_e32 v3, v2, v3
	v_cndmask_b32_e64 v2, 0, 16, vcc
	v_add_lshl_u32 v2, v2, v6, 2
	ds_bpermute_b32 v4, v2, v3
	v_cmp_gt_u32_e32 vcc, 56, v9
	s_waitcnt lgkmcnt(0)
	v_add_f32_e32 v4, v3, v4
	v_cndmask_b32_e64 v3, 0, 8, vcc
	v_add_lshl_u32 v3, v3, v6, 2
	ds_bpermute_b32 v5, v3, v4
	v_cmp_gt_u32_e32 vcc, 60, v9
	s_waitcnt lgkmcnt(0)
	;; [unrolled: 6-line block ×3, first 2 shown]
	v_add_f32_e32 v7, v5, v7
	v_cndmask_b32_e64 v8, 0, 2, vcc
	v_add_lshl_u32 v5, v8, v6, 2
	ds_bpermute_b32 v10, v5, v7
	v_cmp_ne_u32_e32 vcc, 63, v9
	v_and_b32_e32 v8, 63, v0
	s_waitcnt lgkmcnt(0)
	v_add_f32_e32 v7, v7, v10
	v_addc_co_u32_e32 v6, vcc, 0, v6, vcc
	v_lshlrev_b32_e32 v6, 2, v6
	ds_bpermute_b32 v9, v6, v7
	v_cmp_eq_u32_e32 vcc, 0, v8
	s_and_saveexec_b64 s[2:3], vcc
	s_cbranch_execz .LBB108_22
; %bb.21:
	v_lshrrev_b32_e32 v10, 4, v0
	s_waitcnt lgkmcnt(0)
	v_add_f32_e32 v7, v7, v9
	ds_write_b32 v10, v7
.LBB108_22:
	s_or_b64 exec, exec, s[2:3]
	s_waitcnt lgkmcnt(0)
	s_barrier
	s_load_dword s2, s[0:1], 0xd4c
	v_mov_b32_e32 v7, 0
	s_waitcnt lgkmcnt(0)
	s_bfe_u32 s2, s2, 0xa0006
	v_cmp_gt_u32_e32 vcc, s2, v0
	s_and_saveexec_b64 s[2:3], vcc
	s_cbranch_execnz .LBB108_26
; %bb.23:
	s_or_b64 exec, exec, s[2:3]
	v_cmp_gt_u32_e32 vcc, 64, v0
	s_and_saveexec_b64 s[2:3], vcc
	s_cbranch_execnz .LBB108_27
.LBB108_24:
	s_or_b64 exec, exec, s[2:3]
	v_cmp_eq_u32_e32 vcc, 0, v0
	s_and_saveexec_b64 s[2:3], vcc
	s_cbranch_execnz .LBB108_28
.LBB108_25:
	s_endpgm
.LBB108_26:
	v_lshlrev_b32_e32 v7, 2, v8
	ds_read_b32 v7, v7
	s_or_b64 exec, exec, s[2:3]
	v_cmp_gt_u32_e32 vcc, 64, v0
	s_and_saveexec_b64 s[2:3], vcc
	s_cbranch_execz .LBB108_24
.LBB108_27:
	s_waitcnt lgkmcnt(0)
	ds_bpermute_b32 v1, v1, v7
	s_waitcnt lgkmcnt(0)
	v_add_f32_e32 v1, v7, v1
	ds_bpermute_b32 v2, v2, v1
	s_waitcnt lgkmcnt(0)
	v_add_f32_e32 v1, v1, v2
	;; [unrolled: 3-line block ×6, first 2 shown]
	s_or_b64 exec, exec, s[2:3]
	v_cmp_eq_u32_e32 vcc, 0, v0
	s_and_saveexec_b64 s[2:3], vcc
	s_cbranch_execz .LBB108_25
.LBB108_28:
	s_load_dword s5, s[0:1], 0xd20
	s_load_dword s6, s[0:1], 0xd38
	s_load_dwordx2 s[2:3], s[0:1], 0xd30
	v_mov_b32_e32 v0, 0
	s_waitcnt lgkmcnt(0)
	s_add_i32 s0, s5, s16
	s_mul_i32 s0, s0, s6
	s_add_i32 s0, s0, s4
	s_ashr_i32 s1, s0, 31
	s_lshl_b64 s[0:1], s[0:1], 2
	s_add_u32 s0, s2, s0
	s_addc_u32 s1, s3, s1
	global_store_dword v0, v7, s[0:1]
	s_endpgm
	.section	.rodata,"a",@progbits
	.p2align	6, 0x0
	.amdhsa_kernel _ZN2at6native12_GLOBAL__N_125multi_tensor_apply_kernelINS1_18TensorListMetadataILi1EEENS0_13LpNormFunctorIN3c104HalfELNS0_8NormTypeE0ENS6_8BFloat16ELi1ELi1ELi0EEEJPfiEEEvT_T0_DpT1_
		.amdhsa_group_segment_fixed_size 2048
		.amdhsa_private_segment_fixed_size 0
		.amdhsa_kernarg_size 3648
		.amdhsa_user_sgpr_count 2
		.amdhsa_user_sgpr_dispatch_ptr 0
		.amdhsa_user_sgpr_queue_ptr 0
		.amdhsa_user_sgpr_kernarg_segment_ptr 1
		.amdhsa_user_sgpr_dispatch_id 0
		.amdhsa_user_sgpr_kernarg_preload_length 0
		.amdhsa_user_sgpr_kernarg_preload_offset 0
		.amdhsa_user_sgpr_private_segment_size 0
		.amdhsa_uses_dynamic_stack 0
		.amdhsa_enable_private_segment 0
		.amdhsa_system_sgpr_workgroup_id_x 1
		.amdhsa_system_sgpr_workgroup_id_y 0
		.amdhsa_system_sgpr_workgroup_id_z 0
		.amdhsa_system_sgpr_workgroup_info 0
		.amdhsa_system_vgpr_workitem_id 0
		.amdhsa_next_free_vgpr 18
		.amdhsa_next_free_sgpr 20
		.amdhsa_accum_offset 20
		.amdhsa_reserve_vcc 1
		.amdhsa_float_round_mode_32 0
		.amdhsa_float_round_mode_16_64 0
		.amdhsa_float_denorm_mode_32 3
		.amdhsa_float_denorm_mode_16_64 3
		.amdhsa_dx10_clamp 1
		.amdhsa_ieee_mode 1
		.amdhsa_fp16_overflow 0
		.amdhsa_tg_split 0
		.amdhsa_exception_fp_ieee_invalid_op 0
		.amdhsa_exception_fp_denorm_src 0
		.amdhsa_exception_fp_ieee_div_zero 0
		.amdhsa_exception_fp_ieee_overflow 0
		.amdhsa_exception_fp_ieee_underflow 0
		.amdhsa_exception_fp_ieee_inexact 0
		.amdhsa_exception_int_div_zero 0
	.end_amdhsa_kernel
	.section	.text._ZN2at6native12_GLOBAL__N_125multi_tensor_apply_kernelINS1_18TensorListMetadataILi1EEENS0_13LpNormFunctorIN3c104HalfELNS0_8NormTypeE0ENS6_8BFloat16ELi1ELi1ELi0EEEJPfiEEEvT_T0_DpT1_,"axG",@progbits,_ZN2at6native12_GLOBAL__N_125multi_tensor_apply_kernelINS1_18TensorListMetadataILi1EEENS0_13LpNormFunctorIN3c104HalfELNS0_8NormTypeE0ENS6_8BFloat16ELi1ELi1ELi0EEEJPfiEEEvT_T0_DpT1_,comdat
.Lfunc_end108:
	.size	_ZN2at6native12_GLOBAL__N_125multi_tensor_apply_kernelINS1_18TensorListMetadataILi1EEENS0_13LpNormFunctorIN3c104HalfELNS0_8NormTypeE0ENS6_8BFloat16ELi1ELi1ELi0EEEJPfiEEEvT_T0_DpT1_, .Lfunc_end108-_ZN2at6native12_GLOBAL__N_125multi_tensor_apply_kernelINS1_18TensorListMetadataILi1EEENS0_13LpNormFunctorIN3c104HalfELNS0_8NormTypeE0ENS6_8BFloat16ELi1ELi1ELi0EEEJPfiEEEvT_T0_DpT1_
                                        ; -- End function
	.set _ZN2at6native12_GLOBAL__N_125multi_tensor_apply_kernelINS1_18TensorListMetadataILi1EEENS0_13LpNormFunctorIN3c104HalfELNS0_8NormTypeE0ENS6_8BFloat16ELi1ELi1ELi0EEEJPfiEEEvT_T0_DpT1_.num_vgpr, 18
	.set _ZN2at6native12_GLOBAL__N_125multi_tensor_apply_kernelINS1_18TensorListMetadataILi1EEENS0_13LpNormFunctorIN3c104HalfELNS0_8NormTypeE0ENS6_8BFloat16ELi1ELi1ELi0EEEJPfiEEEvT_T0_DpT1_.num_agpr, 0
	.set _ZN2at6native12_GLOBAL__N_125multi_tensor_apply_kernelINS1_18TensorListMetadataILi1EEENS0_13LpNormFunctorIN3c104HalfELNS0_8NormTypeE0ENS6_8BFloat16ELi1ELi1ELi0EEEJPfiEEEvT_T0_DpT1_.numbered_sgpr, 20
	.set _ZN2at6native12_GLOBAL__N_125multi_tensor_apply_kernelINS1_18TensorListMetadataILi1EEENS0_13LpNormFunctorIN3c104HalfELNS0_8NormTypeE0ENS6_8BFloat16ELi1ELi1ELi0EEEJPfiEEEvT_T0_DpT1_.num_named_barrier, 0
	.set _ZN2at6native12_GLOBAL__N_125multi_tensor_apply_kernelINS1_18TensorListMetadataILi1EEENS0_13LpNormFunctorIN3c104HalfELNS0_8NormTypeE0ENS6_8BFloat16ELi1ELi1ELi0EEEJPfiEEEvT_T0_DpT1_.private_seg_size, 0
	.set _ZN2at6native12_GLOBAL__N_125multi_tensor_apply_kernelINS1_18TensorListMetadataILi1EEENS0_13LpNormFunctorIN3c104HalfELNS0_8NormTypeE0ENS6_8BFloat16ELi1ELi1ELi0EEEJPfiEEEvT_T0_DpT1_.uses_vcc, 1
	.set _ZN2at6native12_GLOBAL__N_125multi_tensor_apply_kernelINS1_18TensorListMetadataILi1EEENS0_13LpNormFunctorIN3c104HalfELNS0_8NormTypeE0ENS6_8BFloat16ELi1ELi1ELi0EEEJPfiEEEvT_T0_DpT1_.uses_flat_scratch, 0
	.set _ZN2at6native12_GLOBAL__N_125multi_tensor_apply_kernelINS1_18TensorListMetadataILi1EEENS0_13LpNormFunctorIN3c104HalfELNS0_8NormTypeE0ENS6_8BFloat16ELi1ELi1ELi0EEEJPfiEEEvT_T0_DpT1_.has_dyn_sized_stack, 0
	.set _ZN2at6native12_GLOBAL__N_125multi_tensor_apply_kernelINS1_18TensorListMetadataILi1EEENS0_13LpNormFunctorIN3c104HalfELNS0_8NormTypeE0ENS6_8BFloat16ELi1ELi1ELi0EEEJPfiEEEvT_T0_DpT1_.has_recursion, 0
	.set _ZN2at6native12_GLOBAL__N_125multi_tensor_apply_kernelINS1_18TensorListMetadataILi1EEENS0_13LpNormFunctorIN3c104HalfELNS0_8NormTypeE0ENS6_8BFloat16ELi1ELi1ELi0EEEJPfiEEEvT_T0_DpT1_.has_indirect_call, 0
	.section	.AMDGPU.csdata,"",@progbits
; Kernel info:
; codeLenInByte = 1468
; TotalNumSgprs: 26
; NumVgprs: 18
; NumAgprs: 0
; TotalNumVgprs: 18
; ScratchSize: 0
; MemoryBound: 0
; FloatMode: 240
; IeeeMode: 1
; LDSByteSize: 2048 bytes/workgroup (compile time only)
; SGPRBlocks: 3
; VGPRBlocks: 2
; NumSGPRsForWavesPerEU: 26
; NumVGPRsForWavesPerEU: 18
; AccumOffset: 20
; Occupancy: 8
; WaveLimiterHint : 0
; COMPUTE_PGM_RSRC2:SCRATCH_EN: 0
; COMPUTE_PGM_RSRC2:USER_SGPR: 2
; COMPUTE_PGM_RSRC2:TRAP_HANDLER: 0
; COMPUTE_PGM_RSRC2:TGID_X_EN: 1
; COMPUTE_PGM_RSRC2:TGID_Y_EN: 0
; COMPUTE_PGM_RSRC2:TGID_Z_EN: 0
; COMPUTE_PGM_RSRC2:TIDIG_COMP_CNT: 0
; COMPUTE_PGM_RSRC3_GFX90A:ACCUM_OFFSET: 4
; COMPUTE_PGM_RSRC3_GFX90A:TG_SPLIT: 0
	.section	.text._ZN2at6native12_GLOBAL__N_125multi_tensor_apply_kernelINS1_18TensorListMetadataILi1EEENS0_13LpNormFunctorIN3c104HalfELNS0_8NormTypeE1ENS6_8BFloat16ELi1ELi1ELi0EEEJPfiEEEvT_T0_DpT1_,"axG",@progbits,_ZN2at6native12_GLOBAL__N_125multi_tensor_apply_kernelINS1_18TensorListMetadataILi1EEENS0_13LpNormFunctorIN3c104HalfELNS0_8NormTypeE1ENS6_8BFloat16ELi1ELi1ELi0EEEJPfiEEEvT_T0_DpT1_,comdat
	.globl	_ZN2at6native12_GLOBAL__N_125multi_tensor_apply_kernelINS1_18TensorListMetadataILi1EEENS0_13LpNormFunctorIN3c104HalfELNS0_8NormTypeE1ENS6_8BFloat16ELi1ELi1ELi0EEEJPfiEEEvT_T0_DpT1_ ; -- Begin function _ZN2at6native12_GLOBAL__N_125multi_tensor_apply_kernelINS1_18TensorListMetadataILi1EEENS0_13LpNormFunctorIN3c104HalfELNS0_8NormTypeE1ENS6_8BFloat16ELi1ELi1ELi0EEEJPfiEEEvT_T0_DpT1_
	.p2align	8
	.type	_ZN2at6native12_GLOBAL__N_125multi_tensor_apply_kernelINS1_18TensorListMetadataILi1EEENS0_13LpNormFunctorIN3c104HalfELNS0_8NormTypeE1ENS6_8BFloat16ELi1ELi1ELi0EEEJPfiEEEvT_T0_DpT1_,@function
_ZN2at6native12_GLOBAL__N_125multi_tensor_apply_kernelINS1_18TensorListMetadataILi1EEENS0_13LpNormFunctorIN3c104HalfELNS0_8NormTypeE1ENS6_8BFloat16ELi1ELi1ELi0EEEJPfiEEEvT_T0_DpT1_: ; @_ZN2at6native12_GLOBAL__N_125multi_tensor_apply_kernelINS1_18TensorListMetadataILi1EEENS0_13LpNormFunctorIN3c104HalfELNS0_8NormTypeE1ENS6_8BFloat16ELi1ELi1ELi0EEEJPfiEEEvT_T0_DpT1_
; %bb.0:
	v_mov_b32_e32 v1, s2
	global_load_ubyte v1, v1, s[0:1] offset:1760
	s_add_u32 s3, s0, s2
	s_mul_hi_u32 s4, s2, 3
	s_mul_i32 s2, s2, 3
	s_addc_u32 s5, s1, 0
	s_add_u32 s2, s3, s2
	s_addc_u32 s3, s5, s4
	s_load_dword s4, s[2:3], 0x820
	s_mov_b32 s15, 0
	s_waitcnt vmcnt(0)
	v_readfirstlane_b32 s2, v1
	s_and_b32 s16, s2, 0xff
	s_lshl_b32 s5, s16, 3
	s_load_dwordx2 s[2:3], s[0:1], s5 offset:0x370
	s_load_dwordx2 s[6:7], s[0:1], s5 offset:0x0
	s_waitcnt lgkmcnt(0)
	s_ashr_i32 s5, s4, 31
	s_lshl_b64 s[10:11], s[4:5], 16
	s_lshl_b64 s[8:9], s[4:5], 17
	s_add_u32 s12, s6, s8
	s_addc_u32 s13, s7, s9
	s_sub_u32 s10, s2, s10
	s_subb_u32 s11, s3, s11
	s_and_b32 s14, s2, 3
	s_and_b32 s2, s12, 7
	s_mov_b32 s3, s15
	s_or_b64 s[2:3], s[14:15], s[2:3]
	s_cmp_eq_u64 s[2:3], 0
	s_cbranch_scc1 .LBB109_12
; %bb.1:
	v_cmp_lt_i64_e64 s[2:3], s[10:11], 1
	s_and_b64 vcc, exec, s[2:3]
	s_cbranch_vccnz .LBB109_13
; %bb.2:
	s_load_dword s14, s[0:1], 0xd4c
	v_mov_b64_e32 v[2:3], 0x10000
	v_cmp_lt_i64_e32 vcc, s[10:11], v[2:3]
	s_and_b64 s[2:3], vcc, exec
	v_mov_b32_e32 v7, 0
	s_cselect_b32 s3, s11, 0
	s_cselect_b32 s2, s10, 0x10000
	s_waitcnt lgkmcnt(0)
	s_and_b32 s18, s14, 0xffff
	v_mov_b32_e32 v6, v7
	v_mad_u64_u32 v[12:13], s[14:15], s18, 3, v[0:1]
	v_mov_b32_e32 v8, v7
	v_mov_b32_e32 v9, v7
	v_mov_b64_e32 v[2:3], v[6:7]
	s_mov_b32 s5, 0x10000
	s_lshl_b32 s17, s18, 2
	v_lshl_add_u32 v10, s18, 1, v0
	v_add_u32_e32 v14, s18, v0
	s_mov_b64 s[14:15], 0
	v_mov_b64_e32 v[16:17], s[2:3]
	v_mov_b64_e32 v[4:5], v[8:9]
	s_branch .LBB109_4
.LBB109_3:                              ;   in Loop: Header=BB109_4 Depth=1
	s_or_b64 exec, exec, s[2:3]
	s_add_u32 s14, s14, s17
	s_addc_u32 s15, s15, 0
	v_cmp_lt_i64_e32 vcc, s[14:15], v[16:17]
	s_cbranch_vccz .LBB109_14
.LBB109_4:                              ; =>This Inner Loop Header: Depth=1
	v_add_u32_e32 v6, s14, v0
	v_cmp_gt_i64_e32 vcc, s[10:11], v[6:7]
	v_cmp_gt_u32_e64 s[2:3], s5, v6
	s_and_b64 s[18:19], s[2:3], vcc
	s_and_saveexec_b64 s[2:3], s[18:19]
	s_cbranch_execz .LBB109_6
; %bb.5:                                ;   in Loop: Header=BB109_4 Depth=1
	v_lshl_add_u64 v[8:9], v[6:7], 1, s[12:13]
	global_load_ushort v1, v[8:9], off
	s_waitcnt vmcnt(0)
	v_cvt_f32_f16_e64 v1, |v1|
	v_add_f32_e32 v2, v2, v1
.LBB109_6:                              ;   in Loop: Header=BB109_4 Depth=1
	s_or_b64 exec, exec, s[2:3]
	v_add_u32_e32 v6, s14, v14
	v_cmp_gt_i64_e32 vcc, s[10:11], v[6:7]
	v_cmp_gt_u32_e64 s[2:3], s5, v6
	s_and_b64 s[18:19], s[2:3], vcc
	s_and_saveexec_b64 s[2:3], s[18:19]
	s_cbranch_execz .LBB109_8
; %bb.7:                                ;   in Loop: Header=BB109_4 Depth=1
	v_lshl_add_u64 v[8:9], v[6:7], 1, s[12:13]
	global_load_ushort v1, v[8:9], off
	s_waitcnt vmcnt(0)
	v_cvt_f32_f16_e64 v1, |v1|
	v_add_f32_e32 v3, v3, v1
.LBB109_8:                              ;   in Loop: Header=BB109_4 Depth=1
	s_or_b64 exec, exec, s[2:3]
	v_add_u32_e32 v6, s14, v10
	v_cmp_gt_i64_e32 vcc, s[10:11], v[6:7]
	v_cmp_gt_u32_e64 s[2:3], s5, v6
	s_and_b64 s[18:19], s[2:3], vcc
	s_and_saveexec_b64 s[2:3], s[18:19]
	s_cbranch_execz .LBB109_10
; %bb.9:                                ;   in Loop: Header=BB109_4 Depth=1
	v_lshl_add_u64 v[8:9], v[6:7], 1, s[12:13]
	global_load_ushort v1, v[8:9], off
	s_waitcnt vmcnt(0)
	v_cvt_f32_f16_e64 v1, |v1|
	v_add_f32_e32 v4, v4, v1
.LBB109_10:                             ;   in Loop: Header=BB109_4 Depth=1
	s_or_b64 exec, exec, s[2:3]
	v_add_u32_e32 v6, s14, v12
	v_cmp_gt_i64_e32 vcc, s[10:11], v[6:7]
	v_cmp_gt_u32_e64 s[2:3], s5, v6
	s_and_b64 s[18:19], s[2:3], vcc
	s_and_saveexec_b64 s[2:3], s[18:19]
	s_cbranch_execz .LBB109_3
; %bb.11:                               ;   in Loop: Header=BB109_4 Depth=1
	v_lshl_add_u64 v[8:9], v[6:7], 1, s[12:13]
	global_load_ushort v1, v[8:9], off
	s_waitcnt vmcnt(0)
	v_cvt_f32_f16_e64 v1, |v1|
	v_add_f32_e32 v5, v5, v1
	s_branch .LBB109_3
.LBB109_12:
                                        ; implicit-def: $vgpr2_vgpr3_vgpr4_vgpr5
	s_branch .LBB109_15
.LBB109_13:
	v_mov_b32_e32 v2, 0
	v_mov_b32_e32 v3, v2
	;; [unrolled: 1-line block ×4, first 2 shown]
.LBB109_14:
	s_cbranch_execnz .LBB109_20
.LBB109_15:
	v_mov_b64_e32 v[4:5], 0x10000
	v_cmp_lt_i64_e32 vcc, s[10:11], v[4:5]
	v_mov_b32_e32 v2, 0
	s_and_b64 s[2:3], vcc, exec
	s_cselect_b32 s3, s11, 0
	s_cselect_b32 s2, s10, 0x10000
	v_lshlrev_b32_e32 v4, 2, v0
	v_mov_b32_e32 v5, v2
	v_cmp_gt_i64_e32 vcc, s[2:3], v[4:5]
	s_mov_b32 s13, 0
	v_mov_b32_e32 v3, v2
	v_mov_b32_e32 v4, v2
	s_and_saveexec_b64 s[10:11], vcc
	s_cbranch_execz .LBB109_19
; %bb.16:
	s_load_dword s5, s[0:1], 0xd4c
	v_lshlrev_b32_e32 v4, 3, v0
	v_mov_b32_e32 v5, v2
	v_mov_b32_e32 v1, v2
	v_mov_b64_e32 v[8:9], v[0:1]
	s_waitcnt lgkmcnt(0)
	s_and_b32 s12, s5, 0xffff
	s_add_u32 s8, s6, s8
	s_addc_u32 s9, s7, s9
	v_lshl_add_u64 v[4:5], s[8:9], 0, v[4:5]
	s_lshl_b32 s6, s12, 3
	v_lshl_add_u64 v[6:7], v[4:5], 0, 4
	s_mov_b32 s7, s13
	s_mov_b64 s[8:9], 0
	v_mov_b32_e32 v3, v2
	v_mov_b32_e32 v4, v2
	;; [unrolled: 1-line block ×3, first 2 shown]
.LBB109_17:                             ; =>This Inner Loop Header: Depth=1
	global_load_dwordx2 v[10:11], v[6:7], off offset:-4
	v_lshl_add_u64 v[8:9], v[8:9], 0, s[12:13]
	v_lshlrev_b64 v[12:13], 2, v[8:9]
	v_cmp_le_i64_e32 vcc, s[2:3], v[12:13]
	v_lshl_add_u64 v[6:7], v[6:7], 0, s[6:7]
	s_or_b64 s[8:9], vcc, s[8:9]
	s_waitcnt vmcnt(0)
	v_cvt_f32_f16_sdwa v15, |v10| dst_sel:DWORD dst_unused:UNUSED_PAD src0_sel:WORD_1
	v_cvt_f32_f16_sdwa v17, |v11| dst_sel:DWORD dst_unused:UNUSED_PAD src0_sel:WORD_1
	v_cvt_f32_f16_e64 v16, |v11|
	v_cvt_f32_f16_e64 v14, |v10|
	v_pk_add_f32 v[4:5], v[4:5], v[16:17]
	v_pk_add_f32 v[2:3], v[2:3], v[14:15]
	s_andn2_b64 exec, exec, s[8:9]
	s_cbranch_execnz .LBB109_17
; %bb.18:
	s_or_b64 exec, exec, s[8:9]
.LBB109_19:
	s_or_b64 exec, exec, s[10:11]
.LBB109_20:
	v_add_f32_e32 v1, 0, v2
	v_add_f32_e32 v1, v3, v1
	v_add_f32_e32 v1, v4, v1
	v_add_f32_e32 v2, v5, v1
	v_mbcnt_lo_u32_b32 v1, -1, 0
	v_mbcnt_hi_u32_b32 v6, -1, v1
	v_mov_b32_e32 v1, 0x80
	v_lshl_or_b32 v1, v6, 2, v1
	ds_bpermute_b32 v3, v1, v2
	v_and_b32_e32 v9, 63, v6
	v_cmp_gt_u32_e32 vcc, 48, v9
	s_waitcnt lgkmcnt(0)
	s_barrier
	v_add_f32_e32 v3, v2, v3
	v_cndmask_b32_e64 v2, 0, 16, vcc
	v_add_lshl_u32 v2, v2, v6, 2
	ds_bpermute_b32 v4, v2, v3
	v_cmp_gt_u32_e32 vcc, 56, v9
	s_waitcnt lgkmcnt(0)
	v_add_f32_e32 v4, v3, v4
	v_cndmask_b32_e64 v3, 0, 8, vcc
	v_add_lshl_u32 v3, v3, v6, 2
	ds_bpermute_b32 v5, v3, v4
	v_cmp_gt_u32_e32 vcc, 60, v9
	s_waitcnt lgkmcnt(0)
	;; [unrolled: 6-line block ×3, first 2 shown]
	v_add_f32_e32 v7, v5, v7
	v_cndmask_b32_e64 v8, 0, 2, vcc
	v_add_lshl_u32 v5, v8, v6, 2
	ds_bpermute_b32 v10, v5, v7
	v_cmp_ne_u32_e32 vcc, 63, v9
	v_and_b32_e32 v8, 63, v0
	s_waitcnt lgkmcnt(0)
	v_add_f32_e32 v7, v7, v10
	v_addc_co_u32_e32 v6, vcc, 0, v6, vcc
	v_lshlrev_b32_e32 v6, 2, v6
	ds_bpermute_b32 v9, v6, v7
	v_cmp_eq_u32_e32 vcc, 0, v8
	s_and_saveexec_b64 s[2:3], vcc
	s_cbranch_execz .LBB109_22
; %bb.21:
	v_lshrrev_b32_e32 v10, 4, v0
	s_waitcnt lgkmcnt(0)
	v_add_f32_e32 v7, v7, v9
	ds_write_b32 v10, v7
.LBB109_22:
	s_or_b64 exec, exec, s[2:3]
	s_waitcnt lgkmcnt(0)
	s_barrier
	s_load_dword s2, s[0:1], 0xd4c
	v_mov_b32_e32 v7, 0
	s_waitcnt lgkmcnt(0)
	s_bfe_u32 s2, s2, 0xa0006
	v_cmp_gt_u32_e32 vcc, s2, v0
	s_and_saveexec_b64 s[2:3], vcc
	s_cbranch_execnz .LBB109_26
; %bb.23:
	s_or_b64 exec, exec, s[2:3]
	v_cmp_gt_u32_e32 vcc, 64, v0
	s_and_saveexec_b64 s[2:3], vcc
	s_cbranch_execnz .LBB109_27
.LBB109_24:
	s_or_b64 exec, exec, s[2:3]
	v_cmp_eq_u32_e32 vcc, 0, v0
	s_and_saveexec_b64 s[2:3], vcc
	s_cbranch_execnz .LBB109_28
.LBB109_25:
	s_endpgm
.LBB109_26:
	v_lshlrev_b32_e32 v7, 2, v8
	ds_read_b32 v7, v7
	s_or_b64 exec, exec, s[2:3]
	v_cmp_gt_u32_e32 vcc, 64, v0
	s_and_saveexec_b64 s[2:3], vcc
	s_cbranch_execz .LBB109_24
.LBB109_27:
	s_waitcnt lgkmcnt(0)
	ds_bpermute_b32 v1, v1, v7
	s_waitcnt lgkmcnt(0)
	v_add_f32_e32 v1, v7, v1
	ds_bpermute_b32 v2, v2, v1
	s_waitcnt lgkmcnt(0)
	v_add_f32_e32 v1, v1, v2
	;; [unrolled: 3-line block ×6, first 2 shown]
	s_or_b64 exec, exec, s[2:3]
	v_cmp_eq_u32_e32 vcc, 0, v0
	s_and_saveexec_b64 s[2:3], vcc
	s_cbranch_execz .LBB109_25
.LBB109_28:
	s_load_dword s5, s[0:1], 0xd20
	s_load_dword s6, s[0:1], 0xd38
	s_load_dwordx2 s[2:3], s[0:1], 0xd30
	v_mov_b32_e32 v0, 0
	s_waitcnt lgkmcnt(0)
	s_add_i32 s0, s5, s16
	s_mul_i32 s0, s0, s6
	s_add_i32 s0, s0, s4
	s_ashr_i32 s1, s0, 31
	s_lshl_b64 s[0:1], s[0:1], 2
	s_add_u32 s0, s2, s0
	s_addc_u32 s1, s3, s1
	global_store_dword v0, v7, s[0:1]
	s_endpgm
	.section	.rodata,"a",@progbits
	.p2align	6, 0x0
	.amdhsa_kernel _ZN2at6native12_GLOBAL__N_125multi_tensor_apply_kernelINS1_18TensorListMetadataILi1EEENS0_13LpNormFunctorIN3c104HalfELNS0_8NormTypeE1ENS6_8BFloat16ELi1ELi1ELi0EEEJPfiEEEvT_T0_DpT1_
		.amdhsa_group_segment_fixed_size 2048
		.amdhsa_private_segment_fixed_size 0
		.amdhsa_kernarg_size 3648
		.amdhsa_user_sgpr_count 2
		.amdhsa_user_sgpr_dispatch_ptr 0
		.amdhsa_user_sgpr_queue_ptr 0
		.amdhsa_user_sgpr_kernarg_segment_ptr 1
		.amdhsa_user_sgpr_dispatch_id 0
		.amdhsa_user_sgpr_kernarg_preload_length 0
		.amdhsa_user_sgpr_kernarg_preload_offset 0
		.amdhsa_user_sgpr_private_segment_size 0
		.amdhsa_uses_dynamic_stack 0
		.amdhsa_enable_private_segment 0
		.amdhsa_system_sgpr_workgroup_id_x 1
		.amdhsa_system_sgpr_workgroup_id_y 0
		.amdhsa_system_sgpr_workgroup_id_z 0
		.amdhsa_system_sgpr_workgroup_info 0
		.amdhsa_system_vgpr_workitem_id 0
		.amdhsa_next_free_vgpr 18
		.amdhsa_next_free_sgpr 20
		.amdhsa_accum_offset 20
		.amdhsa_reserve_vcc 1
		.amdhsa_float_round_mode_32 0
		.amdhsa_float_round_mode_16_64 0
		.amdhsa_float_denorm_mode_32 3
		.amdhsa_float_denorm_mode_16_64 3
		.amdhsa_dx10_clamp 1
		.amdhsa_ieee_mode 1
		.amdhsa_fp16_overflow 0
		.amdhsa_tg_split 0
		.amdhsa_exception_fp_ieee_invalid_op 0
		.amdhsa_exception_fp_denorm_src 0
		.amdhsa_exception_fp_ieee_div_zero 0
		.amdhsa_exception_fp_ieee_overflow 0
		.amdhsa_exception_fp_ieee_underflow 0
		.amdhsa_exception_fp_ieee_inexact 0
		.amdhsa_exception_int_div_zero 0
	.end_amdhsa_kernel
	.section	.text._ZN2at6native12_GLOBAL__N_125multi_tensor_apply_kernelINS1_18TensorListMetadataILi1EEENS0_13LpNormFunctorIN3c104HalfELNS0_8NormTypeE1ENS6_8BFloat16ELi1ELi1ELi0EEEJPfiEEEvT_T0_DpT1_,"axG",@progbits,_ZN2at6native12_GLOBAL__N_125multi_tensor_apply_kernelINS1_18TensorListMetadataILi1EEENS0_13LpNormFunctorIN3c104HalfELNS0_8NormTypeE1ENS6_8BFloat16ELi1ELi1ELi0EEEJPfiEEEvT_T0_DpT1_,comdat
.Lfunc_end109:
	.size	_ZN2at6native12_GLOBAL__N_125multi_tensor_apply_kernelINS1_18TensorListMetadataILi1EEENS0_13LpNormFunctorIN3c104HalfELNS0_8NormTypeE1ENS6_8BFloat16ELi1ELi1ELi0EEEJPfiEEEvT_T0_DpT1_, .Lfunc_end109-_ZN2at6native12_GLOBAL__N_125multi_tensor_apply_kernelINS1_18TensorListMetadataILi1EEENS0_13LpNormFunctorIN3c104HalfELNS0_8NormTypeE1ENS6_8BFloat16ELi1ELi1ELi0EEEJPfiEEEvT_T0_DpT1_
                                        ; -- End function
	.set _ZN2at6native12_GLOBAL__N_125multi_tensor_apply_kernelINS1_18TensorListMetadataILi1EEENS0_13LpNormFunctorIN3c104HalfELNS0_8NormTypeE1ENS6_8BFloat16ELi1ELi1ELi0EEEJPfiEEEvT_T0_DpT1_.num_vgpr, 18
	.set _ZN2at6native12_GLOBAL__N_125multi_tensor_apply_kernelINS1_18TensorListMetadataILi1EEENS0_13LpNormFunctorIN3c104HalfELNS0_8NormTypeE1ENS6_8BFloat16ELi1ELi1ELi0EEEJPfiEEEvT_T0_DpT1_.num_agpr, 0
	.set _ZN2at6native12_GLOBAL__N_125multi_tensor_apply_kernelINS1_18TensorListMetadataILi1EEENS0_13LpNormFunctorIN3c104HalfELNS0_8NormTypeE1ENS6_8BFloat16ELi1ELi1ELi0EEEJPfiEEEvT_T0_DpT1_.numbered_sgpr, 20
	.set _ZN2at6native12_GLOBAL__N_125multi_tensor_apply_kernelINS1_18TensorListMetadataILi1EEENS0_13LpNormFunctorIN3c104HalfELNS0_8NormTypeE1ENS6_8BFloat16ELi1ELi1ELi0EEEJPfiEEEvT_T0_DpT1_.num_named_barrier, 0
	.set _ZN2at6native12_GLOBAL__N_125multi_tensor_apply_kernelINS1_18TensorListMetadataILi1EEENS0_13LpNormFunctorIN3c104HalfELNS0_8NormTypeE1ENS6_8BFloat16ELi1ELi1ELi0EEEJPfiEEEvT_T0_DpT1_.private_seg_size, 0
	.set _ZN2at6native12_GLOBAL__N_125multi_tensor_apply_kernelINS1_18TensorListMetadataILi1EEENS0_13LpNormFunctorIN3c104HalfELNS0_8NormTypeE1ENS6_8BFloat16ELi1ELi1ELi0EEEJPfiEEEvT_T0_DpT1_.uses_vcc, 1
	.set _ZN2at6native12_GLOBAL__N_125multi_tensor_apply_kernelINS1_18TensorListMetadataILi1EEENS0_13LpNormFunctorIN3c104HalfELNS0_8NormTypeE1ENS6_8BFloat16ELi1ELi1ELi0EEEJPfiEEEvT_T0_DpT1_.uses_flat_scratch, 0
	.set _ZN2at6native12_GLOBAL__N_125multi_tensor_apply_kernelINS1_18TensorListMetadataILi1EEENS0_13LpNormFunctorIN3c104HalfELNS0_8NormTypeE1ENS6_8BFloat16ELi1ELi1ELi0EEEJPfiEEEvT_T0_DpT1_.has_dyn_sized_stack, 0
	.set _ZN2at6native12_GLOBAL__N_125multi_tensor_apply_kernelINS1_18TensorListMetadataILi1EEENS0_13LpNormFunctorIN3c104HalfELNS0_8NormTypeE1ENS6_8BFloat16ELi1ELi1ELi0EEEJPfiEEEvT_T0_DpT1_.has_recursion, 0
	.set _ZN2at6native12_GLOBAL__N_125multi_tensor_apply_kernelINS1_18TensorListMetadataILi1EEENS0_13LpNormFunctorIN3c104HalfELNS0_8NormTypeE1ENS6_8BFloat16ELi1ELi1ELi0EEEJPfiEEEvT_T0_DpT1_.has_indirect_call, 0
	.section	.AMDGPU.csdata,"",@progbits
; Kernel info:
; codeLenInByte = 1400
; TotalNumSgprs: 26
; NumVgprs: 18
; NumAgprs: 0
; TotalNumVgprs: 18
; ScratchSize: 0
; MemoryBound: 0
; FloatMode: 240
; IeeeMode: 1
; LDSByteSize: 2048 bytes/workgroup (compile time only)
; SGPRBlocks: 3
; VGPRBlocks: 2
; NumSGPRsForWavesPerEU: 26
; NumVGPRsForWavesPerEU: 18
; AccumOffset: 20
; Occupancy: 8
; WaveLimiterHint : 0
; COMPUTE_PGM_RSRC2:SCRATCH_EN: 0
; COMPUTE_PGM_RSRC2:USER_SGPR: 2
; COMPUTE_PGM_RSRC2:TRAP_HANDLER: 0
; COMPUTE_PGM_RSRC2:TGID_X_EN: 1
; COMPUTE_PGM_RSRC2:TGID_Y_EN: 0
; COMPUTE_PGM_RSRC2:TGID_Z_EN: 0
; COMPUTE_PGM_RSRC2:TIDIG_COMP_CNT: 0
; COMPUTE_PGM_RSRC3_GFX90A:ACCUM_OFFSET: 4
; COMPUTE_PGM_RSRC3_GFX90A:TG_SPLIT: 0
	.section	.text._ZN2at6native12_GLOBAL__N_125multi_tensor_apply_kernelINS1_18TensorListMetadataILi1EEENS0_13LpNormFunctorIN3c104HalfELNS0_8NormTypeE2ENS6_8BFloat16ELi1ELi1ELi0EEEJPfiEEEvT_T0_DpT1_,"axG",@progbits,_ZN2at6native12_GLOBAL__N_125multi_tensor_apply_kernelINS1_18TensorListMetadataILi1EEENS0_13LpNormFunctorIN3c104HalfELNS0_8NormTypeE2ENS6_8BFloat16ELi1ELi1ELi0EEEJPfiEEEvT_T0_DpT1_,comdat
	.globl	_ZN2at6native12_GLOBAL__N_125multi_tensor_apply_kernelINS1_18TensorListMetadataILi1EEENS0_13LpNormFunctorIN3c104HalfELNS0_8NormTypeE2ENS6_8BFloat16ELi1ELi1ELi0EEEJPfiEEEvT_T0_DpT1_ ; -- Begin function _ZN2at6native12_GLOBAL__N_125multi_tensor_apply_kernelINS1_18TensorListMetadataILi1EEENS0_13LpNormFunctorIN3c104HalfELNS0_8NormTypeE2ENS6_8BFloat16ELi1ELi1ELi0EEEJPfiEEEvT_T0_DpT1_
	.p2align	8
	.type	_ZN2at6native12_GLOBAL__N_125multi_tensor_apply_kernelINS1_18TensorListMetadataILi1EEENS0_13LpNormFunctorIN3c104HalfELNS0_8NormTypeE2ENS6_8BFloat16ELi1ELi1ELi0EEEJPfiEEEvT_T0_DpT1_,@function
_ZN2at6native12_GLOBAL__N_125multi_tensor_apply_kernelINS1_18TensorListMetadataILi1EEENS0_13LpNormFunctorIN3c104HalfELNS0_8NormTypeE2ENS6_8BFloat16ELi1ELi1ELi0EEEJPfiEEEvT_T0_DpT1_: ; @_ZN2at6native12_GLOBAL__N_125multi_tensor_apply_kernelINS1_18TensorListMetadataILi1EEENS0_13LpNormFunctorIN3c104HalfELNS0_8NormTypeE2ENS6_8BFloat16ELi1ELi1ELi0EEEJPfiEEEvT_T0_DpT1_
; %bb.0:
	v_mov_b32_e32 v1, s2
	global_load_ubyte v1, v1, s[0:1] offset:1760
	s_add_u32 s3, s0, s2
	s_mul_hi_u32 s4, s2, 3
	s_mul_i32 s2, s2, 3
	s_addc_u32 s5, s1, 0
	s_add_u32 s2, s3, s2
	s_addc_u32 s3, s5, s4
	s_load_dword s4, s[2:3], 0x820
	s_mov_b32 s15, 0
	s_waitcnt vmcnt(0)
	v_readfirstlane_b32 s2, v1
	s_and_b32 s16, s2, 0xff
	s_lshl_b32 s5, s16, 3
	s_load_dwordx2 s[2:3], s[0:1], s5 offset:0x370
	s_load_dwordx2 s[6:7], s[0:1], s5 offset:0x0
	s_waitcnt lgkmcnt(0)
	s_ashr_i32 s5, s4, 31
	s_lshl_b64 s[10:11], s[4:5], 16
	s_lshl_b64 s[8:9], s[4:5], 17
	s_add_u32 s12, s6, s8
	s_addc_u32 s13, s7, s9
	s_sub_u32 s10, s2, s10
	s_subb_u32 s11, s3, s11
	s_and_b32 s14, s2, 3
	s_and_b32 s2, s12, 7
	s_mov_b32 s3, s15
	s_or_b64 s[2:3], s[14:15], s[2:3]
	s_cmp_eq_u64 s[2:3], 0
	s_cbranch_scc1 .LBB110_12
; %bb.1:
	v_cmp_lt_i64_e64 s[2:3], s[10:11], 1
	s_and_b64 vcc, exec, s[2:3]
	s_cbranch_vccnz .LBB110_13
; %bb.2:
	s_load_dword s14, s[0:1], 0xd4c
	v_mov_b64_e32 v[2:3], 0x10000
	v_cmp_lt_i64_e32 vcc, s[10:11], v[2:3]
	s_and_b64 s[2:3], vcc, exec
	v_mov_b32_e32 v7, 0
	s_cselect_b32 s3, s11, 0
	s_cselect_b32 s2, s10, 0x10000
	s_waitcnt lgkmcnt(0)
	s_and_b32 s18, s14, 0xffff
	v_mov_b32_e32 v6, v7
	v_mad_u64_u32 v[12:13], s[14:15], s18, 3, v[0:1]
	v_mov_b32_e32 v8, v7
	v_mov_b32_e32 v9, v7
	v_mov_b64_e32 v[2:3], v[6:7]
	s_mov_b32 s5, 0x10000
	s_lshl_b32 s17, s18, 2
	v_lshl_add_u32 v10, s18, 1, v0
	v_add_u32_e32 v14, s18, v0
	s_mov_b64 s[14:15], 0
	v_mov_b64_e32 v[16:17], s[2:3]
	v_mov_b64_e32 v[4:5], v[8:9]
	s_branch .LBB110_4
.LBB110_3:                              ;   in Loop: Header=BB110_4 Depth=1
	s_or_b64 exec, exec, s[2:3]
	s_add_u32 s14, s14, s17
	s_addc_u32 s15, s15, 0
	v_cmp_lt_i64_e32 vcc, s[14:15], v[16:17]
	s_cbranch_vccz .LBB110_14
.LBB110_4:                              ; =>This Inner Loop Header: Depth=1
	v_add_u32_e32 v6, s14, v0
	v_cmp_gt_i64_e32 vcc, s[10:11], v[6:7]
	v_cmp_gt_u32_e64 s[2:3], s5, v6
	s_and_b64 s[18:19], s[2:3], vcc
	s_and_saveexec_b64 s[2:3], s[18:19]
	s_cbranch_execz .LBB110_6
; %bb.5:                                ;   in Loop: Header=BB110_4 Depth=1
	v_lshl_add_u64 v[8:9], v[6:7], 1, s[12:13]
	global_load_ushort v1, v[8:9], off
	s_waitcnt vmcnt(0)
	v_fma_mix_f32 v2, v1, v1, v2 op_sel_hi:[1,1,0]
.LBB110_6:                              ;   in Loop: Header=BB110_4 Depth=1
	s_or_b64 exec, exec, s[2:3]
	v_add_u32_e32 v6, s14, v14
	v_cmp_gt_i64_e32 vcc, s[10:11], v[6:7]
	v_cmp_gt_u32_e64 s[2:3], s5, v6
	s_and_b64 s[18:19], s[2:3], vcc
	s_and_saveexec_b64 s[2:3], s[18:19]
	s_cbranch_execz .LBB110_8
; %bb.7:                                ;   in Loop: Header=BB110_4 Depth=1
	v_lshl_add_u64 v[8:9], v[6:7], 1, s[12:13]
	global_load_ushort v1, v[8:9], off
	s_waitcnt vmcnt(0)
	v_fma_mix_f32 v3, v1, v1, v3 op_sel_hi:[1,1,0]
.LBB110_8:                              ;   in Loop: Header=BB110_4 Depth=1
	s_or_b64 exec, exec, s[2:3]
	v_add_u32_e32 v6, s14, v10
	v_cmp_gt_i64_e32 vcc, s[10:11], v[6:7]
	v_cmp_gt_u32_e64 s[2:3], s5, v6
	s_and_b64 s[18:19], s[2:3], vcc
	s_and_saveexec_b64 s[2:3], s[18:19]
	s_cbranch_execz .LBB110_10
; %bb.9:                                ;   in Loop: Header=BB110_4 Depth=1
	v_lshl_add_u64 v[8:9], v[6:7], 1, s[12:13]
	global_load_ushort v1, v[8:9], off
	s_waitcnt vmcnt(0)
	v_fma_mix_f32 v4, v1, v1, v4 op_sel_hi:[1,1,0]
.LBB110_10:                             ;   in Loop: Header=BB110_4 Depth=1
	s_or_b64 exec, exec, s[2:3]
	v_add_u32_e32 v6, s14, v12
	v_cmp_gt_i64_e32 vcc, s[10:11], v[6:7]
	v_cmp_gt_u32_e64 s[2:3], s5, v6
	s_and_b64 s[18:19], s[2:3], vcc
	s_and_saveexec_b64 s[2:3], s[18:19]
	s_cbranch_execz .LBB110_3
; %bb.11:                               ;   in Loop: Header=BB110_4 Depth=1
	v_lshl_add_u64 v[8:9], v[6:7], 1, s[12:13]
	global_load_ushort v1, v[8:9], off
	s_waitcnt vmcnt(0)
	v_fma_mix_f32 v5, v1, v1, v5 op_sel_hi:[1,1,0]
	s_branch .LBB110_3
.LBB110_12:
                                        ; implicit-def: $vgpr2_vgpr3_vgpr4_vgpr5
	s_branch .LBB110_15
.LBB110_13:
	v_mov_b32_e32 v2, 0
	v_mov_b32_e32 v3, v2
	;; [unrolled: 1-line block ×4, first 2 shown]
.LBB110_14:
	s_cbranch_execnz .LBB110_20
.LBB110_15:
	v_mov_b64_e32 v[4:5], 0x10000
	v_cmp_lt_i64_e32 vcc, s[10:11], v[4:5]
	v_mov_b32_e32 v2, 0
	s_and_b64 s[2:3], vcc, exec
	s_cselect_b32 s3, s11, 0
	s_cselect_b32 s2, s10, 0x10000
	v_lshlrev_b32_e32 v4, 2, v0
	v_mov_b32_e32 v5, v2
	v_cmp_gt_i64_e32 vcc, s[2:3], v[4:5]
	s_mov_b32 s13, 0
	v_mov_b32_e32 v3, v2
	v_mov_b32_e32 v4, v2
	s_and_saveexec_b64 s[10:11], vcc
	s_cbranch_execz .LBB110_19
; %bb.16:
	s_load_dword s5, s[0:1], 0xd4c
	v_lshlrev_b32_e32 v4, 3, v0
	v_mov_b32_e32 v5, v2
	v_mov_b32_e32 v1, v2
	v_mov_b64_e32 v[8:9], v[0:1]
	s_waitcnt lgkmcnt(0)
	s_and_b32 s12, s5, 0xffff
	s_add_u32 s8, s6, s8
	s_addc_u32 s9, s7, s9
	v_lshl_add_u64 v[4:5], s[8:9], 0, v[4:5]
	s_lshl_b32 s6, s12, 3
	v_lshl_add_u64 v[6:7], v[4:5], 0, 4
	s_mov_b32 s7, s13
	s_mov_b64 s[8:9], 0
	v_mov_b32_e32 v3, v2
	v_mov_b32_e32 v4, v2
	;; [unrolled: 1-line block ×3, first 2 shown]
.LBB110_17:                             ; =>This Inner Loop Header: Depth=1
	global_load_dwordx2 v[10:11], v[6:7], off offset:-4
	v_lshl_add_u64 v[8:9], v[8:9], 0, s[12:13]
	v_lshlrev_b64 v[12:13], 2, v[8:9]
	v_cmp_le_i64_e32 vcc, s[2:3], v[12:13]
	v_lshl_add_u64 v[6:7], v[6:7], 0, s[6:7]
	s_or_b64 s[8:9], vcc, s[8:9]
	s_waitcnt vmcnt(0)
	v_cvt_f32_f16_sdwa v15, v10 dst_sel:DWORD dst_unused:UNUSED_PAD src0_sel:WORD_1
	v_cvt_f32_f16_sdwa v17, v11 dst_sel:DWORD dst_unused:UNUSED_PAD src0_sel:WORD_1
	v_cvt_f32_f16_e32 v16, v11
	v_cvt_f32_f16_e32 v14, v10
	v_pk_fma_f32 v[4:5], v[16:17], v[16:17], v[4:5]
	v_pk_fma_f32 v[2:3], v[14:15], v[14:15], v[2:3]
	s_andn2_b64 exec, exec, s[8:9]
	s_cbranch_execnz .LBB110_17
; %bb.18:
	s_or_b64 exec, exec, s[8:9]
.LBB110_19:
	s_or_b64 exec, exec, s[10:11]
.LBB110_20:
	v_add_f32_e32 v1, 0, v2
	v_add_f32_e32 v1, v3, v1
	;; [unrolled: 1-line block ×4, first 2 shown]
	v_mbcnt_lo_u32_b32 v1, -1, 0
	v_mbcnt_hi_u32_b32 v6, -1, v1
	v_mov_b32_e32 v1, 0x80
	v_lshl_or_b32 v1, v6, 2, v1
	ds_bpermute_b32 v3, v1, v2
	v_and_b32_e32 v9, 63, v6
	v_cmp_gt_u32_e32 vcc, 48, v9
	s_waitcnt lgkmcnt(0)
	s_barrier
	v_add_f32_e32 v3, v2, v3
	v_cndmask_b32_e64 v2, 0, 16, vcc
	v_add_lshl_u32 v2, v2, v6, 2
	ds_bpermute_b32 v4, v2, v3
	v_cmp_gt_u32_e32 vcc, 56, v9
	s_waitcnt lgkmcnt(0)
	v_add_f32_e32 v4, v3, v4
	v_cndmask_b32_e64 v3, 0, 8, vcc
	v_add_lshl_u32 v3, v3, v6, 2
	ds_bpermute_b32 v5, v3, v4
	v_cmp_gt_u32_e32 vcc, 60, v9
	s_waitcnt lgkmcnt(0)
	;; [unrolled: 6-line block ×3, first 2 shown]
	v_add_f32_e32 v7, v5, v7
	v_cndmask_b32_e64 v8, 0, 2, vcc
	v_add_lshl_u32 v5, v8, v6, 2
	ds_bpermute_b32 v10, v5, v7
	v_cmp_ne_u32_e32 vcc, 63, v9
	v_and_b32_e32 v8, 63, v0
	s_waitcnt lgkmcnt(0)
	v_add_f32_e32 v7, v7, v10
	v_addc_co_u32_e32 v6, vcc, 0, v6, vcc
	v_lshlrev_b32_e32 v6, 2, v6
	ds_bpermute_b32 v9, v6, v7
	v_cmp_eq_u32_e32 vcc, 0, v8
	s_and_saveexec_b64 s[2:3], vcc
	s_cbranch_execz .LBB110_22
; %bb.21:
	v_lshrrev_b32_e32 v10, 4, v0
	s_waitcnt lgkmcnt(0)
	v_add_f32_e32 v7, v7, v9
	ds_write_b32 v10, v7
.LBB110_22:
	s_or_b64 exec, exec, s[2:3]
	s_waitcnt lgkmcnt(0)
	s_barrier
	s_load_dword s2, s[0:1], 0xd4c
	v_mov_b32_e32 v7, 0
	s_waitcnt lgkmcnt(0)
	s_bfe_u32 s2, s2, 0xa0006
	v_cmp_gt_u32_e32 vcc, s2, v0
	s_and_saveexec_b64 s[2:3], vcc
	s_cbranch_execnz .LBB110_26
; %bb.23:
	s_or_b64 exec, exec, s[2:3]
	v_cmp_gt_u32_e32 vcc, 64, v0
	s_and_saveexec_b64 s[2:3], vcc
	s_cbranch_execnz .LBB110_27
.LBB110_24:
	s_or_b64 exec, exec, s[2:3]
	v_cmp_eq_u32_e32 vcc, 0, v0
	s_and_saveexec_b64 s[2:3], vcc
	s_cbranch_execnz .LBB110_28
.LBB110_25:
	s_endpgm
.LBB110_26:
	v_lshlrev_b32_e32 v7, 2, v8
	ds_read_b32 v7, v7
	s_or_b64 exec, exec, s[2:3]
	v_cmp_gt_u32_e32 vcc, 64, v0
	s_and_saveexec_b64 s[2:3], vcc
	s_cbranch_execz .LBB110_24
.LBB110_27:
	s_waitcnt lgkmcnt(0)
	ds_bpermute_b32 v1, v1, v7
	s_waitcnt lgkmcnt(0)
	v_add_f32_e32 v1, v7, v1
	ds_bpermute_b32 v2, v2, v1
	s_waitcnt lgkmcnt(0)
	v_add_f32_e32 v1, v1, v2
	;; [unrolled: 3-line block ×6, first 2 shown]
	s_or_b64 exec, exec, s[2:3]
	v_cmp_eq_u32_e32 vcc, 0, v0
	s_and_saveexec_b64 s[2:3], vcc
	s_cbranch_execz .LBB110_25
.LBB110_28:
	s_load_dword s5, s[0:1], 0xd20
	s_load_dword s6, s[0:1], 0xd38
	s_load_dwordx2 s[2:3], s[0:1], 0xd30
	v_mov_b32_e32 v0, 0
	s_waitcnt lgkmcnt(0)
	s_add_i32 s0, s5, s16
	s_mul_i32 s0, s0, s6
	s_add_i32 s0, s0, s4
	s_ashr_i32 s1, s0, 31
	s_lshl_b64 s[0:1], s[0:1], 2
	s_add_u32 s0, s2, s0
	s_addc_u32 s1, s3, s1
	global_store_dword v0, v7, s[0:1]
	s_endpgm
	.section	.rodata,"a",@progbits
	.p2align	6, 0x0
	.amdhsa_kernel _ZN2at6native12_GLOBAL__N_125multi_tensor_apply_kernelINS1_18TensorListMetadataILi1EEENS0_13LpNormFunctorIN3c104HalfELNS0_8NormTypeE2ENS6_8BFloat16ELi1ELi1ELi0EEEJPfiEEEvT_T0_DpT1_
		.amdhsa_group_segment_fixed_size 2048
		.amdhsa_private_segment_fixed_size 0
		.amdhsa_kernarg_size 3648
		.amdhsa_user_sgpr_count 2
		.amdhsa_user_sgpr_dispatch_ptr 0
		.amdhsa_user_sgpr_queue_ptr 0
		.amdhsa_user_sgpr_kernarg_segment_ptr 1
		.amdhsa_user_sgpr_dispatch_id 0
		.amdhsa_user_sgpr_kernarg_preload_length 0
		.amdhsa_user_sgpr_kernarg_preload_offset 0
		.amdhsa_user_sgpr_private_segment_size 0
		.amdhsa_uses_dynamic_stack 0
		.amdhsa_enable_private_segment 0
		.amdhsa_system_sgpr_workgroup_id_x 1
		.amdhsa_system_sgpr_workgroup_id_y 0
		.amdhsa_system_sgpr_workgroup_id_z 0
		.amdhsa_system_sgpr_workgroup_info 0
		.amdhsa_system_vgpr_workitem_id 0
		.amdhsa_next_free_vgpr 18
		.amdhsa_next_free_sgpr 20
		.amdhsa_accum_offset 20
		.amdhsa_reserve_vcc 1
		.amdhsa_float_round_mode_32 0
		.amdhsa_float_round_mode_16_64 0
		.amdhsa_float_denorm_mode_32 3
		.amdhsa_float_denorm_mode_16_64 3
		.amdhsa_dx10_clamp 1
		.amdhsa_ieee_mode 1
		.amdhsa_fp16_overflow 0
		.amdhsa_tg_split 0
		.amdhsa_exception_fp_ieee_invalid_op 0
		.amdhsa_exception_fp_denorm_src 0
		.amdhsa_exception_fp_ieee_div_zero 0
		.amdhsa_exception_fp_ieee_overflow 0
		.amdhsa_exception_fp_ieee_underflow 0
		.amdhsa_exception_fp_ieee_inexact 0
		.amdhsa_exception_int_div_zero 0
	.end_amdhsa_kernel
	.section	.text._ZN2at6native12_GLOBAL__N_125multi_tensor_apply_kernelINS1_18TensorListMetadataILi1EEENS0_13LpNormFunctorIN3c104HalfELNS0_8NormTypeE2ENS6_8BFloat16ELi1ELi1ELi0EEEJPfiEEEvT_T0_DpT1_,"axG",@progbits,_ZN2at6native12_GLOBAL__N_125multi_tensor_apply_kernelINS1_18TensorListMetadataILi1EEENS0_13LpNormFunctorIN3c104HalfELNS0_8NormTypeE2ENS6_8BFloat16ELi1ELi1ELi0EEEJPfiEEEvT_T0_DpT1_,comdat
.Lfunc_end110:
	.size	_ZN2at6native12_GLOBAL__N_125multi_tensor_apply_kernelINS1_18TensorListMetadataILi1EEENS0_13LpNormFunctorIN3c104HalfELNS0_8NormTypeE2ENS6_8BFloat16ELi1ELi1ELi0EEEJPfiEEEvT_T0_DpT1_, .Lfunc_end110-_ZN2at6native12_GLOBAL__N_125multi_tensor_apply_kernelINS1_18TensorListMetadataILi1EEENS0_13LpNormFunctorIN3c104HalfELNS0_8NormTypeE2ENS6_8BFloat16ELi1ELi1ELi0EEEJPfiEEEvT_T0_DpT1_
                                        ; -- End function
	.set _ZN2at6native12_GLOBAL__N_125multi_tensor_apply_kernelINS1_18TensorListMetadataILi1EEENS0_13LpNormFunctorIN3c104HalfELNS0_8NormTypeE2ENS6_8BFloat16ELi1ELi1ELi0EEEJPfiEEEvT_T0_DpT1_.num_vgpr, 18
	.set _ZN2at6native12_GLOBAL__N_125multi_tensor_apply_kernelINS1_18TensorListMetadataILi1EEENS0_13LpNormFunctorIN3c104HalfELNS0_8NormTypeE2ENS6_8BFloat16ELi1ELi1ELi0EEEJPfiEEEvT_T0_DpT1_.num_agpr, 0
	.set _ZN2at6native12_GLOBAL__N_125multi_tensor_apply_kernelINS1_18TensorListMetadataILi1EEENS0_13LpNormFunctorIN3c104HalfELNS0_8NormTypeE2ENS6_8BFloat16ELi1ELi1ELi0EEEJPfiEEEvT_T0_DpT1_.numbered_sgpr, 20
	.set _ZN2at6native12_GLOBAL__N_125multi_tensor_apply_kernelINS1_18TensorListMetadataILi1EEENS0_13LpNormFunctorIN3c104HalfELNS0_8NormTypeE2ENS6_8BFloat16ELi1ELi1ELi0EEEJPfiEEEvT_T0_DpT1_.num_named_barrier, 0
	.set _ZN2at6native12_GLOBAL__N_125multi_tensor_apply_kernelINS1_18TensorListMetadataILi1EEENS0_13LpNormFunctorIN3c104HalfELNS0_8NormTypeE2ENS6_8BFloat16ELi1ELi1ELi0EEEJPfiEEEvT_T0_DpT1_.private_seg_size, 0
	.set _ZN2at6native12_GLOBAL__N_125multi_tensor_apply_kernelINS1_18TensorListMetadataILi1EEENS0_13LpNormFunctorIN3c104HalfELNS0_8NormTypeE2ENS6_8BFloat16ELi1ELi1ELi0EEEJPfiEEEvT_T0_DpT1_.uses_vcc, 1
	.set _ZN2at6native12_GLOBAL__N_125multi_tensor_apply_kernelINS1_18TensorListMetadataILi1EEENS0_13LpNormFunctorIN3c104HalfELNS0_8NormTypeE2ENS6_8BFloat16ELi1ELi1ELi0EEEJPfiEEEvT_T0_DpT1_.uses_flat_scratch, 0
	.set _ZN2at6native12_GLOBAL__N_125multi_tensor_apply_kernelINS1_18TensorListMetadataILi1EEENS0_13LpNormFunctorIN3c104HalfELNS0_8NormTypeE2ENS6_8BFloat16ELi1ELi1ELi0EEEJPfiEEEvT_T0_DpT1_.has_dyn_sized_stack, 0
	.set _ZN2at6native12_GLOBAL__N_125multi_tensor_apply_kernelINS1_18TensorListMetadataILi1EEENS0_13LpNormFunctorIN3c104HalfELNS0_8NormTypeE2ENS6_8BFloat16ELi1ELi1ELi0EEEJPfiEEEvT_T0_DpT1_.has_recursion, 0
	.set _ZN2at6native12_GLOBAL__N_125multi_tensor_apply_kernelINS1_18TensorListMetadataILi1EEENS0_13LpNormFunctorIN3c104HalfELNS0_8NormTypeE2ENS6_8BFloat16ELi1ELi1ELi0EEEJPfiEEEvT_T0_DpT1_.has_indirect_call, 0
	.section	.AMDGPU.csdata,"",@progbits
; Kernel info:
; codeLenInByte = 1376
; TotalNumSgprs: 26
; NumVgprs: 18
; NumAgprs: 0
; TotalNumVgprs: 18
; ScratchSize: 0
; MemoryBound: 0
; FloatMode: 240
; IeeeMode: 1
; LDSByteSize: 2048 bytes/workgroup (compile time only)
; SGPRBlocks: 3
; VGPRBlocks: 2
; NumSGPRsForWavesPerEU: 26
; NumVGPRsForWavesPerEU: 18
; AccumOffset: 20
; Occupancy: 8
; WaveLimiterHint : 0
; COMPUTE_PGM_RSRC2:SCRATCH_EN: 0
; COMPUTE_PGM_RSRC2:USER_SGPR: 2
; COMPUTE_PGM_RSRC2:TRAP_HANDLER: 0
; COMPUTE_PGM_RSRC2:TGID_X_EN: 1
; COMPUTE_PGM_RSRC2:TGID_Y_EN: 0
; COMPUTE_PGM_RSRC2:TGID_Z_EN: 0
; COMPUTE_PGM_RSRC2:TIDIG_COMP_CNT: 0
; COMPUTE_PGM_RSRC3_GFX90A:ACCUM_OFFSET: 4
; COMPUTE_PGM_RSRC3_GFX90A:TG_SPLIT: 0
	.section	.text._ZN2at6native12_GLOBAL__N_125multi_tensor_apply_kernelINS1_18TensorListMetadataILi1EEENS0_13LpNormFunctorIN3c104HalfELNS0_8NormTypeE3ENS6_8BFloat16ELi1ELi1ELi0EEEJPfiEEEvT_T0_DpT1_,"axG",@progbits,_ZN2at6native12_GLOBAL__N_125multi_tensor_apply_kernelINS1_18TensorListMetadataILi1EEENS0_13LpNormFunctorIN3c104HalfELNS0_8NormTypeE3ENS6_8BFloat16ELi1ELi1ELi0EEEJPfiEEEvT_T0_DpT1_,comdat
	.globl	_ZN2at6native12_GLOBAL__N_125multi_tensor_apply_kernelINS1_18TensorListMetadataILi1EEENS0_13LpNormFunctorIN3c104HalfELNS0_8NormTypeE3ENS6_8BFloat16ELi1ELi1ELi0EEEJPfiEEEvT_T0_DpT1_ ; -- Begin function _ZN2at6native12_GLOBAL__N_125multi_tensor_apply_kernelINS1_18TensorListMetadataILi1EEENS0_13LpNormFunctorIN3c104HalfELNS0_8NormTypeE3ENS6_8BFloat16ELi1ELi1ELi0EEEJPfiEEEvT_T0_DpT1_
	.p2align	8
	.type	_ZN2at6native12_GLOBAL__N_125multi_tensor_apply_kernelINS1_18TensorListMetadataILi1EEENS0_13LpNormFunctorIN3c104HalfELNS0_8NormTypeE3ENS6_8BFloat16ELi1ELi1ELi0EEEJPfiEEEvT_T0_DpT1_,@function
_ZN2at6native12_GLOBAL__N_125multi_tensor_apply_kernelINS1_18TensorListMetadataILi1EEENS0_13LpNormFunctorIN3c104HalfELNS0_8NormTypeE3ENS6_8BFloat16ELi1ELi1ELi0EEEJPfiEEEvT_T0_DpT1_: ; @_ZN2at6native12_GLOBAL__N_125multi_tensor_apply_kernelINS1_18TensorListMetadataILi1EEENS0_13LpNormFunctorIN3c104HalfELNS0_8NormTypeE3ENS6_8BFloat16ELi1ELi1ELi0EEEJPfiEEEvT_T0_DpT1_
; %bb.0:
	v_mov_b32_e32 v1, s2
	global_load_ubyte v1, v1, s[0:1] offset:1760
	s_add_u32 s3, s0, s2
	s_mul_hi_u32 s4, s2, 3
	s_mul_i32 s2, s2, 3
	s_addc_u32 s5, s1, 0
	s_add_u32 s2, s3, s2
	s_addc_u32 s3, s5, s4
	s_load_dword s14, s[2:3], 0x820
	s_mov_b32 s13, 0
	s_waitcnt lgkmcnt(0)
	s_ashr_i32 s15, s14, 31
	s_lshl_b64 s[8:9], s[14:15], 16
	s_waitcnt vmcnt(0)
	v_readfirstlane_b32 s2, v1
	s_and_b32 s26, s2, 0xff
	s_lshl_b32 s6, s26, 3
	s_load_dwordx2 s[2:3], s[0:1], s6 offset:0x370
	s_load_dwordx2 s[4:5], s[0:1], s6 offset:0x0
	s_lshl_b64 s[6:7], s[14:15], 17
	s_waitcnt lgkmcnt(0)
	s_add_u32 s10, s4, s6
	s_addc_u32 s11, s5, s7
	s_sub_u32 s8, s2, s8
	s_subb_u32 s9, s3, s9
	s_and_b32 s12, s2, 3
	s_and_b32 s2, s10, 7
	s_mov_b32 s3, s13
	s_or_b64 s[2:3], s[12:13], s[2:3]
	s_cmp_eq_u64 s[2:3], 0
	s_cbranch_scc1 .LBB111_12
; %bb.1:
	v_cmp_lt_i64_e64 s[2:3], s[8:9], 1
	s_and_b64 vcc, exec, s[2:3]
	s_cbranch_vccnz .LBB111_13
; %bb.2:
	v_mov_b64_e32 v[2:3], 0x10000
	v_cmp_lt_i64_e32 vcc, s[8:9], v[2:3]
	s_and_b64 s[2:3], vcc, exec
	s_load_dword s2, s[0:1], 0xd4c
	v_mov_b32_e32 v7, 0
	v_mov_b32_e32 v6, v7
	s_cselect_b32 s13, s9, 0
	s_cselect_b32 s12, s8, 0x10000
	s_waitcnt lgkmcnt(0)
	s_and_b32 s16, s2, 0xffff
	v_mov_b32_e32 v8, v7
	v_mov_b32_e32 v9, v7
	v_mov_b64_e32 v[2:3], v[6:7]
	s_mov_b32 s15, 0x10000
	s_lshl_b32 s20, s16, 2
	v_lshl_add_u32 v10, s16, 1, v0
	v_mad_u64_u32 v[12:13], s[2:3], s16, 3, v[0:1]
	v_add_u32_e32 v14, s16, v0
	s_mov_b64 s[16:17], 0
	v_mov_b64_e32 v[4:5], v[8:9]
	s_branch .LBB111_4
.LBB111_3:                              ;   in Loop: Header=BB111_4 Depth=1
	s_or_b64 exec, exec, s[18:19]
	s_add_u32 s16, s16, s20
	s_addc_u32 s17, s17, 0
	v_mov_b64_e32 v[8:9], s[12:13]
	v_cmp_lt_i64_e32 vcc, s[16:17], v[8:9]
	s_cbranch_vccz .LBB111_14
.LBB111_4:                              ; =>This Inner Loop Header: Depth=1
	v_add_u32_e32 v6, s16, v0
	v_cmp_gt_i64_e32 vcc, s[8:9], v[6:7]
	v_cmp_gt_u32_e64 s[2:3], s15, v6
	s_and_b64 s[2:3], s[2:3], vcc
	s_and_saveexec_b64 s[18:19], s[2:3]
	s_cbranch_execz .LBB111_6
; %bb.5:                                ;   in Loop: Header=BB111_4 Depth=1
	v_lshl_add_u64 v[8:9], v[6:7], 1, s[10:11]
	global_load_ushort v1, v[8:9], off
	s_waitcnt vmcnt(0)
	v_cvt_f32_f16_e64 v6, |v1|
	v_cmp_u_f16_e32 vcc, v1, v1
	v_cmp_lt_f32_e64 s[2:3], v2, v6
	s_or_b64 vcc, vcc, s[2:3]
	v_cndmask_b32_e32 v2, v2, v6, vcc
.LBB111_6:                              ;   in Loop: Header=BB111_4 Depth=1
	s_or_b64 exec, exec, s[18:19]
	v_add_u32_e32 v6, s16, v14
	v_cmp_gt_i64_e32 vcc, s[8:9], v[6:7]
	v_cmp_gt_u32_e64 s[2:3], s15, v6
	s_and_b64 s[2:3], s[2:3], vcc
	s_and_saveexec_b64 s[18:19], s[2:3]
	s_cbranch_execz .LBB111_8
; %bb.7:                                ;   in Loop: Header=BB111_4 Depth=1
	v_lshl_add_u64 v[8:9], v[6:7], 1, s[10:11]
	global_load_ushort v1, v[8:9], off
	s_waitcnt vmcnt(0)
	v_cvt_f32_f16_e64 v6, |v1|
	v_cmp_u_f16_e32 vcc, v1, v1
	v_cmp_lt_f32_e64 s[2:3], v3, v6
	s_or_b64 vcc, vcc, s[2:3]
	v_cndmask_b32_e32 v3, v3, v6, vcc
.LBB111_8:                              ;   in Loop: Header=BB111_4 Depth=1
	s_or_b64 exec, exec, s[18:19]
	v_add_u32_e32 v6, s16, v10
	v_cmp_gt_i64_e32 vcc, s[8:9], v[6:7]
	v_cmp_gt_u32_e64 s[2:3], s15, v6
	s_and_b64 s[2:3], s[2:3], vcc
	s_and_saveexec_b64 s[18:19], s[2:3]
	s_cbranch_execz .LBB111_10
; %bb.9:                                ;   in Loop: Header=BB111_4 Depth=1
	v_lshl_add_u64 v[8:9], v[6:7], 1, s[10:11]
	global_load_ushort v1, v[8:9], off
	s_waitcnt vmcnt(0)
	v_cvt_f32_f16_e64 v6, |v1|
	v_cmp_u_f16_e32 vcc, v1, v1
	v_cmp_lt_f32_e64 s[2:3], v4, v6
	s_or_b64 vcc, vcc, s[2:3]
	v_cndmask_b32_e32 v4, v4, v6, vcc
.LBB111_10:                             ;   in Loop: Header=BB111_4 Depth=1
	s_or_b64 exec, exec, s[18:19]
	v_add_u32_e32 v6, s16, v12
	v_cmp_gt_i64_e32 vcc, s[8:9], v[6:7]
	v_cmp_gt_u32_e64 s[2:3], s15, v6
	s_and_b64 s[2:3], s[2:3], vcc
	s_and_saveexec_b64 s[18:19], s[2:3]
	s_cbranch_execz .LBB111_3
; %bb.11:                               ;   in Loop: Header=BB111_4 Depth=1
	v_lshl_add_u64 v[8:9], v[6:7], 1, s[10:11]
	global_load_ushort v1, v[8:9], off
	s_waitcnt vmcnt(0)
	v_cvt_f32_f16_e64 v6, |v1|
	v_cmp_u_f16_e32 vcc, v1, v1
	v_cmp_lt_f32_e64 s[2:3], v5, v6
	s_or_b64 vcc, vcc, s[2:3]
	v_cndmask_b32_e32 v5, v5, v6, vcc
	s_branch .LBB111_3
.LBB111_12:
                                        ; implicit-def: $vgpr2_vgpr3_vgpr4_vgpr5
	s_branch .LBB111_15
.LBB111_13:
	v_mov_b32_e32 v2, 0
	v_mov_b32_e32 v3, v2
	;; [unrolled: 1-line block ×4, first 2 shown]
.LBB111_14:
	s_cbranch_execnz .LBB111_20
.LBB111_15:
	v_mov_b64_e32 v[4:5], 0x10000
	v_cmp_lt_i64_e32 vcc, s[8:9], v[4:5]
	s_and_b64 s[2:3], vcc, exec
	v_mov_b32_e32 v3, 0
	s_cselect_b32 s17, s9, 0
	s_cselect_b32 s16, s8, 0x10000
	v_lshlrev_b32_e32 v2, 2, v0
	v_cmp_gt_i64_e32 vcc, s[16:17], v[2:3]
	s_mov_b32 s21, 0
	v_mov_b32_e32 v2, v3
	v_mov_b32_e32 v4, v3
	;; [unrolled: 1-line block ×3, first 2 shown]
	s_and_saveexec_b64 s[18:19], vcc
	s_cbranch_execz .LBB111_19
; %bb.16:
	s_load_dword s2, s[0:1], 0xd4c
	v_lshlrev_b32_e32 v2, 3, v0
	v_mov_b32_e32 v1, v3
	s_mov_b32 s23, s21
	s_mov_b64 s[24:25], 0
	s_waitcnt lgkmcnt(0)
	s_and_b32 s20, s2, 0xffff
	s_add_u32 s2, s4, s6
	s_addc_u32 s3, s5, s7
	v_lshl_add_u64 v[4:5], s[2:3], 0, v[2:3]
	s_lshl_b32 s22, s20, 3
	v_lshl_add_u64 v[8:9], v[4:5], 0, 4
	v_mov_b64_e32 v[10:11], v[0:1]
	v_mov_b32_e32 v5, 0
	v_mov_b32_e32 v6, 0
	;; [unrolled: 1-line block ×3, first 2 shown]
.LBB111_17:                             ; =>This Inner Loop Header: Depth=1
	global_load_dwordx2 v[12:13], v[8:9], off offset:-4
	v_lshl_add_u64 v[10:11], v[10:11], 0, s[20:21]
	v_lshlrev_b64 v[14:15], 2, v[10:11]
	v_cmp_le_i64_e32 vcc, s[16:17], v[14:15]
	v_lshl_add_u64 v[8:9], v[8:9], 0, s[22:23]
	s_waitcnt vmcnt(0)
	v_cvt_f32_f16_e64 v1, |v12|
	v_cvt_f32_f16_sdwa v2, |v12| dst_sel:DWORD dst_unused:UNUSED_PAD src0_sel:WORD_1
	v_cvt_f32_f16_e64 v4, |v13|
	v_cmp_u_f16_e64 s[2:3], v12, v12
	v_cmp_u_f16_sdwa s[28:29], v12, v12 src0_sel:WORD_1 src1_sel:WORD_1
	v_cvt_f32_f16_sdwa v12, |v13| dst_sel:DWORD dst_unused:UNUSED_PAD src0_sel:WORD_1
	v_cmp_lt_f32_e64 s[6:7], v3, v1
	v_cmp_lt_f32_e64 s[8:9], v5, v2
	s_or_b64 s[2:3], s[2:3], s[6:7]
	v_cmp_u_f16_e64 s[4:5], v13, v13
	v_cmp_lt_f32_e64 s[10:11], v6, v4
	v_cndmask_b32_e64 v3, v3, v1, s[2:3]
	s_or_b64 s[2:3], s[28:29], s[8:9]
	v_cmp_u_f16_sdwa s[30:31], v13, v13 src0_sel:WORD_1 src1_sel:WORD_1
	v_cmp_lt_f32_e64 s[12:13], v7, v12
	v_cndmask_b32_e64 v5, v5, v2, s[2:3]
	s_or_b64 s[2:3], s[4:5], s[10:11]
	v_cndmask_b32_e64 v6, v6, v4, s[2:3]
	s_or_b64 s[2:3], s[30:31], s[12:13]
	s_or_b64 s[24:25], vcc, s[24:25]
	v_cndmask_b32_e64 v7, v7, v12, s[2:3]
	s_andn2_b64 exec, exec, s[24:25]
	s_cbranch_execnz .LBB111_17
; %bb.18:
	s_or_b64 exec, exec, s[24:25]
	v_mov_b32_e32 v4, v3
	v_mov_b64_e32 v[2:3], v[4:5]
	v_mov_b64_e32 v[4:5], v[6:7]
.LBB111_19:
	s_or_b64 exec, exec, s[18:19]
.LBB111_20:
	v_cmp_nge_f32_e32 vcc, 0, v2
	v_and_b32_e32 v8, 63, v0
	s_nop 0
	v_cndmask_b32_e32 v1, 0, v2, vcc
	v_cmp_u_f32_e32 vcc, v3, v3
	v_cmp_lt_f32_e64 s[2:3], v1, v3
	s_or_b64 vcc, vcc, s[2:3]
	v_cndmask_b32_e32 v1, v1, v3, vcc
	v_cmp_u_f32_e32 vcc, v4, v4
	v_cmp_lt_f32_e64 s[2:3], v1, v4
	s_or_b64 vcc, vcc, s[2:3]
	;; [unrolled: 4-line block ×3, first 2 shown]
	v_cndmask_b32_e32 v2, v1, v5, vcc
	v_mbcnt_lo_u32_b32 v1, -1, 0
	v_mbcnt_hi_u32_b32 v6, -1, v1
	v_mov_b32_e32 v1, 0x80
	v_lshl_or_b32 v1, v6, 2, v1
	ds_bpermute_b32 v3, v1, v2
	v_and_b32_e32 v9, 63, v6
	s_barrier
	s_waitcnt lgkmcnt(0)
	v_cmp_u_f32_e32 vcc, v3, v3
	v_cmp_lt_f32_e64 s[2:3], v2, v3
	s_or_b64 vcc, vcc, s[2:3]
	v_cndmask_b32_e32 v3, v2, v3, vcc
	v_cmp_gt_u32_e32 vcc, 48, v9
	s_nop 1
	v_cndmask_b32_e64 v2, 0, 16, vcc
	v_add_lshl_u32 v2, v2, v6, 2
	ds_bpermute_b32 v4, v2, v3
	s_waitcnt lgkmcnt(0)
	v_cmp_u_f32_e32 vcc, v4, v4
	v_cmp_lt_f32_e64 s[2:3], v3, v4
	s_or_b64 vcc, vcc, s[2:3]
	v_cndmask_b32_e32 v4, v3, v4, vcc
	v_cmp_gt_u32_e32 vcc, 56, v9
	s_nop 1
	v_cndmask_b32_e64 v3, 0, 8, vcc
	v_add_lshl_u32 v3, v3, v6, 2
	ds_bpermute_b32 v5, v3, v4
	;; [unrolled: 10-line block ×4, first 2 shown]
	s_waitcnt lgkmcnt(0)
	v_cmp_u_f32_e32 vcc, v10, v10
	v_cmp_lt_f32_e64 s[2:3], v7, v10
	s_or_b64 vcc, vcc, s[2:3]
	v_cndmask_b32_e32 v7, v7, v10, vcc
	v_cmp_ne_u32_e32 vcc, 63, v9
	s_nop 1
	v_addc_co_u32_e32 v6, vcc, 0, v6, vcc
	v_lshlrev_b32_e32 v6, 2, v6
	ds_bpermute_b32 v9, v6, v7
	v_cmp_eq_u32_e32 vcc, 0, v8
	s_and_saveexec_b64 s[4:5], vcc
	s_cbranch_execz .LBB111_22
; %bb.21:
	s_waitcnt lgkmcnt(0)
	v_cmp_u_f32_e32 vcc, v9, v9
	v_cmp_lt_f32_e64 s[2:3], v7, v9
	s_or_b64 vcc, vcc, s[2:3]
	v_lshrrev_b32_e32 v10, 4, v0
	v_cndmask_b32_e32 v7, v7, v9, vcc
	ds_write_b32 v10, v7
.LBB111_22:
	s_or_b64 exec, exec, s[4:5]
	s_waitcnt lgkmcnt(0)
	s_barrier
	s_load_dword s2, s[0:1], 0xd4c
	v_mov_b32_e32 v7, 0xff7fffff
	s_waitcnt lgkmcnt(0)
	s_bfe_u32 s2, s2, 0xa0006
	v_cmp_gt_u32_e32 vcc, s2, v0
	s_and_saveexec_b64 s[2:3], vcc
	s_cbranch_execnz .LBB111_26
; %bb.23:
	s_or_b64 exec, exec, s[2:3]
	v_cmp_gt_u32_e32 vcc, 64, v0
	s_and_saveexec_b64 s[4:5], vcc
	s_cbranch_execnz .LBB111_27
.LBB111_24:
	s_or_b64 exec, exec, s[4:5]
	v_cmp_eq_u32_e32 vcc, 0, v0
	s_and_saveexec_b64 s[2:3], vcc
	s_cbranch_execnz .LBB111_28
.LBB111_25:
	s_endpgm
.LBB111_26:
	v_lshlrev_b32_e32 v7, 2, v8
	ds_read_b32 v7, v7
	s_or_b64 exec, exec, s[2:3]
	v_cmp_gt_u32_e32 vcc, 64, v0
	s_and_saveexec_b64 s[4:5], vcc
	s_cbranch_execz .LBB111_24
.LBB111_27:
	s_waitcnt lgkmcnt(0)
	ds_bpermute_b32 v1, v1, v7
	s_waitcnt lgkmcnt(0)
	v_cmp_u_f32_e32 vcc, v1, v1
	v_cmp_lt_f32_e64 s[2:3], v7, v1
	s_or_b64 vcc, vcc, s[2:3]
	v_cndmask_b32_e32 v1, v7, v1, vcc
	ds_bpermute_b32 v2, v2, v1
	s_waitcnt lgkmcnt(0)
	v_cmp_u_f32_e32 vcc, v2, v2
	v_cmp_lt_f32_e64 s[2:3], v1, v2
	s_or_b64 vcc, vcc, s[2:3]
	v_cndmask_b32_e32 v1, v1, v2, vcc
	ds_bpermute_b32 v2, v3, v1
	s_waitcnt lgkmcnt(0)
	v_cmp_u_f32_e32 vcc, v2, v2
	v_cmp_lt_f32_e64 s[2:3], v1, v2
	s_or_b64 vcc, vcc, s[2:3]
	v_cndmask_b32_e32 v1, v1, v2, vcc
	ds_bpermute_b32 v2, v4, v1
	s_waitcnt lgkmcnt(0)
	v_cmp_u_f32_e32 vcc, v2, v2
	v_cmp_lt_f32_e64 s[2:3], v1, v2
	s_or_b64 vcc, vcc, s[2:3]
	v_cndmask_b32_e32 v1, v1, v2, vcc
	ds_bpermute_b32 v2, v5, v1
	s_waitcnt lgkmcnt(0)
	v_cmp_u_f32_e32 vcc, v2, v2
	v_cmp_lt_f32_e64 s[2:3], v1, v2
	s_or_b64 vcc, vcc, s[2:3]
	v_cndmask_b32_e32 v1, v1, v2, vcc
	ds_bpermute_b32 v2, v6, v1
	s_waitcnt lgkmcnt(0)
	v_cmp_u_f32_e32 vcc, v2, v2
	v_cmp_lt_f32_e64 s[2:3], v1, v2
	s_or_b64 vcc, vcc, s[2:3]
	v_cndmask_b32_e32 v7, v1, v2, vcc
	s_or_b64 exec, exec, s[4:5]
	v_cmp_eq_u32_e32 vcc, 0, v0
	s_and_saveexec_b64 s[2:3], vcc
	s_cbranch_execz .LBB111_25
.LBB111_28:
	s_load_dword s4, s[0:1], 0xd20
	s_load_dword s5, s[0:1], 0xd38
	s_load_dwordx2 s[2:3], s[0:1], 0xd30
	v_mov_b32_e32 v0, 0
	s_waitcnt lgkmcnt(0)
	s_add_i32 s0, s4, s26
	s_mul_i32 s0, s0, s5
	s_add_i32 s0, s0, s14
	s_ashr_i32 s1, s0, 31
	s_lshl_b64 s[0:1], s[0:1], 2
	s_add_u32 s0, s2, s0
	s_addc_u32 s1, s3, s1
	global_store_dword v0, v7, s[0:1]
	s_endpgm
	.section	.rodata,"a",@progbits
	.p2align	6, 0x0
	.amdhsa_kernel _ZN2at6native12_GLOBAL__N_125multi_tensor_apply_kernelINS1_18TensorListMetadataILi1EEENS0_13LpNormFunctorIN3c104HalfELNS0_8NormTypeE3ENS6_8BFloat16ELi1ELi1ELi0EEEJPfiEEEvT_T0_DpT1_
		.amdhsa_group_segment_fixed_size 2048
		.amdhsa_private_segment_fixed_size 0
		.amdhsa_kernarg_size 3648
		.amdhsa_user_sgpr_count 2
		.amdhsa_user_sgpr_dispatch_ptr 0
		.amdhsa_user_sgpr_queue_ptr 0
		.amdhsa_user_sgpr_kernarg_segment_ptr 1
		.amdhsa_user_sgpr_dispatch_id 0
		.amdhsa_user_sgpr_kernarg_preload_length 0
		.amdhsa_user_sgpr_kernarg_preload_offset 0
		.amdhsa_user_sgpr_private_segment_size 0
		.amdhsa_uses_dynamic_stack 0
		.amdhsa_enable_private_segment 0
		.amdhsa_system_sgpr_workgroup_id_x 1
		.amdhsa_system_sgpr_workgroup_id_y 0
		.amdhsa_system_sgpr_workgroup_id_z 0
		.amdhsa_system_sgpr_workgroup_info 0
		.amdhsa_system_vgpr_workitem_id 0
		.amdhsa_next_free_vgpr 16
		.amdhsa_next_free_sgpr 32
		.amdhsa_accum_offset 16
		.amdhsa_reserve_vcc 1
		.amdhsa_float_round_mode_32 0
		.amdhsa_float_round_mode_16_64 0
		.amdhsa_float_denorm_mode_32 3
		.amdhsa_float_denorm_mode_16_64 3
		.amdhsa_dx10_clamp 1
		.amdhsa_ieee_mode 1
		.amdhsa_fp16_overflow 0
		.amdhsa_tg_split 0
		.amdhsa_exception_fp_ieee_invalid_op 0
		.amdhsa_exception_fp_denorm_src 0
		.amdhsa_exception_fp_ieee_div_zero 0
		.amdhsa_exception_fp_ieee_overflow 0
		.amdhsa_exception_fp_ieee_underflow 0
		.amdhsa_exception_fp_ieee_inexact 0
		.amdhsa_exception_int_div_zero 0
	.end_amdhsa_kernel
	.section	.text._ZN2at6native12_GLOBAL__N_125multi_tensor_apply_kernelINS1_18TensorListMetadataILi1EEENS0_13LpNormFunctorIN3c104HalfELNS0_8NormTypeE3ENS6_8BFloat16ELi1ELi1ELi0EEEJPfiEEEvT_T0_DpT1_,"axG",@progbits,_ZN2at6native12_GLOBAL__N_125multi_tensor_apply_kernelINS1_18TensorListMetadataILi1EEENS0_13LpNormFunctorIN3c104HalfELNS0_8NormTypeE3ENS6_8BFloat16ELi1ELi1ELi0EEEJPfiEEEvT_T0_DpT1_,comdat
.Lfunc_end111:
	.size	_ZN2at6native12_GLOBAL__N_125multi_tensor_apply_kernelINS1_18TensorListMetadataILi1EEENS0_13LpNormFunctorIN3c104HalfELNS0_8NormTypeE3ENS6_8BFloat16ELi1ELi1ELi0EEEJPfiEEEvT_T0_DpT1_, .Lfunc_end111-_ZN2at6native12_GLOBAL__N_125multi_tensor_apply_kernelINS1_18TensorListMetadataILi1EEENS0_13LpNormFunctorIN3c104HalfELNS0_8NormTypeE3ENS6_8BFloat16ELi1ELi1ELi0EEEJPfiEEEvT_T0_DpT1_
                                        ; -- End function
	.set _ZN2at6native12_GLOBAL__N_125multi_tensor_apply_kernelINS1_18TensorListMetadataILi1EEENS0_13LpNormFunctorIN3c104HalfELNS0_8NormTypeE3ENS6_8BFloat16ELi1ELi1ELi0EEEJPfiEEEvT_T0_DpT1_.num_vgpr, 16
	.set _ZN2at6native12_GLOBAL__N_125multi_tensor_apply_kernelINS1_18TensorListMetadataILi1EEENS0_13LpNormFunctorIN3c104HalfELNS0_8NormTypeE3ENS6_8BFloat16ELi1ELi1ELi0EEEJPfiEEEvT_T0_DpT1_.num_agpr, 0
	.set _ZN2at6native12_GLOBAL__N_125multi_tensor_apply_kernelINS1_18TensorListMetadataILi1EEENS0_13LpNormFunctorIN3c104HalfELNS0_8NormTypeE3ENS6_8BFloat16ELi1ELi1ELi0EEEJPfiEEEvT_T0_DpT1_.numbered_sgpr, 32
	.set _ZN2at6native12_GLOBAL__N_125multi_tensor_apply_kernelINS1_18TensorListMetadataILi1EEENS0_13LpNormFunctorIN3c104HalfELNS0_8NormTypeE3ENS6_8BFloat16ELi1ELi1ELi0EEEJPfiEEEvT_T0_DpT1_.num_named_barrier, 0
	.set _ZN2at6native12_GLOBAL__N_125multi_tensor_apply_kernelINS1_18TensorListMetadataILi1EEENS0_13LpNormFunctorIN3c104HalfELNS0_8NormTypeE3ENS6_8BFloat16ELi1ELi1ELi0EEEJPfiEEEvT_T0_DpT1_.private_seg_size, 0
	.set _ZN2at6native12_GLOBAL__N_125multi_tensor_apply_kernelINS1_18TensorListMetadataILi1EEENS0_13LpNormFunctorIN3c104HalfELNS0_8NormTypeE3ENS6_8BFloat16ELi1ELi1ELi0EEEJPfiEEEvT_T0_DpT1_.uses_vcc, 1
	.set _ZN2at6native12_GLOBAL__N_125multi_tensor_apply_kernelINS1_18TensorListMetadataILi1EEENS0_13LpNormFunctorIN3c104HalfELNS0_8NormTypeE3ENS6_8BFloat16ELi1ELi1ELi0EEEJPfiEEEvT_T0_DpT1_.uses_flat_scratch, 0
	.set _ZN2at6native12_GLOBAL__N_125multi_tensor_apply_kernelINS1_18TensorListMetadataILi1EEENS0_13LpNormFunctorIN3c104HalfELNS0_8NormTypeE3ENS6_8BFloat16ELi1ELi1ELi0EEEJPfiEEEvT_T0_DpT1_.has_dyn_sized_stack, 0
	.set _ZN2at6native12_GLOBAL__N_125multi_tensor_apply_kernelINS1_18TensorListMetadataILi1EEENS0_13LpNormFunctorIN3c104HalfELNS0_8NormTypeE3ENS6_8BFloat16ELi1ELi1ELi0EEEJPfiEEEvT_T0_DpT1_.has_recursion, 0
	.set _ZN2at6native12_GLOBAL__N_125multi_tensor_apply_kernelINS1_18TensorListMetadataILi1EEENS0_13LpNormFunctorIN3c104HalfELNS0_8NormTypeE3ENS6_8BFloat16ELi1ELi1ELi0EEEJPfiEEEvT_T0_DpT1_.has_indirect_call, 0
	.section	.AMDGPU.csdata,"",@progbits
; Kernel info:
; codeLenInByte = 1844
; TotalNumSgprs: 38
; NumVgprs: 16
; NumAgprs: 0
; TotalNumVgprs: 16
; ScratchSize: 0
; MemoryBound: 0
; FloatMode: 240
; IeeeMode: 1
; LDSByteSize: 2048 bytes/workgroup (compile time only)
; SGPRBlocks: 4
; VGPRBlocks: 1
; NumSGPRsForWavesPerEU: 38
; NumVGPRsForWavesPerEU: 16
; AccumOffset: 16
; Occupancy: 8
; WaveLimiterHint : 0
; COMPUTE_PGM_RSRC2:SCRATCH_EN: 0
; COMPUTE_PGM_RSRC2:USER_SGPR: 2
; COMPUTE_PGM_RSRC2:TRAP_HANDLER: 0
; COMPUTE_PGM_RSRC2:TGID_X_EN: 1
; COMPUTE_PGM_RSRC2:TGID_Y_EN: 0
; COMPUTE_PGM_RSRC2:TGID_Z_EN: 0
; COMPUTE_PGM_RSRC2:TIDIG_COMP_CNT: 0
; COMPUTE_PGM_RSRC3_GFX90A:ACCUM_OFFSET: 3
; COMPUTE_PGM_RSRC3_GFX90A:TG_SPLIT: 0
	.section	.text._ZN2at6native14lpnorm_cleanupIN3c104HalfELNS0_8NormTypeE0ENS2_8BFloat16ELb1EfEEvPKT3_NS0_19TensorListAddressesEi,"axG",@progbits,_ZN2at6native14lpnorm_cleanupIN3c104HalfELNS0_8NormTypeE0ENS2_8BFloat16ELb1EfEEvPKT3_NS0_19TensorListAddressesEi,comdat
	.protected	_ZN2at6native14lpnorm_cleanupIN3c104HalfELNS0_8NormTypeE0ENS2_8BFloat16ELb1EfEEvPKT3_NS0_19TensorListAddressesEi ; -- Begin function _ZN2at6native14lpnorm_cleanupIN3c104HalfELNS0_8NormTypeE0ENS2_8BFloat16ELb1EfEEvPKT3_NS0_19TensorListAddressesEi
	.globl	_ZN2at6native14lpnorm_cleanupIN3c104HalfELNS0_8NormTypeE0ENS2_8BFloat16ELb1EfEEvPKT3_NS0_19TensorListAddressesEi
	.p2align	8
	.type	_ZN2at6native14lpnorm_cleanupIN3c104HalfELNS0_8NormTypeE0ENS2_8BFloat16ELb1EfEEvPKT3_NS0_19TensorListAddressesEi,@function
_ZN2at6native14lpnorm_cleanupIN3c104HalfELNS0_8NormTypeE0ENS2_8BFloat16ELb1EfEEvPKT3_NS0_19TensorListAddressesEi: ; @_ZN2at6native14lpnorm_cleanupIN3c104HalfELNS0_8NormTypeE0ENS2_8BFloat16ELb1EfEEvPKT3_NS0_19TensorListAddressesEi
; %bb.0:
	s_load_dword s6, s[0:1], 0xc88
	v_mov_b32_e32 v1, 0
	s_waitcnt lgkmcnt(0)
	v_cmp_gt_u32_e32 vcc, s6, v0
	s_and_saveexec_b64 s[4:5], vcc
	s_cbranch_execz .LBB112_4
; %bb.1:
	s_load_dwordx2 s[12:13], s[0:1], 0x0
	s_load_dword s3, s[0:1], 0xc9c
	s_mul_i32 s8, s6, s2
	s_mov_b32 s9, 0
	s_ashr_i32 s7, s6, 31
	s_lshl_b64 s[14:15], s[8:9], 2
	s_waitcnt lgkmcnt(0)
	s_and_b32 s10, s3, 0xffff
	v_mov_b32_e32 v1, 0
	s_add_u32 s12, s12, s14
	v_lshlrev_b32_e32 v2, 2, v0
	v_mov_b32_e32 v3, v1
	s_addc_u32 s13, s13, s15
	s_mov_b32 s11, s9
	v_lshl_add_u64 v[2:3], s[12:13], 0, v[2:3]
	s_lshl_b32 s8, s10, 2
	s_mov_b64 s[12:13], 0
	v_mov_b64_e32 v[4:5], v[0:1]
.LBB112_2:                              ; =>This Inner Loop Header: Depth=1
	global_load_dword v6, v[2:3], off
	v_lshl_add_u64 v[4:5], v[4:5], 0, s[10:11]
	v_cmp_le_u64_e32 vcc, s[6:7], v[4:5]
	v_lshl_add_u64 v[2:3], v[2:3], 0, s[8:9]
	s_or_b64 s[12:13], vcc, s[12:13]
	s_waitcnt vmcnt(0)
	v_add_f32_e32 v1, v1, v6
	s_andn2_b64 exec, exec, s[12:13]
	s_cbranch_execnz .LBB112_2
; %bb.3:
	s_or_b64 exec, exec, s[12:13]
.LBB112_4:
	s_or_b64 exec, exec, s[4:5]
	v_mbcnt_lo_u32_b32 v2, -1, 0
	v_mbcnt_hi_u32_b32 v6, -1, v2
	v_mov_b32_e32 v2, 0x80
	v_lshl_or_b32 v2, v6, 2, v2
	ds_bpermute_b32 v3, v2, v1
	v_and_b32_e32 v7, 63, v6
	v_cmp_gt_u32_e32 vcc, 48, v7
	s_waitcnt lgkmcnt(0)
	s_barrier
	v_cndmask_b32_e64 v4, 0, 16, vcc
	v_add_f32_e32 v5, v1, v3
	v_add_lshl_u32 v1, v4, v6, 2
	ds_bpermute_b32 v4, v1, v5
	v_cmp_gt_u32_e32 vcc, 56, v7
	s_waitcnt lgkmcnt(0)
	v_add_f32_e32 v5, v5, v4
	v_cndmask_b32_e64 v3, 0, 8, vcc
	v_add_lshl_u32 v3, v3, v6, 2
	ds_bpermute_b32 v8, v3, v5
	v_cmp_gt_u32_e32 vcc, 60, v7
	s_waitcnt lgkmcnt(0)
	v_add_f32_e32 v8, v5, v8
	v_cndmask_b32_e64 v4, 0, 4, vcc
	v_add_lshl_u32 v4, v4, v6, 2
	ds_bpermute_b32 v9, v4, v8
	v_cmp_gt_u32_e32 vcc, 62, v7
	s_waitcnt lgkmcnt(0)
	v_add_f32_e32 v9, v8, v9
	v_cndmask_b32_e64 v5, 0, 2, vcc
	v_add_lshl_u32 v5, v5, v6, 2
	ds_bpermute_b32 v10, v5, v9
	v_cmp_ne_u32_e32 vcc, 63, v7
	v_and_b32_e32 v8, 63, v0
	s_waitcnt lgkmcnt(0)
	v_add_f32_e32 v7, v9, v10
	v_addc_co_u32_e32 v6, vcc, 0, v6, vcc
	v_lshlrev_b32_e32 v6, 2, v6
	ds_bpermute_b32 v9, v6, v7
	v_cmp_eq_u32_e32 vcc, 0, v8
	s_and_saveexec_b64 s[4:5], vcc
	s_cbranch_execz .LBB112_6
; %bb.5:
	s_waitcnt lgkmcnt(0)
	v_add_f32_e32 v7, v7, v9
	v_lshrrev_b32_e32 v9, 4, v0
	ds_write_b32 v9, v7
.LBB112_6:
	s_or_b64 exec, exec, s[4:5]
	s_waitcnt lgkmcnt(0)
	s_barrier
	s_load_dword s3, s[0:1], 0xc9c
	v_mov_b32_e32 v7, 0
	s_waitcnt lgkmcnt(0)
	s_bfe_u32 s3, s3, 0xa0006
	v_cmp_gt_u32_e32 vcc, s3, v0
	s_and_saveexec_b64 s[4:5], vcc
; %bb.7:
	v_lshlrev_b32_e32 v7, 2, v8
	ds_read_b32 v7, v7
; %bb.8:
	s_or_b64 exec, exec, s[4:5]
	v_cmp_gt_u32_e32 vcc, 64, v0
	s_and_saveexec_b64 s[4:5], vcc
	s_cbranch_execz .LBB112_10
; %bb.9:
	s_waitcnt lgkmcnt(0)
	ds_bpermute_b32 v2, v2, v7
	s_waitcnt lgkmcnt(0)
	v_add_f32_e32 v2, v7, v2
	ds_bpermute_b32 v1, v1, v2
	s_waitcnt lgkmcnt(0)
	v_add_f32_e32 v1, v2, v1
	;; [unrolled: 3-line block ×6, first 2 shown]
.LBB112_10:
	s_or_b64 exec, exec, s[4:5]
	s_mov_b32 s3, 0
	v_cmp_eq_u32_e32 vcc, 0, v0
	s_and_saveexec_b64 s[4:5], vcc
	s_cbranch_execz .LBB112_12
; %bb.11:
	s_lshl_b64 s[2:3], s[2:3], 3
	s_add_u32 s0, s0, s2
	s_addc_u32 s1, s1, s3
	s_load_dwordx2 s[0:1], s[0:1], 0x8
	s_waitcnt lgkmcnt(0)
	v_bfe_u32 v0, v7, 16, 1
	s_movk_i32 s4, 0x7fff
	v_add3_u32 v0, v7, v0, s4
	v_cmp_o_f32_e32 vcc, v7, v7
	v_mov_b32_e32 v1, 0x7fc0
	s_nop 0
	v_cndmask_b32_sdwa v0, v1, v0, vcc dst_sel:DWORD dst_unused:UNUSED_PAD src0_sel:DWORD src1_sel:WORD_1
	v_mov_b32_e32 v1, 0
	global_store_short v1, v0, s[0:1]
.LBB112_12:
	s_endpgm
	.section	.rodata,"a",@progbits
	.p2align	6, 0x0
	.amdhsa_kernel _ZN2at6native14lpnorm_cleanupIN3c104HalfELNS0_8NormTypeE0ENS2_8BFloat16ELb1EfEEvPKT3_NS0_19TensorListAddressesEi
		.amdhsa_group_segment_fixed_size 2048
		.amdhsa_private_segment_fixed_size 0
		.amdhsa_kernarg_size 3472
		.amdhsa_user_sgpr_count 2
		.amdhsa_user_sgpr_dispatch_ptr 0
		.amdhsa_user_sgpr_queue_ptr 0
		.amdhsa_user_sgpr_kernarg_segment_ptr 1
		.amdhsa_user_sgpr_dispatch_id 0
		.amdhsa_user_sgpr_kernarg_preload_length 0
		.amdhsa_user_sgpr_kernarg_preload_offset 0
		.amdhsa_user_sgpr_private_segment_size 0
		.amdhsa_uses_dynamic_stack 0
		.amdhsa_enable_private_segment 0
		.amdhsa_system_sgpr_workgroup_id_x 1
		.amdhsa_system_sgpr_workgroup_id_y 0
		.amdhsa_system_sgpr_workgroup_id_z 0
		.amdhsa_system_sgpr_workgroup_info 0
		.amdhsa_system_vgpr_workitem_id 0
		.amdhsa_next_free_vgpr 11
		.amdhsa_next_free_sgpr 16
		.amdhsa_accum_offset 12
		.amdhsa_reserve_vcc 1
		.amdhsa_float_round_mode_32 0
		.amdhsa_float_round_mode_16_64 0
		.amdhsa_float_denorm_mode_32 3
		.amdhsa_float_denorm_mode_16_64 3
		.amdhsa_dx10_clamp 1
		.amdhsa_ieee_mode 1
		.amdhsa_fp16_overflow 0
		.amdhsa_tg_split 0
		.amdhsa_exception_fp_ieee_invalid_op 0
		.amdhsa_exception_fp_denorm_src 0
		.amdhsa_exception_fp_ieee_div_zero 0
		.amdhsa_exception_fp_ieee_overflow 0
		.amdhsa_exception_fp_ieee_underflow 0
		.amdhsa_exception_fp_ieee_inexact 0
		.amdhsa_exception_int_div_zero 0
	.end_amdhsa_kernel
	.section	.text._ZN2at6native14lpnorm_cleanupIN3c104HalfELNS0_8NormTypeE0ENS2_8BFloat16ELb1EfEEvPKT3_NS0_19TensorListAddressesEi,"axG",@progbits,_ZN2at6native14lpnorm_cleanupIN3c104HalfELNS0_8NormTypeE0ENS2_8BFloat16ELb1EfEEvPKT3_NS0_19TensorListAddressesEi,comdat
.Lfunc_end112:
	.size	_ZN2at6native14lpnorm_cleanupIN3c104HalfELNS0_8NormTypeE0ENS2_8BFloat16ELb1EfEEvPKT3_NS0_19TensorListAddressesEi, .Lfunc_end112-_ZN2at6native14lpnorm_cleanupIN3c104HalfELNS0_8NormTypeE0ENS2_8BFloat16ELb1EfEEvPKT3_NS0_19TensorListAddressesEi
                                        ; -- End function
	.set _ZN2at6native14lpnorm_cleanupIN3c104HalfELNS0_8NormTypeE0ENS2_8BFloat16ELb1EfEEvPKT3_NS0_19TensorListAddressesEi.num_vgpr, 11
	.set _ZN2at6native14lpnorm_cleanupIN3c104HalfELNS0_8NormTypeE0ENS2_8BFloat16ELb1EfEEvPKT3_NS0_19TensorListAddressesEi.num_agpr, 0
	.set _ZN2at6native14lpnorm_cleanupIN3c104HalfELNS0_8NormTypeE0ENS2_8BFloat16ELb1EfEEvPKT3_NS0_19TensorListAddressesEi.numbered_sgpr, 16
	.set _ZN2at6native14lpnorm_cleanupIN3c104HalfELNS0_8NormTypeE0ENS2_8BFloat16ELb1EfEEvPKT3_NS0_19TensorListAddressesEi.num_named_barrier, 0
	.set _ZN2at6native14lpnorm_cleanupIN3c104HalfELNS0_8NormTypeE0ENS2_8BFloat16ELb1EfEEvPKT3_NS0_19TensorListAddressesEi.private_seg_size, 0
	.set _ZN2at6native14lpnorm_cleanupIN3c104HalfELNS0_8NormTypeE0ENS2_8BFloat16ELb1EfEEvPKT3_NS0_19TensorListAddressesEi.uses_vcc, 1
	.set _ZN2at6native14lpnorm_cleanupIN3c104HalfELNS0_8NormTypeE0ENS2_8BFloat16ELb1EfEEvPKT3_NS0_19TensorListAddressesEi.uses_flat_scratch, 0
	.set _ZN2at6native14lpnorm_cleanupIN3c104HalfELNS0_8NormTypeE0ENS2_8BFloat16ELb1EfEEvPKT3_NS0_19TensorListAddressesEi.has_dyn_sized_stack, 0
	.set _ZN2at6native14lpnorm_cleanupIN3c104HalfELNS0_8NormTypeE0ENS2_8BFloat16ELb1EfEEvPKT3_NS0_19TensorListAddressesEi.has_recursion, 0
	.set _ZN2at6native14lpnorm_cleanupIN3c104HalfELNS0_8NormTypeE0ENS2_8BFloat16ELb1EfEEvPKT3_NS0_19TensorListAddressesEi.has_indirect_call, 0
	.section	.AMDGPU.csdata,"",@progbits
; Kernel info:
; codeLenInByte = 704
; TotalNumSgprs: 22
; NumVgprs: 11
; NumAgprs: 0
; TotalNumVgprs: 11
; ScratchSize: 0
; MemoryBound: 0
; FloatMode: 240
; IeeeMode: 1
; LDSByteSize: 2048 bytes/workgroup (compile time only)
; SGPRBlocks: 2
; VGPRBlocks: 1
; NumSGPRsForWavesPerEU: 22
; NumVGPRsForWavesPerEU: 11
; AccumOffset: 12
; Occupancy: 8
; WaveLimiterHint : 0
; COMPUTE_PGM_RSRC2:SCRATCH_EN: 0
; COMPUTE_PGM_RSRC2:USER_SGPR: 2
; COMPUTE_PGM_RSRC2:TRAP_HANDLER: 0
; COMPUTE_PGM_RSRC2:TGID_X_EN: 1
; COMPUTE_PGM_RSRC2:TGID_Y_EN: 0
; COMPUTE_PGM_RSRC2:TGID_Z_EN: 0
; COMPUTE_PGM_RSRC2:TIDIG_COMP_CNT: 0
; COMPUTE_PGM_RSRC3_GFX90A:ACCUM_OFFSET: 2
; COMPUTE_PGM_RSRC3_GFX90A:TG_SPLIT: 0
	.section	.text._ZN2at6native14lpnorm_cleanupIN3c104HalfELNS0_8NormTypeE1ENS2_8BFloat16ELb1EfEEvPKT3_NS0_19TensorListAddressesEi,"axG",@progbits,_ZN2at6native14lpnorm_cleanupIN3c104HalfELNS0_8NormTypeE1ENS2_8BFloat16ELb1EfEEvPKT3_NS0_19TensorListAddressesEi,comdat
	.protected	_ZN2at6native14lpnorm_cleanupIN3c104HalfELNS0_8NormTypeE1ENS2_8BFloat16ELb1EfEEvPKT3_NS0_19TensorListAddressesEi ; -- Begin function _ZN2at6native14lpnorm_cleanupIN3c104HalfELNS0_8NormTypeE1ENS2_8BFloat16ELb1EfEEvPKT3_NS0_19TensorListAddressesEi
	.globl	_ZN2at6native14lpnorm_cleanupIN3c104HalfELNS0_8NormTypeE1ENS2_8BFloat16ELb1EfEEvPKT3_NS0_19TensorListAddressesEi
	.p2align	8
	.type	_ZN2at6native14lpnorm_cleanupIN3c104HalfELNS0_8NormTypeE1ENS2_8BFloat16ELb1EfEEvPKT3_NS0_19TensorListAddressesEi,@function
_ZN2at6native14lpnorm_cleanupIN3c104HalfELNS0_8NormTypeE1ENS2_8BFloat16ELb1EfEEvPKT3_NS0_19TensorListAddressesEi: ; @_ZN2at6native14lpnorm_cleanupIN3c104HalfELNS0_8NormTypeE1ENS2_8BFloat16ELb1EfEEvPKT3_NS0_19TensorListAddressesEi
; %bb.0:
	s_load_dword s6, s[0:1], 0xc88
	v_mov_b32_e32 v1, 0
	s_waitcnt lgkmcnt(0)
	v_cmp_gt_u32_e32 vcc, s6, v0
	s_and_saveexec_b64 s[4:5], vcc
	s_cbranch_execz .LBB113_4
; %bb.1:
	s_load_dwordx2 s[12:13], s[0:1], 0x0
	s_load_dword s3, s[0:1], 0xc9c
	s_mul_i32 s8, s6, s2
	s_mov_b32 s9, 0
	s_ashr_i32 s7, s6, 31
	s_lshl_b64 s[14:15], s[8:9], 2
	s_waitcnt lgkmcnt(0)
	s_and_b32 s10, s3, 0xffff
	v_mov_b32_e32 v1, 0
	s_add_u32 s12, s12, s14
	v_lshlrev_b32_e32 v2, 2, v0
	v_mov_b32_e32 v3, v1
	s_addc_u32 s13, s13, s15
	s_mov_b32 s11, s9
	v_lshl_add_u64 v[2:3], s[12:13], 0, v[2:3]
	s_lshl_b32 s8, s10, 2
	s_mov_b64 s[12:13], 0
	v_mov_b64_e32 v[4:5], v[0:1]
.LBB113_2:                              ; =>This Inner Loop Header: Depth=1
	global_load_dword v6, v[2:3], off
	v_lshl_add_u64 v[4:5], v[4:5], 0, s[10:11]
	v_cmp_le_u64_e32 vcc, s[6:7], v[4:5]
	v_lshl_add_u64 v[2:3], v[2:3], 0, s[8:9]
	s_or_b64 s[12:13], vcc, s[12:13]
	s_waitcnt vmcnt(0)
	v_add_f32_e32 v1, v1, v6
	s_andn2_b64 exec, exec, s[12:13]
	s_cbranch_execnz .LBB113_2
; %bb.3:
	s_or_b64 exec, exec, s[12:13]
.LBB113_4:
	s_or_b64 exec, exec, s[4:5]
	v_mbcnt_lo_u32_b32 v2, -1, 0
	v_mbcnt_hi_u32_b32 v6, -1, v2
	v_mov_b32_e32 v2, 0x80
	v_lshl_or_b32 v2, v6, 2, v2
	ds_bpermute_b32 v3, v2, v1
	v_and_b32_e32 v7, 63, v6
	v_cmp_gt_u32_e32 vcc, 48, v7
	s_waitcnt lgkmcnt(0)
	s_barrier
	v_cndmask_b32_e64 v4, 0, 16, vcc
	v_add_f32_e32 v5, v1, v3
	v_add_lshl_u32 v1, v4, v6, 2
	ds_bpermute_b32 v4, v1, v5
	v_cmp_gt_u32_e32 vcc, 56, v7
	s_waitcnt lgkmcnt(0)
	v_add_f32_e32 v5, v5, v4
	v_cndmask_b32_e64 v3, 0, 8, vcc
	v_add_lshl_u32 v3, v3, v6, 2
	ds_bpermute_b32 v8, v3, v5
	v_cmp_gt_u32_e32 vcc, 60, v7
	s_waitcnt lgkmcnt(0)
	v_add_f32_e32 v8, v5, v8
	v_cndmask_b32_e64 v4, 0, 4, vcc
	;; [unrolled: 6-line block ×3, first 2 shown]
	v_add_lshl_u32 v5, v5, v6, 2
	ds_bpermute_b32 v10, v5, v9
	v_cmp_ne_u32_e32 vcc, 63, v7
	v_and_b32_e32 v8, 63, v0
	s_waitcnt lgkmcnt(0)
	v_add_f32_e32 v7, v9, v10
	v_addc_co_u32_e32 v6, vcc, 0, v6, vcc
	v_lshlrev_b32_e32 v6, 2, v6
	ds_bpermute_b32 v9, v6, v7
	v_cmp_eq_u32_e32 vcc, 0, v8
	s_and_saveexec_b64 s[4:5], vcc
	s_cbranch_execz .LBB113_6
; %bb.5:
	s_waitcnt lgkmcnt(0)
	v_add_f32_e32 v7, v7, v9
	v_lshrrev_b32_e32 v9, 4, v0
	ds_write_b32 v9, v7
.LBB113_6:
	s_or_b64 exec, exec, s[4:5]
	s_waitcnt lgkmcnt(0)
	s_barrier
	s_load_dword s3, s[0:1], 0xc9c
	v_mov_b32_e32 v7, 0
	s_waitcnt lgkmcnt(0)
	s_bfe_u32 s3, s3, 0xa0006
	v_cmp_gt_u32_e32 vcc, s3, v0
	s_and_saveexec_b64 s[4:5], vcc
; %bb.7:
	v_lshlrev_b32_e32 v7, 2, v8
	ds_read_b32 v7, v7
; %bb.8:
	s_or_b64 exec, exec, s[4:5]
	v_cmp_gt_u32_e32 vcc, 64, v0
	s_and_saveexec_b64 s[4:5], vcc
	s_cbranch_execz .LBB113_10
; %bb.9:
	s_waitcnt lgkmcnt(0)
	ds_bpermute_b32 v2, v2, v7
	s_waitcnt lgkmcnt(0)
	v_add_f32_e32 v2, v7, v2
	ds_bpermute_b32 v1, v1, v2
	s_waitcnt lgkmcnt(0)
	v_add_f32_e32 v1, v2, v1
	;; [unrolled: 3-line block ×6, first 2 shown]
.LBB113_10:
	s_or_b64 exec, exec, s[4:5]
	s_mov_b32 s3, 0
	v_cmp_eq_u32_e32 vcc, 0, v0
	s_and_saveexec_b64 s[4:5], vcc
	s_cbranch_execz .LBB113_12
; %bb.11:
	s_lshl_b64 s[2:3], s[2:3], 3
	s_add_u32 s0, s0, s2
	s_addc_u32 s1, s1, s3
	s_load_dwordx2 s[0:1], s[0:1], 0x8
	s_waitcnt lgkmcnt(0)
	v_bfe_u32 v0, v7, 16, 1
	s_movk_i32 s4, 0x7fff
	v_add3_u32 v0, v7, v0, s4
	v_cmp_o_f32_e32 vcc, v7, v7
	v_mov_b32_e32 v1, 0x7fc0
	s_nop 0
	v_cndmask_b32_sdwa v0, v1, v0, vcc dst_sel:DWORD dst_unused:UNUSED_PAD src0_sel:DWORD src1_sel:WORD_1
	v_mov_b32_e32 v1, 0
	global_store_short v1, v0, s[0:1]
.LBB113_12:
	s_endpgm
	.section	.rodata,"a",@progbits
	.p2align	6, 0x0
	.amdhsa_kernel _ZN2at6native14lpnorm_cleanupIN3c104HalfELNS0_8NormTypeE1ENS2_8BFloat16ELb1EfEEvPKT3_NS0_19TensorListAddressesEi
		.amdhsa_group_segment_fixed_size 2048
		.amdhsa_private_segment_fixed_size 0
		.amdhsa_kernarg_size 3472
		.amdhsa_user_sgpr_count 2
		.amdhsa_user_sgpr_dispatch_ptr 0
		.amdhsa_user_sgpr_queue_ptr 0
		.amdhsa_user_sgpr_kernarg_segment_ptr 1
		.amdhsa_user_sgpr_dispatch_id 0
		.amdhsa_user_sgpr_kernarg_preload_length 0
		.amdhsa_user_sgpr_kernarg_preload_offset 0
		.amdhsa_user_sgpr_private_segment_size 0
		.amdhsa_uses_dynamic_stack 0
		.amdhsa_enable_private_segment 0
		.amdhsa_system_sgpr_workgroup_id_x 1
		.amdhsa_system_sgpr_workgroup_id_y 0
		.amdhsa_system_sgpr_workgroup_id_z 0
		.amdhsa_system_sgpr_workgroup_info 0
		.amdhsa_system_vgpr_workitem_id 0
		.amdhsa_next_free_vgpr 11
		.amdhsa_next_free_sgpr 16
		.amdhsa_accum_offset 12
		.amdhsa_reserve_vcc 1
		.amdhsa_float_round_mode_32 0
		.amdhsa_float_round_mode_16_64 0
		.amdhsa_float_denorm_mode_32 3
		.amdhsa_float_denorm_mode_16_64 3
		.amdhsa_dx10_clamp 1
		.amdhsa_ieee_mode 1
		.amdhsa_fp16_overflow 0
		.amdhsa_tg_split 0
		.amdhsa_exception_fp_ieee_invalid_op 0
		.amdhsa_exception_fp_denorm_src 0
		.amdhsa_exception_fp_ieee_div_zero 0
		.amdhsa_exception_fp_ieee_overflow 0
		.amdhsa_exception_fp_ieee_underflow 0
		.amdhsa_exception_fp_ieee_inexact 0
		.amdhsa_exception_int_div_zero 0
	.end_amdhsa_kernel
	.section	.text._ZN2at6native14lpnorm_cleanupIN3c104HalfELNS0_8NormTypeE1ENS2_8BFloat16ELb1EfEEvPKT3_NS0_19TensorListAddressesEi,"axG",@progbits,_ZN2at6native14lpnorm_cleanupIN3c104HalfELNS0_8NormTypeE1ENS2_8BFloat16ELb1EfEEvPKT3_NS0_19TensorListAddressesEi,comdat
.Lfunc_end113:
	.size	_ZN2at6native14lpnorm_cleanupIN3c104HalfELNS0_8NormTypeE1ENS2_8BFloat16ELb1EfEEvPKT3_NS0_19TensorListAddressesEi, .Lfunc_end113-_ZN2at6native14lpnorm_cleanupIN3c104HalfELNS0_8NormTypeE1ENS2_8BFloat16ELb1EfEEvPKT3_NS0_19TensorListAddressesEi
                                        ; -- End function
	.set _ZN2at6native14lpnorm_cleanupIN3c104HalfELNS0_8NormTypeE1ENS2_8BFloat16ELb1EfEEvPKT3_NS0_19TensorListAddressesEi.num_vgpr, 11
	.set _ZN2at6native14lpnorm_cleanupIN3c104HalfELNS0_8NormTypeE1ENS2_8BFloat16ELb1EfEEvPKT3_NS0_19TensorListAddressesEi.num_agpr, 0
	.set _ZN2at6native14lpnorm_cleanupIN3c104HalfELNS0_8NormTypeE1ENS2_8BFloat16ELb1EfEEvPKT3_NS0_19TensorListAddressesEi.numbered_sgpr, 16
	.set _ZN2at6native14lpnorm_cleanupIN3c104HalfELNS0_8NormTypeE1ENS2_8BFloat16ELb1EfEEvPKT3_NS0_19TensorListAddressesEi.num_named_barrier, 0
	.set _ZN2at6native14lpnorm_cleanupIN3c104HalfELNS0_8NormTypeE1ENS2_8BFloat16ELb1EfEEvPKT3_NS0_19TensorListAddressesEi.private_seg_size, 0
	.set _ZN2at6native14lpnorm_cleanupIN3c104HalfELNS0_8NormTypeE1ENS2_8BFloat16ELb1EfEEvPKT3_NS0_19TensorListAddressesEi.uses_vcc, 1
	.set _ZN2at6native14lpnorm_cleanupIN3c104HalfELNS0_8NormTypeE1ENS2_8BFloat16ELb1EfEEvPKT3_NS0_19TensorListAddressesEi.uses_flat_scratch, 0
	.set _ZN2at6native14lpnorm_cleanupIN3c104HalfELNS0_8NormTypeE1ENS2_8BFloat16ELb1EfEEvPKT3_NS0_19TensorListAddressesEi.has_dyn_sized_stack, 0
	.set _ZN2at6native14lpnorm_cleanupIN3c104HalfELNS0_8NormTypeE1ENS2_8BFloat16ELb1EfEEvPKT3_NS0_19TensorListAddressesEi.has_recursion, 0
	.set _ZN2at6native14lpnorm_cleanupIN3c104HalfELNS0_8NormTypeE1ENS2_8BFloat16ELb1EfEEvPKT3_NS0_19TensorListAddressesEi.has_indirect_call, 0
	.section	.AMDGPU.csdata,"",@progbits
; Kernel info:
; codeLenInByte = 704
; TotalNumSgprs: 22
; NumVgprs: 11
; NumAgprs: 0
; TotalNumVgprs: 11
; ScratchSize: 0
; MemoryBound: 0
; FloatMode: 240
; IeeeMode: 1
; LDSByteSize: 2048 bytes/workgroup (compile time only)
; SGPRBlocks: 2
; VGPRBlocks: 1
; NumSGPRsForWavesPerEU: 22
; NumVGPRsForWavesPerEU: 11
; AccumOffset: 12
; Occupancy: 8
; WaveLimiterHint : 0
; COMPUTE_PGM_RSRC2:SCRATCH_EN: 0
; COMPUTE_PGM_RSRC2:USER_SGPR: 2
; COMPUTE_PGM_RSRC2:TRAP_HANDLER: 0
; COMPUTE_PGM_RSRC2:TGID_X_EN: 1
; COMPUTE_PGM_RSRC2:TGID_Y_EN: 0
; COMPUTE_PGM_RSRC2:TGID_Z_EN: 0
; COMPUTE_PGM_RSRC2:TIDIG_COMP_CNT: 0
; COMPUTE_PGM_RSRC3_GFX90A:ACCUM_OFFSET: 2
; COMPUTE_PGM_RSRC3_GFX90A:TG_SPLIT: 0
	.section	.text._ZN2at6native14lpnorm_cleanupIN3c104HalfELNS0_8NormTypeE2ENS2_8BFloat16ELb1EfEEvPKT3_NS0_19TensorListAddressesEi,"axG",@progbits,_ZN2at6native14lpnorm_cleanupIN3c104HalfELNS0_8NormTypeE2ENS2_8BFloat16ELb1EfEEvPKT3_NS0_19TensorListAddressesEi,comdat
	.protected	_ZN2at6native14lpnorm_cleanupIN3c104HalfELNS0_8NormTypeE2ENS2_8BFloat16ELb1EfEEvPKT3_NS0_19TensorListAddressesEi ; -- Begin function _ZN2at6native14lpnorm_cleanupIN3c104HalfELNS0_8NormTypeE2ENS2_8BFloat16ELb1EfEEvPKT3_NS0_19TensorListAddressesEi
	.globl	_ZN2at6native14lpnorm_cleanupIN3c104HalfELNS0_8NormTypeE2ENS2_8BFloat16ELb1EfEEvPKT3_NS0_19TensorListAddressesEi
	.p2align	8
	.type	_ZN2at6native14lpnorm_cleanupIN3c104HalfELNS0_8NormTypeE2ENS2_8BFloat16ELb1EfEEvPKT3_NS0_19TensorListAddressesEi,@function
_ZN2at6native14lpnorm_cleanupIN3c104HalfELNS0_8NormTypeE2ENS2_8BFloat16ELb1EfEEvPKT3_NS0_19TensorListAddressesEi: ; @_ZN2at6native14lpnorm_cleanupIN3c104HalfELNS0_8NormTypeE2ENS2_8BFloat16ELb1EfEEvPKT3_NS0_19TensorListAddressesEi
; %bb.0:
	s_load_dword s6, s[0:1], 0xc88
	v_mov_b32_e32 v1, 0
	s_waitcnt lgkmcnt(0)
	v_cmp_gt_u32_e32 vcc, s6, v0
	s_and_saveexec_b64 s[4:5], vcc
	s_cbranch_execz .LBB114_4
; %bb.1:
	s_load_dwordx2 s[12:13], s[0:1], 0x0
	s_load_dword s3, s[0:1], 0xc9c
	s_mul_i32 s8, s6, s2
	s_mov_b32 s9, 0
	s_ashr_i32 s7, s6, 31
	s_lshl_b64 s[14:15], s[8:9], 2
	s_waitcnt lgkmcnt(0)
	s_and_b32 s10, s3, 0xffff
	v_mov_b32_e32 v1, 0
	s_add_u32 s12, s12, s14
	v_lshlrev_b32_e32 v2, 2, v0
	v_mov_b32_e32 v3, v1
	s_addc_u32 s13, s13, s15
	s_mov_b32 s11, s9
	v_lshl_add_u64 v[2:3], s[12:13], 0, v[2:3]
	s_lshl_b32 s8, s10, 2
	s_mov_b64 s[12:13], 0
	v_mov_b64_e32 v[4:5], v[0:1]
.LBB114_2:                              ; =>This Inner Loop Header: Depth=1
	global_load_dword v6, v[2:3], off
	v_lshl_add_u64 v[4:5], v[4:5], 0, s[10:11]
	v_cmp_le_u64_e32 vcc, s[6:7], v[4:5]
	v_lshl_add_u64 v[2:3], v[2:3], 0, s[8:9]
	s_or_b64 s[12:13], vcc, s[12:13]
	s_waitcnt vmcnt(0)
	v_add_f32_e32 v1, v1, v6
	s_andn2_b64 exec, exec, s[12:13]
	s_cbranch_execnz .LBB114_2
; %bb.3:
	s_or_b64 exec, exec, s[12:13]
.LBB114_4:
	s_or_b64 exec, exec, s[4:5]
	v_mbcnt_lo_u32_b32 v2, -1, 0
	v_mbcnt_hi_u32_b32 v6, -1, v2
	v_mov_b32_e32 v2, 0x80
	v_lshl_or_b32 v2, v6, 2, v2
	ds_bpermute_b32 v3, v2, v1
	v_and_b32_e32 v7, 63, v6
	v_cmp_gt_u32_e32 vcc, 48, v7
	s_waitcnt lgkmcnt(0)
	s_barrier
	v_cndmask_b32_e64 v4, 0, 16, vcc
	v_add_f32_e32 v5, v1, v3
	v_add_lshl_u32 v1, v4, v6, 2
	ds_bpermute_b32 v4, v1, v5
	v_cmp_gt_u32_e32 vcc, 56, v7
	s_waitcnt lgkmcnt(0)
	v_add_f32_e32 v5, v5, v4
	v_cndmask_b32_e64 v3, 0, 8, vcc
	v_add_lshl_u32 v3, v3, v6, 2
	ds_bpermute_b32 v8, v3, v5
	v_cmp_gt_u32_e32 vcc, 60, v7
	s_waitcnt lgkmcnt(0)
	v_add_f32_e32 v8, v5, v8
	v_cndmask_b32_e64 v4, 0, 4, vcc
	;; [unrolled: 6-line block ×3, first 2 shown]
	v_add_lshl_u32 v5, v5, v6, 2
	ds_bpermute_b32 v10, v5, v9
	v_cmp_ne_u32_e32 vcc, 63, v7
	v_and_b32_e32 v8, 63, v0
	s_nop 0
	v_addc_co_u32_e32 v7, vcc, 0, v6, vcc
	s_waitcnt lgkmcnt(0)
	v_add_f32_e32 v6, v9, v10
	v_lshlrev_b32_e32 v7, 2, v7
	ds_bpermute_b32 v9, v7, v6
	v_cmp_eq_u32_e32 vcc, 0, v8
	s_and_saveexec_b64 s[4:5], vcc
	s_cbranch_execz .LBB114_6
; %bb.5:
	s_waitcnt lgkmcnt(0)
	v_add_f32_e32 v6, v6, v9
	v_lshrrev_b32_e32 v9, 4, v0
	ds_write_b32 v9, v6
.LBB114_6:
	s_or_b64 exec, exec, s[4:5]
	s_waitcnt lgkmcnt(0)
	s_barrier
	s_load_dword s3, s[0:1], 0xc9c
	v_mov_b32_e32 v6, 0
	s_waitcnt lgkmcnt(0)
	s_bfe_u32 s3, s3, 0xa0006
	v_cmp_gt_u32_e32 vcc, s3, v0
	s_and_saveexec_b64 s[4:5], vcc
; %bb.7:
	v_lshlrev_b32_e32 v6, 2, v8
	ds_read_b32 v6, v6
; %bb.8:
	s_or_b64 exec, exec, s[4:5]
	v_cmp_gt_u32_e32 vcc, 64, v0
	s_and_saveexec_b64 s[4:5], vcc
	s_cbranch_execz .LBB114_10
; %bb.9:
	s_waitcnt lgkmcnt(0)
	ds_bpermute_b32 v2, v2, v6
	s_waitcnt lgkmcnt(0)
	v_add_f32_e32 v2, v6, v2
	ds_bpermute_b32 v1, v1, v2
	s_waitcnt lgkmcnt(0)
	v_add_f32_e32 v1, v2, v1
	;; [unrolled: 3-line block ×6, first 2 shown]
.LBB114_10:
	s_or_b64 exec, exec, s[4:5]
	s_mov_b32 s3, 0
	v_cmp_eq_u32_e32 vcc, 0, v0
	s_and_saveexec_b64 s[4:5], vcc
	s_cbranch_execz .LBB114_12
; %bb.11:
	s_mov_b32 s4, 0xf800000
	s_waitcnt lgkmcnt(0)
	v_mul_f32_e32 v0, 0x4f800000, v6
	v_cmp_gt_f32_e32 vcc, s4, v6
	s_lshl_b64 s[2:3], s[2:3], 3
	s_add_u32 s0, s0, s2
	v_cndmask_b32_e32 v0, v6, v0, vcc
	v_sqrt_f32_e32 v1, v0
	s_addc_u32 s1, s1, s3
	s_load_dwordx2 s[0:1], s[0:1], 0x8
	v_add_u32_e32 v2, -1, v1
	v_fma_f32 v3, -v2, v1, v0
	v_cmp_ge_f32_e64 s[4:5], 0, v3
	v_add_u32_e32 v3, 1, v1
	s_nop 0
	v_cndmask_b32_e64 v2, v1, v2, s[4:5]
	v_fma_f32 v1, -v3, v1, v0
	v_cmp_lt_f32_e64 s[4:5], 0, v1
	s_nop 1
	v_cndmask_b32_e64 v1, v2, v3, s[4:5]
	v_mul_f32_e32 v2, 0x37800000, v1
	v_cndmask_b32_e32 v1, v1, v2, vcc
	v_mov_b32_e32 v2, 0x260
	v_cmp_class_f32_e32 vcc, v0, v2
	s_movk_i32 s4, 0x7fff
	s_nop 0
	v_cndmask_b32_e32 v0, v1, v0, vcc
	v_bfe_u32 v1, v0, 16, 1
	v_add3_u32 v0, v0, v1, s4
	v_cmp_le_f32_e32 vcc, 0, v6
	v_mov_b32_e32 v1, 0x7fc0
	s_nop 0
	v_cndmask_b32_sdwa v0, v1, v0, vcc dst_sel:DWORD dst_unused:UNUSED_PAD src0_sel:DWORD src1_sel:WORD_1
	v_mov_b32_e32 v1, 0
	s_waitcnt lgkmcnt(0)
	global_store_short v1, v0, s[0:1]
.LBB114_12:
	s_endpgm
	.section	.rodata,"a",@progbits
	.p2align	6, 0x0
	.amdhsa_kernel _ZN2at6native14lpnorm_cleanupIN3c104HalfELNS0_8NormTypeE2ENS2_8BFloat16ELb1EfEEvPKT3_NS0_19TensorListAddressesEi
		.amdhsa_group_segment_fixed_size 2048
		.amdhsa_private_segment_fixed_size 0
		.amdhsa_kernarg_size 3472
		.amdhsa_user_sgpr_count 2
		.amdhsa_user_sgpr_dispatch_ptr 0
		.amdhsa_user_sgpr_queue_ptr 0
		.amdhsa_user_sgpr_kernarg_segment_ptr 1
		.amdhsa_user_sgpr_dispatch_id 0
		.amdhsa_user_sgpr_kernarg_preload_length 0
		.amdhsa_user_sgpr_kernarg_preload_offset 0
		.amdhsa_user_sgpr_private_segment_size 0
		.amdhsa_uses_dynamic_stack 0
		.amdhsa_enable_private_segment 0
		.amdhsa_system_sgpr_workgroup_id_x 1
		.amdhsa_system_sgpr_workgroup_id_y 0
		.amdhsa_system_sgpr_workgroup_id_z 0
		.amdhsa_system_sgpr_workgroup_info 0
		.amdhsa_system_vgpr_workitem_id 0
		.amdhsa_next_free_vgpr 11
		.amdhsa_next_free_sgpr 16
		.amdhsa_accum_offset 12
		.amdhsa_reserve_vcc 1
		.amdhsa_float_round_mode_32 0
		.amdhsa_float_round_mode_16_64 0
		.amdhsa_float_denorm_mode_32 3
		.amdhsa_float_denorm_mode_16_64 3
		.amdhsa_dx10_clamp 1
		.amdhsa_ieee_mode 1
		.amdhsa_fp16_overflow 0
		.amdhsa_tg_split 0
		.amdhsa_exception_fp_ieee_invalid_op 0
		.amdhsa_exception_fp_denorm_src 0
		.amdhsa_exception_fp_ieee_div_zero 0
		.amdhsa_exception_fp_ieee_overflow 0
		.amdhsa_exception_fp_ieee_underflow 0
		.amdhsa_exception_fp_ieee_inexact 0
		.amdhsa_exception_int_div_zero 0
	.end_amdhsa_kernel
	.section	.text._ZN2at6native14lpnorm_cleanupIN3c104HalfELNS0_8NormTypeE2ENS2_8BFloat16ELb1EfEEvPKT3_NS0_19TensorListAddressesEi,"axG",@progbits,_ZN2at6native14lpnorm_cleanupIN3c104HalfELNS0_8NormTypeE2ENS2_8BFloat16ELb1EfEEvPKT3_NS0_19TensorListAddressesEi,comdat
.Lfunc_end114:
	.size	_ZN2at6native14lpnorm_cleanupIN3c104HalfELNS0_8NormTypeE2ENS2_8BFloat16ELb1EfEEvPKT3_NS0_19TensorListAddressesEi, .Lfunc_end114-_ZN2at6native14lpnorm_cleanupIN3c104HalfELNS0_8NormTypeE2ENS2_8BFloat16ELb1EfEEvPKT3_NS0_19TensorListAddressesEi
                                        ; -- End function
	.set _ZN2at6native14lpnorm_cleanupIN3c104HalfELNS0_8NormTypeE2ENS2_8BFloat16ELb1EfEEvPKT3_NS0_19TensorListAddressesEi.num_vgpr, 11
	.set _ZN2at6native14lpnorm_cleanupIN3c104HalfELNS0_8NormTypeE2ENS2_8BFloat16ELb1EfEEvPKT3_NS0_19TensorListAddressesEi.num_agpr, 0
	.set _ZN2at6native14lpnorm_cleanupIN3c104HalfELNS0_8NormTypeE2ENS2_8BFloat16ELb1EfEEvPKT3_NS0_19TensorListAddressesEi.numbered_sgpr, 16
	.set _ZN2at6native14lpnorm_cleanupIN3c104HalfELNS0_8NormTypeE2ENS2_8BFloat16ELb1EfEEvPKT3_NS0_19TensorListAddressesEi.num_named_barrier, 0
	.set _ZN2at6native14lpnorm_cleanupIN3c104HalfELNS0_8NormTypeE2ENS2_8BFloat16ELb1EfEEvPKT3_NS0_19TensorListAddressesEi.private_seg_size, 0
	.set _ZN2at6native14lpnorm_cleanupIN3c104HalfELNS0_8NormTypeE2ENS2_8BFloat16ELb1EfEEvPKT3_NS0_19TensorListAddressesEi.uses_vcc, 1
	.set _ZN2at6native14lpnorm_cleanupIN3c104HalfELNS0_8NormTypeE2ENS2_8BFloat16ELb1EfEEvPKT3_NS0_19TensorListAddressesEi.uses_flat_scratch, 0
	.set _ZN2at6native14lpnorm_cleanupIN3c104HalfELNS0_8NormTypeE2ENS2_8BFloat16ELb1EfEEvPKT3_NS0_19TensorListAddressesEi.has_dyn_sized_stack, 0
	.set _ZN2at6native14lpnorm_cleanupIN3c104HalfELNS0_8NormTypeE2ENS2_8BFloat16ELb1EfEEvPKT3_NS0_19TensorListAddressesEi.has_recursion, 0
	.set _ZN2at6native14lpnorm_cleanupIN3c104HalfELNS0_8NormTypeE2ENS2_8BFloat16ELb1EfEEvPKT3_NS0_19TensorListAddressesEi.has_indirect_call, 0
	.section	.AMDGPU.csdata,"",@progbits
; Kernel info:
; codeLenInByte = 836
; TotalNumSgprs: 22
; NumVgprs: 11
; NumAgprs: 0
; TotalNumVgprs: 11
; ScratchSize: 0
; MemoryBound: 0
; FloatMode: 240
; IeeeMode: 1
; LDSByteSize: 2048 bytes/workgroup (compile time only)
; SGPRBlocks: 2
; VGPRBlocks: 1
; NumSGPRsForWavesPerEU: 22
; NumVGPRsForWavesPerEU: 11
; AccumOffset: 12
; Occupancy: 8
; WaveLimiterHint : 0
; COMPUTE_PGM_RSRC2:SCRATCH_EN: 0
; COMPUTE_PGM_RSRC2:USER_SGPR: 2
; COMPUTE_PGM_RSRC2:TRAP_HANDLER: 0
; COMPUTE_PGM_RSRC2:TGID_X_EN: 1
; COMPUTE_PGM_RSRC2:TGID_Y_EN: 0
; COMPUTE_PGM_RSRC2:TGID_Z_EN: 0
; COMPUTE_PGM_RSRC2:TIDIG_COMP_CNT: 0
; COMPUTE_PGM_RSRC3_GFX90A:ACCUM_OFFSET: 2
; COMPUTE_PGM_RSRC3_GFX90A:TG_SPLIT: 0
	.section	.text._ZN2at6native14lpnorm_cleanupIN3c104HalfELNS0_8NormTypeE3ENS2_8BFloat16ELb1EfEEvPKT3_NS0_19TensorListAddressesEi,"axG",@progbits,_ZN2at6native14lpnorm_cleanupIN3c104HalfELNS0_8NormTypeE3ENS2_8BFloat16ELb1EfEEvPKT3_NS0_19TensorListAddressesEi,comdat
	.protected	_ZN2at6native14lpnorm_cleanupIN3c104HalfELNS0_8NormTypeE3ENS2_8BFloat16ELb1EfEEvPKT3_NS0_19TensorListAddressesEi ; -- Begin function _ZN2at6native14lpnorm_cleanupIN3c104HalfELNS0_8NormTypeE3ENS2_8BFloat16ELb1EfEEvPKT3_NS0_19TensorListAddressesEi
	.globl	_ZN2at6native14lpnorm_cleanupIN3c104HalfELNS0_8NormTypeE3ENS2_8BFloat16ELb1EfEEvPKT3_NS0_19TensorListAddressesEi
	.p2align	8
	.type	_ZN2at6native14lpnorm_cleanupIN3c104HalfELNS0_8NormTypeE3ENS2_8BFloat16ELb1EfEEvPKT3_NS0_19TensorListAddressesEi,@function
_ZN2at6native14lpnorm_cleanupIN3c104HalfELNS0_8NormTypeE3ENS2_8BFloat16ELb1EfEEvPKT3_NS0_19TensorListAddressesEi: ; @_ZN2at6native14lpnorm_cleanupIN3c104HalfELNS0_8NormTypeE3ENS2_8BFloat16ELb1EfEEvPKT3_NS0_19TensorListAddressesEi
; %bb.0:
	s_load_dword s10, s[0:1], 0xc88
	v_mov_b32_e32 v1, 0
	s_waitcnt lgkmcnt(0)
	v_cmp_gt_u32_e32 vcc, s10, v0
	s_and_saveexec_b64 s[8:9], vcc
	s_cbranch_execz .LBB115_4
; %bb.1:
	s_load_dwordx2 s[4:5], s[0:1], 0x0
	s_load_dword s3, s[0:1], 0xc9c
	s_mul_i32 s12, s10, s2
	s_mov_b32 s13, 0
	s_ashr_i32 s11, s10, 31
	s_lshl_b64 s[6:7], s[12:13], 2
	s_waitcnt lgkmcnt(0)
	s_and_b32 s14, s3, 0xffff
	v_mov_b32_e32 v1, 0
	s_add_u32 s4, s4, s6
	v_lshlrev_b32_e32 v2, 2, v0
	v_mov_b32_e32 v3, v1
	s_addc_u32 s5, s5, s7
	s_mov_b32 s15, s13
	v_lshl_add_u64 v[2:3], s[4:5], 0, v[2:3]
	s_lshl_b32 s12, s14, 2
	s_mov_b64 s[16:17], 0
	v_mov_b64_e32 v[4:5], v[0:1]
.LBB115_2:                              ; =>This Inner Loop Header: Depth=1
	global_load_dword v6, v[2:3], off
	v_lshl_add_u64 v[4:5], v[4:5], 0, s[14:15]
	v_cmp_le_u64_e32 vcc, s[10:11], v[4:5]
	v_lshl_add_u64 v[2:3], v[2:3], 0, s[12:13]
	s_waitcnt vmcnt(0)
	v_cmp_u_f32_e64 s[4:5], v6, v6
	v_cmp_lt_f32_e64 s[6:7], v1, v6
	s_or_b64 s[4:5], s[4:5], s[6:7]
	s_or_b64 s[16:17], vcc, s[16:17]
	v_cndmask_b32_e64 v1, v1, v6, s[4:5]
	s_andn2_b64 exec, exec, s[16:17]
	s_cbranch_execnz .LBB115_2
; %bb.3:
	s_or_b64 exec, exec, s[16:17]
.LBB115_4:
	s_or_b64 exec, exec, s[8:9]
	v_mbcnt_lo_u32_b32 v2, -1, 0
	v_mbcnt_hi_u32_b32 v6, -1, v2
	v_mov_b32_e32 v2, 0x80
	v_lshl_or_b32 v2, v6, 2, v2
	ds_bpermute_b32 v3, v2, v1
	v_and_b32_e32 v9, 63, v6
	s_waitcnt lgkmcnt(0)
	s_barrier
	v_cmp_u_f32_e32 vcc, v3, v3
	v_cmp_lt_f32_e64 s[4:5], v1, v3
	s_or_b64 vcc, vcc, s[4:5]
	v_cndmask_b32_e32 v3, v1, v3, vcc
	v_cmp_gt_u32_e32 vcc, 48, v9
	s_nop 1
	v_cndmask_b32_e64 v1, 0, 16, vcc
	v_add_lshl_u32 v1, v1, v6, 2
	ds_bpermute_b32 v4, v1, v3
	s_waitcnt lgkmcnt(0)
	v_cmp_u_f32_e32 vcc, v4, v4
	v_cmp_lt_f32_e64 s[4:5], v3, v4
	s_or_b64 vcc, vcc, s[4:5]
	v_cndmask_b32_e32 v4, v3, v4, vcc
	v_cmp_gt_u32_e32 vcc, 56, v9
	s_nop 1
	v_cndmask_b32_e64 v3, 0, 8, vcc
	v_add_lshl_u32 v3, v3, v6, 2
	ds_bpermute_b32 v5, v3, v4
	s_waitcnt lgkmcnt(0)
	;; [unrolled: 10-line block ×3, first 2 shown]
	v_cmp_u_f32_e32 vcc, v7, v7
	v_cmp_lt_f32_e64 s[4:5], v5, v7
	s_or_b64 vcc, vcc, s[4:5]
	v_cndmask_b32_e32 v8, v5, v7, vcc
	v_cmp_gt_u32_e32 vcc, 62, v9
	v_and_b32_e32 v7, 63, v0
	s_nop 0
	v_cndmask_b32_e64 v5, 0, 2, vcc
	v_add_lshl_u32 v5, v5, v6, 2
	ds_bpermute_b32 v10, v5, v8
	s_waitcnt lgkmcnt(0)
	v_cmp_u_f32_e32 vcc, v10, v10
	v_cmp_lt_f32_e64 s[4:5], v8, v10
	s_or_b64 vcc, vcc, s[4:5]
	v_cndmask_b32_e32 v8, v8, v10, vcc
	v_cmp_ne_u32_e32 vcc, 63, v9
	s_nop 1
	v_addc_co_u32_e32 v6, vcc, 0, v6, vcc
	v_lshlrev_b32_e32 v6, 2, v6
	ds_bpermute_b32 v9, v6, v8
	v_cmp_eq_u32_e32 vcc, 0, v7
	s_and_saveexec_b64 s[6:7], vcc
	s_cbranch_execz .LBB115_6
; %bb.5:
	s_waitcnt lgkmcnt(0)
	v_cmp_u_f32_e32 vcc, v9, v9
	v_cmp_lt_f32_e64 s[4:5], v8, v9
	s_or_b64 vcc, vcc, s[4:5]
	v_cndmask_b32_e32 v8, v8, v9, vcc
	v_lshrrev_b32_e32 v9, 4, v0
	ds_write_b32 v9, v8
.LBB115_6:
	s_or_b64 exec, exec, s[6:7]
	s_waitcnt lgkmcnt(0)
	s_barrier
	s_load_dword s3, s[0:1], 0xc9c
	v_mov_b32_e32 v8, 0xff7fffff
	s_waitcnt lgkmcnt(0)
	s_bfe_u32 s3, s3, 0xa0006
	v_cmp_gt_u32_e32 vcc, s3, v0
	s_and_saveexec_b64 s[4:5], vcc
; %bb.7:
	v_lshlrev_b32_e32 v7, 2, v7
	ds_read_b32 v8, v7
; %bb.8:
	s_or_b64 exec, exec, s[4:5]
	v_cmp_gt_u32_e32 vcc, 64, v0
	s_and_saveexec_b64 s[6:7], vcc
	s_cbranch_execz .LBB115_10
; %bb.9:
	s_waitcnt lgkmcnt(0)
	ds_bpermute_b32 v2, v2, v8
	s_waitcnt lgkmcnt(0)
	v_cmp_u_f32_e32 vcc, v2, v2
	v_cmp_lt_f32_e64 s[4:5], v8, v2
	s_or_b64 vcc, vcc, s[4:5]
	v_cndmask_b32_e32 v2, v8, v2, vcc
	ds_bpermute_b32 v1, v1, v2
	s_waitcnt lgkmcnt(0)
	v_cmp_u_f32_e32 vcc, v1, v1
	v_cmp_lt_f32_e64 s[4:5], v2, v1
	s_or_b64 vcc, vcc, s[4:5]
	v_cndmask_b32_e32 v1, v2, v1, vcc
	;; [unrolled: 6-line block ×6, first 2 shown]
.LBB115_10:
	s_or_b64 exec, exec, s[6:7]
	s_mov_b32 s3, 0
	v_cmp_eq_u32_e32 vcc, 0, v0
	s_and_saveexec_b64 s[4:5], vcc
	s_cbranch_execz .LBB115_12
; %bb.11:
	s_lshl_b64 s[2:3], s[2:3], 3
	s_add_u32 s0, s0, s2
	s_addc_u32 s1, s1, s3
	s_load_dwordx2 s[0:1], s[0:1], 0x8
	s_waitcnt lgkmcnt(0)
	v_bfe_u32 v0, v8, 16, 1
	s_movk_i32 s4, 0x7fff
	v_add3_u32 v0, v8, v0, s4
	v_cmp_o_f32_e32 vcc, v8, v8
	v_mov_b32_e32 v1, 0x7fc0
	s_nop 0
	v_cndmask_b32_sdwa v0, v1, v0, vcc dst_sel:DWORD dst_unused:UNUSED_PAD src0_sel:DWORD src1_sel:WORD_1
	v_mov_b32_e32 v1, 0
	global_store_short v1, v0, s[0:1]
.LBB115_12:
	s_endpgm
	.section	.rodata,"a",@progbits
	.p2align	6, 0x0
	.amdhsa_kernel _ZN2at6native14lpnorm_cleanupIN3c104HalfELNS0_8NormTypeE3ENS2_8BFloat16ELb1EfEEvPKT3_NS0_19TensorListAddressesEi
		.amdhsa_group_segment_fixed_size 2048
		.amdhsa_private_segment_fixed_size 0
		.amdhsa_kernarg_size 3472
		.amdhsa_user_sgpr_count 2
		.amdhsa_user_sgpr_dispatch_ptr 0
		.amdhsa_user_sgpr_queue_ptr 0
		.amdhsa_user_sgpr_kernarg_segment_ptr 1
		.amdhsa_user_sgpr_dispatch_id 0
		.amdhsa_user_sgpr_kernarg_preload_length 0
		.amdhsa_user_sgpr_kernarg_preload_offset 0
		.amdhsa_user_sgpr_private_segment_size 0
		.amdhsa_uses_dynamic_stack 0
		.amdhsa_enable_private_segment 0
		.amdhsa_system_sgpr_workgroup_id_x 1
		.amdhsa_system_sgpr_workgroup_id_y 0
		.amdhsa_system_sgpr_workgroup_id_z 0
		.amdhsa_system_sgpr_workgroup_info 0
		.amdhsa_system_vgpr_workitem_id 0
		.amdhsa_next_free_vgpr 11
		.amdhsa_next_free_sgpr 18
		.amdhsa_accum_offset 12
		.amdhsa_reserve_vcc 1
		.amdhsa_float_round_mode_32 0
		.amdhsa_float_round_mode_16_64 0
		.amdhsa_float_denorm_mode_32 3
		.amdhsa_float_denorm_mode_16_64 3
		.amdhsa_dx10_clamp 1
		.amdhsa_ieee_mode 1
		.amdhsa_fp16_overflow 0
		.amdhsa_tg_split 0
		.amdhsa_exception_fp_ieee_invalid_op 0
		.amdhsa_exception_fp_denorm_src 0
		.amdhsa_exception_fp_ieee_div_zero 0
		.amdhsa_exception_fp_ieee_overflow 0
		.amdhsa_exception_fp_ieee_underflow 0
		.amdhsa_exception_fp_ieee_inexact 0
		.amdhsa_exception_int_div_zero 0
	.end_amdhsa_kernel
	.section	.text._ZN2at6native14lpnorm_cleanupIN3c104HalfELNS0_8NormTypeE3ENS2_8BFloat16ELb1EfEEvPKT3_NS0_19TensorListAddressesEi,"axG",@progbits,_ZN2at6native14lpnorm_cleanupIN3c104HalfELNS0_8NormTypeE3ENS2_8BFloat16ELb1EfEEvPKT3_NS0_19TensorListAddressesEi,comdat
.Lfunc_end115:
	.size	_ZN2at6native14lpnorm_cleanupIN3c104HalfELNS0_8NormTypeE3ENS2_8BFloat16ELb1EfEEvPKT3_NS0_19TensorListAddressesEi, .Lfunc_end115-_ZN2at6native14lpnorm_cleanupIN3c104HalfELNS0_8NormTypeE3ENS2_8BFloat16ELb1EfEEvPKT3_NS0_19TensorListAddressesEi
                                        ; -- End function
	.set _ZN2at6native14lpnorm_cleanupIN3c104HalfELNS0_8NormTypeE3ENS2_8BFloat16ELb1EfEEvPKT3_NS0_19TensorListAddressesEi.num_vgpr, 11
	.set _ZN2at6native14lpnorm_cleanupIN3c104HalfELNS0_8NormTypeE3ENS2_8BFloat16ELb1EfEEvPKT3_NS0_19TensorListAddressesEi.num_agpr, 0
	.set _ZN2at6native14lpnorm_cleanupIN3c104HalfELNS0_8NormTypeE3ENS2_8BFloat16ELb1EfEEvPKT3_NS0_19TensorListAddressesEi.numbered_sgpr, 18
	.set _ZN2at6native14lpnorm_cleanupIN3c104HalfELNS0_8NormTypeE3ENS2_8BFloat16ELb1EfEEvPKT3_NS0_19TensorListAddressesEi.num_named_barrier, 0
	.set _ZN2at6native14lpnorm_cleanupIN3c104HalfELNS0_8NormTypeE3ENS2_8BFloat16ELb1EfEEvPKT3_NS0_19TensorListAddressesEi.private_seg_size, 0
	.set _ZN2at6native14lpnorm_cleanupIN3c104HalfELNS0_8NormTypeE3ENS2_8BFloat16ELb1EfEEvPKT3_NS0_19TensorListAddressesEi.uses_vcc, 1
	.set _ZN2at6native14lpnorm_cleanupIN3c104HalfELNS0_8NormTypeE3ENS2_8BFloat16ELb1EfEEvPKT3_NS0_19TensorListAddressesEi.uses_flat_scratch, 0
	.set _ZN2at6native14lpnorm_cleanupIN3c104HalfELNS0_8NormTypeE3ENS2_8BFloat16ELb1EfEEvPKT3_NS0_19TensorListAddressesEi.has_dyn_sized_stack, 0
	.set _ZN2at6native14lpnorm_cleanupIN3c104HalfELNS0_8NormTypeE3ENS2_8BFloat16ELb1EfEEvPKT3_NS0_19TensorListAddressesEi.has_recursion, 0
	.set _ZN2at6native14lpnorm_cleanupIN3c104HalfELNS0_8NormTypeE3ENS2_8BFloat16ELb1EfEEvPKT3_NS0_19TensorListAddressesEi.has_indirect_call, 0
	.section	.AMDGPU.csdata,"",@progbits
; Kernel info:
; codeLenInByte = 944
; TotalNumSgprs: 24
; NumVgprs: 11
; NumAgprs: 0
; TotalNumVgprs: 11
; ScratchSize: 0
; MemoryBound: 0
; FloatMode: 240
; IeeeMode: 1
; LDSByteSize: 2048 bytes/workgroup (compile time only)
; SGPRBlocks: 2
; VGPRBlocks: 1
; NumSGPRsForWavesPerEU: 24
; NumVGPRsForWavesPerEU: 11
; AccumOffset: 12
; Occupancy: 8
; WaveLimiterHint : 0
; COMPUTE_PGM_RSRC2:SCRATCH_EN: 0
; COMPUTE_PGM_RSRC2:USER_SGPR: 2
; COMPUTE_PGM_RSRC2:TRAP_HANDLER: 0
; COMPUTE_PGM_RSRC2:TGID_X_EN: 1
; COMPUTE_PGM_RSRC2:TGID_Y_EN: 0
; COMPUTE_PGM_RSRC2:TGID_Z_EN: 0
; COMPUTE_PGM_RSRC2:TIDIG_COMP_CNT: 0
; COMPUTE_PGM_RSRC3_GFX90A:ACCUM_OFFSET: 2
; COMPUTE_PGM_RSRC3_GFX90A:TG_SPLIT: 0
	.section	.text._ZN2at6native12_GLOBAL__N_125multi_tensor_apply_kernelINS1_18TensorListMetadataILi1EEENS0_13LpNormFunctorIN3c108BFloat16ELNS0_8NormTypeE0EdLi1ELi1ELi0EEEJPdiEEEvT_T0_DpT1_,"axG",@progbits,_ZN2at6native12_GLOBAL__N_125multi_tensor_apply_kernelINS1_18TensorListMetadataILi1EEENS0_13LpNormFunctorIN3c108BFloat16ELNS0_8NormTypeE0EdLi1ELi1ELi0EEEJPdiEEEvT_T0_DpT1_,comdat
	.globl	_ZN2at6native12_GLOBAL__N_125multi_tensor_apply_kernelINS1_18TensorListMetadataILi1EEENS0_13LpNormFunctorIN3c108BFloat16ELNS0_8NormTypeE0EdLi1ELi1ELi0EEEJPdiEEEvT_T0_DpT1_ ; -- Begin function _ZN2at6native12_GLOBAL__N_125multi_tensor_apply_kernelINS1_18TensorListMetadataILi1EEENS0_13LpNormFunctorIN3c108BFloat16ELNS0_8NormTypeE0EdLi1ELi1ELi0EEEJPdiEEEvT_T0_DpT1_
	.p2align	8
	.type	_ZN2at6native12_GLOBAL__N_125multi_tensor_apply_kernelINS1_18TensorListMetadataILi1EEENS0_13LpNormFunctorIN3c108BFloat16ELNS0_8NormTypeE0EdLi1ELi1ELi0EEEJPdiEEEvT_T0_DpT1_,@function
_ZN2at6native12_GLOBAL__N_125multi_tensor_apply_kernelINS1_18TensorListMetadataILi1EEENS0_13LpNormFunctorIN3c108BFloat16ELNS0_8NormTypeE0EdLi1ELi1ELi0EEEJPdiEEEvT_T0_DpT1_: ; @_ZN2at6native12_GLOBAL__N_125multi_tensor_apply_kernelINS1_18TensorListMetadataILi1EEENS0_13LpNormFunctorIN3c108BFloat16ELNS0_8NormTypeE0EdLi1ELi1ELi0EEEJPdiEEEvT_T0_DpT1_
; %bb.0:
	v_mov_b32_e32 v1, s2
	global_load_ubyte v1, v1, s[0:1] offset:1760
	s_add_u32 s3, s0, s2
	s_mul_hi_u32 s4, s2, 3
	s_mul_i32 s2, s2, 3
	s_addc_u32 s5, s1, 0
	s_add_u32 s2, s3, s2
	s_addc_u32 s3, s5, s4
	s_load_dword s4, s[2:3], 0x820
	s_mov_b32 s15, 0
	s_waitcnt vmcnt(0)
	v_readfirstlane_b32 s2, v1
	s_and_b32 s18, s2, 0xff
	s_lshl_b32 s5, s18, 3
	s_load_dwordx2 s[2:3], s[0:1], s5 offset:0x370
	s_load_dwordx2 s[6:7], s[0:1], s5 offset:0x0
	s_waitcnt lgkmcnt(0)
	s_ashr_i32 s5, s4, 31
	s_lshl_b64 s[10:11], s[4:5], 16
	s_lshl_b64 s[8:9], s[4:5], 17
	s_add_u32 s12, s6, s8
	s_addc_u32 s13, s7, s9
	s_sub_u32 s10, s2, s10
	s_subb_u32 s11, s3, s11
	s_and_b32 s14, s2, 3
	s_and_b32 s2, s12, 7
	s_mov_b32 s3, s15
	s_or_b64 s[2:3], s[14:15], s[2:3]
	s_cmp_eq_u64 s[2:3], 0
	s_cbranch_scc1 .LBB116_12
; %bb.1:
	v_cmp_lt_i64_e64 s[2:3], s[10:11], 1
	s_and_b64 vcc, exec, s[2:3]
	s_cbranch_vccnz .LBB116_13
; %bb.2:
	v_mov_b64_e32 v[2:3], 0x10000
	v_cmp_lt_i64_e32 vcc, s[10:11], v[2:3]
	s_and_b64 s[2:3], vcc, exec
	s_load_dword s2, s[0:1], 0xd4c
	v_mov_b32_e32 v11, 0
	v_mov_b32_e32 v10, v11
	s_cselect_b32 s15, s11, 0
	s_cselect_b32 s14, s10, 0x10000
	s_waitcnt lgkmcnt(0)
	s_and_b32 s16, s2, 0xffff
	v_mov_b32_e32 v12, v11
	v_mov_b32_e32 v13, v11
	v_mov_b32_e32 v14, v11
	v_mov_b32_e32 v15, v11
	v_mov_b32_e32 v16, v11
	v_mov_b32_e32 v17, v11
	v_mov_b64_e32 v[2:3], v[10:11]
	s_mov_b32 s5, 0x10000
	s_lshl_b32 s19, s16, 2
	v_lshl_add_u32 v18, s16, 1, v0
	v_mad_u64_u32 v[20:21], s[2:3], s16, 3, v[0:1]
	v_add_u32_e32 v22, s16, v0
	s_mov_b64 s[16:17], 0
	v_mov_b32_e32 v1, 0x3ff00000
	v_mov_b64_e32 v[4:5], v[12:13]
	v_mov_b64_e32 v[6:7], v[14:15]
	;; [unrolled: 1-line block ×3, first 2 shown]
	s_branch .LBB116_4
.LBB116_3:                              ;   in Loop: Header=BB116_4 Depth=1
	s_or_b64 exec, exec, s[2:3]
	s_add_u32 s16, s16, s19
	s_addc_u32 s17, s17, 0
	v_mov_b64_e32 v[12:13], s[14:15]
	v_cmp_lt_i64_e32 vcc, s[16:17], v[12:13]
	s_cbranch_vccz .LBB116_14
.LBB116_4:                              ; =>This Inner Loop Header: Depth=1
	v_add_u32_e32 v10, s16, v0
	v_cmp_gt_i64_e32 vcc, s[10:11], v[10:11]
	v_cmp_gt_u32_e64 s[2:3], s5, v10
	s_and_b64 s[20:21], s[2:3], vcc
	s_and_saveexec_b64 s[2:3], s[20:21]
	s_cbranch_execz .LBB116_6
; %bb.5:                                ;   in Loop: Header=BB116_4 Depth=1
	v_lshl_add_u64 v[12:13], v[10:11], 1, s[12:13]
	global_load_ushort v10, v[12:13], off
	v_mov_b32_e32 v12, v11
	s_waitcnt vmcnt(0)
	v_and_b32_e32 v10, 0x7fff, v10
	v_cmp_eq_u16_e32 vcc, 0, v10
	s_nop 1
	v_cndmask_b32_e64 v13, v1, 0, vcc
	v_add_f64 v[2:3], v[2:3], v[12:13]
.LBB116_6:                              ;   in Loop: Header=BB116_4 Depth=1
	s_or_b64 exec, exec, s[2:3]
	v_add_u32_e32 v10, s16, v22
	v_cmp_gt_i64_e32 vcc, s[10:11], v[10:11]
	v_cmp_gt_u32_e64 s[2:3], s5, v10
	s_and_b64 s[20:21], s[2:3], vcc
	s_and_saveexec_b64 s[2:3], s[20:21]
	s_cbranch_execz .LBB116_8
; %bb.7:                                ;   in Loop: Header=BB116_4 Depth=1
	v_lshl_add_u64 v[12:13], v[10:11], 1, s[12:13]
	global_load_ushort v10, v[12:13], off
	v_mov_b32_e32 v12, v11
	s_waitcnt vmcnt(0)
	v_and_b32_e32 v10, 0x7fff, v10
	v_cmp_eq_u16_e32 vcc, 0, v10
	s_nop 1
	v_cndmask_b32_e64 v13, v1, 0, vcc
	v_add_f64 v[4:5], v[4:5], v[12:13]
.LBB116_8:                              ;   in Loop: Header=BB116_4 Depth=1
	s_or_b64 exec, exec, s[2:3]
	v_add_u32_e32 v10, s16, v18
	v_cmp_gt_i64_e32 vcc, s[10:11], v[10:11]
	v_cmp_gt_u32_e64 s[2:3], s5, v10
	s_and_b64 s[20:21], s[2:3], vcc
	s_and_saveexec_b64 s[2:3], s[20:21]
	s_cbranch_execz .LBB116_10
; %bb.9:                                ;   in Loop: Header=BB116_4 Depth=1
	v_lshl_add_u64 v[12:13], v[10:11], 1, s[12:13]
	global_load_ushort v10, v[12:13], off
	v_mov_b32_e32 v12, v11
	s_waitcnt vmcnt(0)
	v_and_b32_e32 v10, 0x7fff, v10
	v_cmp_eq_u16_e32 vcc, 0, v10
	s_nop 1
	v_cndmask_b32_e64 v13, v1, 0, vcc
	v_add_f64 v[6:7], v[6:7], v[12:13]
.LBB116_10:                             ;   in Loop: Header=BB116_4 Depth=1
	s_or_b64 exec, exec, s[2:3]
	v_add_u32_e32 v10, s16, v20
	v_cmp_gt_i64_e32 vcc, s[10:11], v[10:11]
	v_cmp_gt_u32_e64 s[2:3], s5, v10
	s_and_b64 s[20:21], s[2:3], vcc
	s_and_saveexec_b64 s[2:3], s[20:21]
	s_cbranch_execz .LBB116_3
; %bb.11:                               ;   in Loop: Header=BB116_4 Depth=1
	v_lshl_add_u64 v[12:13], v[10:11], 1, s[12:13]
	global_load_ushort v10, v[12:13], off
	v_mov_b32_e32 v12, v11
	s_waitcnt vmcnt(0)
	v_and_b32_e32 v10, 0x7fff, v10
	v_cmp_eq_u16_e32 vcc, 0, v10
	s_nop 1
	v_cndmask_b32_e64 v13, v1, 0, vcc
	v_add_f64 v[8:9], v[8:9], v[12:13]
	s_branch .LBB116_3
.LBB116_12:
                                        ; implicit-def: $vgpr2_vgpr3_vgpr4_vgpr5_vgpr6_vgpr7_vgpr8_vgpr9
	s_branch .LBB116_15
.LBB116_13:
	v_mov_b32_e32 v2, 0
	v_mov_b32_e32 v3, v2
	v_mov_b32_e32 v4, v2
	v_mov_b32_e32 v5, v2
	v_mov_b32_e32 v6, v2
	v_mov_b32_e32 v7, v2
	v_mov_b32_e32 v8, v2
	v_mov_b32_e32 v9, v2
.LBB116_14:
	s_cbranch_execnz .LBB116_20
.LBB116_15:
	v_mov_b64_e32 v[4:5], 0x10000
	v_cmp_lt_i64_e32 vcc, s[10:11], v[4:5]
	s_and_b64 s[12:13], vcc, exec
	v_mov_b32_e32 v3, 0
	s_cselect_b32 s11, s11, 0
	s_cselect_b32 s10, s10, 0x10000
	v_lshlrev_b32_e32 v2, 2, v0
	s_mov_b32 s3, 0
	v_cmp_gt_i64_e32 vcc, s[10:11], v[2:3]
	v_mov_b32_e32 v2, v3
	v_mov_b32_e32 v4, v3
	;; [unrolled: 1-line block ×7, first 2 shown]
	s_and_saveexec_b64 s[12:13], vcc
	s_cbranch_execz .LBB116_19
; %bb.16:
	s_load_dword s2, s[0:1], 0xd4c
	v_mov_b32_e32 v1, v3
	v_lshlrev_b32_e32 v2, 3, v0
	s_mov_b32 s15, s3
	v_mov_b64_e32 v[4:5], 0
	s_waitcnt lgkmcnt(0)
	s_and_b32 s2, s2, 0xffff
	s_add_u32 s6, s6, s8
	s_addc_u32 s7, s7, s9
	s_lshl_b32 s14, s2, 3
	v_lshl_add_u64 v[12:13], s[6:7], 0, v[2:3]
	s_mov_b64 s[6:7], 0
	v_mov_b32_e32 v16, 0x3ff00000
	v_mov_b64_e32 v[14:15], v[0:1]
	v_mov_b64_e32 v[6:7], 0
	;; [unrolled: 1-line block ×4, first 2 shown]
.LBB116_17:                             ; =>This Inner Loop Header: Depth=1
	global_load_dwordx2 v[18:19], v[12:13], off
	v_lshl_add_u64 v[14:15], v[14:15], 0, s[2:3]
	v_lshlrev_b64 v[32:33], 2, v[14:15]
	v_cmp_le_i64_e32 vcc, s[10:11], v[32:33]
	v_mov_b32_e32 v24, v3
	s_or_b64 s[6:7], vcc, s[6:7]
	v_mov_b32_e32 v28, v3
	v_mov_b32_e32 v20, v3
	;; [unrolled: 1-line block ×5, first 2 shown]
	v_lshl_add_u64 v[12:13], v[12:13], 0, s[14:15]
	s_waitcnt vmcnt(0)
	v_and_b32_e32 v2, 0x7fff, v18
	v_and_b32_e32 v25, 0x7fff, v19
	v_cmp_eq_u64_e32 vcc, 0, v[2:3]
	v_and_b32_e32 v29, 0x7fff0000, v19
	v_and_b32_e32 v2, 0x7fff0000, v18
	v_cndmask_b32_e64 v21, v16, 0, vcc
	v_cmp_eq_u64_e32 vcc, 0, v[24:25]
	v_add_f64 v[4:5], v[4:5], v[20:21]
	s_nop 0
	v_cndmask_b32_e64 v27, v16, 0, vcc
	v_cmp_eq_u64_e32 vcc, 0, v[28:29]
	v_add_f64 v[8:9], v[8:9], v[26:27]
	s_nop 0
	;; [unrolled: 4-line block ×3, first 2 shown]
	v_cndmask_b32_e64 v23, v16, 0, vcc
	v_add_f64 v[6:7], v[6:7], v[22:23]
	s_andn2_b64 exec, exec, s[6:7]
	s_cbranch_execnz .LBB116_17
; %bb.18:
	s_or_b64 exec, exec, s[6:7]
	v_mov_b64_e32 v[2:3], v[4:5]
	v_mov_b64_e32 v[4:5], v[6:7]
	;; [unrolled: 1-line block ×4, first 2 shown]
.LBB116_19:
	s_or_b64 exec, exec, s[12:13]
.LBB116_20:
	v_add_f64 v[2:3], v[2:3], 0
	v_add_f64 v[2:3], v[4:5], v[2:3]
	v_mbcnt_lo_u32_b32 v1, -1, 0
	v_add_f64 v[2:3], v[6:7], v[2:3]
	v_mbcnt_hi_u32_b32 v10, -1, v1
	v_mov_b32_e32 v1, 0x80
	v_add_f64 v[2:3], v[8:9], v[2:3]
	v_lshl_or_b32 v1, v10, 2, v1
	ds_bpermute_b32 v4, v1, v2
	ds_bpermute_b32 v5, v1, v3
	v_and_b32_e32 v12, 63, v10
	v_cmp_gt_u32_e32 vcc, 48, v12
	v_and_b32_e32 v11, 63, v0
	s_waitcnt lgkmcnt(0)
	v_add_f64 v[2:3], v[2:3], v[4:5]
	v_cndmask_b32_e64 v4, 0, 16, vcc
	v_add_lshl_u32 v6, v4, v10, 2
	ds_bpermute_b32 v4, v6, v2
	ds_bpermute_b32 v5, v6, v3
	v_cmp_gt_u32_e32 vcc, 56, v12
	s_barrier
	s_waitcnt lgkmcnt(0)
	v_add_f64 v[2:3], v[2:3], v[4:5]
	v_cndmask_b32_e64 v4, 0, 8, vcc
	v_add_lshl_u32 v7, v4, v10, 2
	ds_bpermute_b32 v4, v7, v2
	ds_bpermute_b32 v5, v7, v3
	v_cmp_gt_u32_e32 vcc, 60, v12
	s_waitcnt lgkmcnt(0)
	v_add_f64 v[2:3], v[2:3], v[4:5]
	v_cndmask_b32_e64 v4, 0, 4, vcc
	v_add_lshl_u32 v8, v4, v10, 2
	ds_bpermute_b32 v4, v8, v2
	ds_bpermute_b32 v5, v8, v3
	v_cmp_gt_u32_e32 vcc, 62, v12
	s_waitcnt lgkmcnt(0)
	v_add_f64 v[2:3], v[2:3], v[4:5]
	v_cndmask_b32_e64 v4, 0, 2, vcc
	v_add_lshl_u32 v9, v4, v10, 2
	ds_bpermute_b32 v4, v9, v2
	ds_bpermute_b32 v5, v9, v3
	v_cmp_ne_u32_e32 vcc, 63, v12
	s_waitcnt lgkmcnt(0)
	v_add_f64 v[2:3], v[2:3], v[4:5]
	v_addc_co_u32_e32 v4, vcc, 0, v10, vcc
	v_lshlrev_b32_e32 v10, 2, v4
	ds_bpermute_b32 v4, v10, v2
	ds_bpermute_b32 v5, v10, v3
	v_cmp_eq_u32_e32 vcc, 0, v11
	s_and_saveexec_b64 s[2:3], vcc
	s_cbranch_execz .LBB116_22
; %bb.21:
	v_lshrrev_b32_e32 v12, 3, v0
	s_waitcnt lgkmcnt(0)
	v_add_f64 v[2:3], v[2:3], v[4:5]
	ds_write_b64 v12, v[2:3]
.LBB116_22:
	s_or_b64 exec, exec, s[2:3]
	s_waitcnt lgkmcnt(0)
	s_barrier
	s_load_dword s2, s[0:1], 0xd4c
	v_mov_b64_e32 v[2:3], 0
	s_waitcnt lgkmcnt(0)
	s_bfe_u32 s2, s2, 0xa0006
	v_cmp_gt_u32_e32 vcc, s2, v0
	s_and_saveexec_b64 s[2:3], vcc
	s_cbranch_execnz .LBB116_26
; %bb.23:
	s_or_b64 exec, exec, s[2:3]
	v_cmp_gt_u32_e32 vcc, 64, v0
	s_and_saveexec_b64 s[2:3], vcc
	s_cbranch_execnz .LBB116_27
.LBB116_24:
	s_or_b64 exec, exec, s[2:3]
	v_cmp_eq_u32_e32 vcc, 0, v0
	s_and_saveexec_b64 s[2:3], vcc
	s_cbranch_execnz .LBB116_28
.LBB116_25:
	s_endpgm
.LBB116_26:
	v_lshlrev_b32_e32 v2, 3, v11
	ds_read_b64 v[2:3], v2
	s_or_b64 exec, exec, s[2:3]
	v_cmp_gt_u32_e32 vcc, 64, v0
	s_and_saveexec_b64 s[2:3], vcc
	s_cbranch_execz .LBB116_24
.LBB116_27:
	s_waitcnt lgkmcnt(0)
	ds_bpermute_b32 v4, v1, v2
	ds_bpermute_b32 v5, v1, v3
	s_waitcnt lgkmcnt(0)
	v_add_f64 v[2:3], v[2:3], v[4:5]
	ds_bpermute_b32 v4, v6, v2
	ds_bpermute_b32 v5, v6, v3
	s_waitcnt lgkmcnt(0)
	v_add_f64 v[2:3], v[2:3], v[4:5]
	;; [unrolled: 4-line block ×6, first 2 shown]
	s_or_b64 exec, exec, s[2:3]
	v_cmp_eq_u32_e32 vcc, 0, v0
	s_and_saveexec_b64 s[2:3], vcc
	s_cbranch_execz .LBB116_25
.LBB116_28:
	s_load_dword s5, s[0:1], 0xd20
	s_load_dword s6, s[0:1], 0xd38
	s_load_dwordx2 s[2:3], s[0:1], 0xd30
	v_mov_b32_e32 v0, 0
	s_waitcnt lgkmcnt(0)
	s_add_i32 s0, s5, s18
	s_mul_i32 s0, s0, s6
	s_add_i32 s0, s0, s4
	s_ashr_i32 s1, s0, 31
	s_lshl_b64 s[0:1], s[0:1], 3
	s_add_u32 s0, s2, s0
	s_addc_u32 s1, s3, s1
	global_store_dwordx2 v0, v[2:3], s[0:1]
	s_endpgm
	.section	.rodata,"a",@progbits
	.p2align	6, 0x0
	.amdhsa_kernel _ZN2at6native12_GLOBAL__N_125multi_tensor_apply_kernelINS1_18TensorListMetadataILi1EEENS0_13LpNormFunctorIN3c108BFloat16ELNS0_8NormTypeE0EdLi1ELi1ELi0EEEJPdiEEEvT_T0_DpT1_
		.amdhsa_group_segment_fixed_size 4096
		.amdhsa_private_segment_fixed_size 0
		.amdhsa_kernarg_size 3648
		.amdhsa_user_sgpr_count 2
		.amdhsa_user_sgpr_dispatch_ptr 0
		.amdhsa_user_sgpr_queue_ptr 0
		.amdhsa_user_sgpr_kernarg_segment_ptr 1
		.amdhsa_user_sgpr_dispatch_id 0
		.amdhsa_user_sgpr_kernarg_preload_length 0
		.amdhsa_user_sgpr_kernarg_preload_offset 0
		.amdhsa_user_sgpr_private_segment_size 0
		.amdhsa_uses_dynamic_stack 0
		.amdhsa_enable_private_segment 0
		.amdhsa_system_sgpr_workgroup_id_x 1
		.amdhsa_system_sgpr_workgroup_id_y 0
		.amdhsa_system_sgpr_workgroup_id_z 0
		.amdhsa_system_sgpr_workgroup_info 0
		.amdhsa_system_vgpr_workitem_id 0
		.amdhsa_next_free_vgpr 34
		.amdhsa_next_free_sgpr 22
		.amdhsa_accum_offset 36
		.amdhsa_reserve_vcc 1
		.amdhsa_float_round_mode_32 0
		.amdhsa_float_round_mode_16_64 0
		.amdhsa_float_denorm_mode_32 3
		.amdhsa_float_denorm_mode_16_64 3
		.amdhsa_dx10_clamp 1
		.amdhsa_ieee_mode 1
		.amdhsa_fp16_overflow 0
		.amdhsa_tg_split 0
		.amdhsa_exception_fp_ieee_invalid_op 0
		.amdhsa_exception_fp_denorm_src 0
		.amdhsa_exception_fp_ieee_div_zero 0
		.amdhsa_exception_fp_ieee_overflow 0
		.amdhsa_exception_fp_ieee_underflow 0
		.amdhsa_exception_fp_ieee_inexact 0
		.amdhsa_exception_int_div_zero 0
	.end_amdhsa_kernel
	.section	.text._ZN2at6native12_GLOBAL__N_125multi_tensor_apply_kernelINS1_18TensorListMetadataILi1EEENS0_13LpNormFunctorIN3c108BFloat16ELNS0_8NormTypeE0EdLi1ELi1ELi0EEEJPdiEEEvT_T0_DpT1_,"axG",@progbits,_ZN2at6native12_GLOBAL__N_125multi_tensor_apply_kernelINS1_18TensorListMetadataILi1EEENS0_13LpNormFunctorIN3c108BFloat16ELNS0_8NormTypeE0EdLi1ELi1ELi0EEEJPdiEEEvT_T0_DpT1_,comdat
.Lfunc_end116:
	.size	_ZN2at6native12_GLOBAL__N_125multi_tensor_apply_kernelINS1_18TensorListMetadataILi1EEENS0_13LpNormFunctorIN3c108BFloat16ELNS0_8NormTypeE0EdLi1ELi1ELi0EEEJPdiEEEvT_T0_DpT1_, .Lfunc_end116-_ZN2at6native12_GLOBAL__N_125multi_tensor_apply_kernelINS1_18TensorListMetadataILi1EEENS0_13LpNormFunctorIN3c108BFloat16ELNS0_8NormTypeE0EdLi1ELi1ELi0EEEJPdiEEEvT_T0_DpT1_
                                        ; -- End function
	.set _ZN2at6native12_GLOBAL__N_125multi_tensor_apply_kernelINS1_18TensorListMetadataILi1EEENS0_13LpNormFunctorIN3c108BFloat16ELNS0_8NormTypeE0EdLi1ELi1ELi0EEEJPdiEEEvT_T0_DpT1_.num_vgpr, 34
	.set _ZN2at6native12_GLOBAL__N_125multi_tensor_apply_kernelINS1_18TensorListMetadataILi1EEENS0_13LpNormFunctorIN3c108BFloat16ELNS0_8NormTypeE0EdLi1ELi1ELi0EEEJPdiEEEvT_T0_DpT1_.num_agpr, 0
	.set _ZN2at6native12_GLOBAL__N_125multi_tensor_apply_kernelINS1_18TensorListMetadataILi1EEENS0_13LpNormFunctorIN3c108BFloat16ELNS0_8NormTypeE0EdLi1ELi1ELi0EEEJPdiEEEvT_T0_DpT1_.numbered_sgpr, 22
	.set _ZN2at6native12_GLOBAL__N_125multi_tensor_apply_kernelINS1_18TensorListMetadataILi1EEENS0_13LpNormFunctorIN3c108BFloat16ELNS0_8NormTypeE0EdLi1ELi1ELi0EEEJPdiEEEvT_T0_DpT1_.num_named_barrier, 0
	.set _ZN2at6native12_GLOBAL__N_125multi_tensor_apply_kernelINS1_18TensorListMetadataILi1EEENS0_13LpNormFunctorIN3c108BFloat16ELNS0_8NormTypeE0EdLi1ELi1ELi0EEEJPdiEEEvT_T0_DpT1_.private_seg_size, 0
	.set _ZN2at6native12_GLOBAL__N_125multi_tensor_apply_kernelINS1_18TensorListMetadataILi1EEENS0_13LpNormFunctorIN3c108BFloat16ELNS0_8NormTypeE0EdLi1ELi1ELi0EEEJPdiEEEvT_T0_DpT1_.uses_vcc, 1
	.set _ZN2at6native12_GLOBAL__N_125multi_tensor_apply_kernelINS1_18TensorListMetadataILi1EEENS0_13LpNormFunctorIN3c108BFloat16ELNS0_8NormTypeE0EdLi1ELi1ELi0EEEJPdiEEEvT_T0_DpT1_.uses_flat_scratch, 0
	.set _ZN2at6native12_GLOBAL__N_125multi_tensor_apply_kernelINS1_18TensorListMetadataILi1EEENS0_13LpNormFunctorIN3c108BFloat16ELNS0_8NormTypeE0EdLi1ELi1ELi0EEEJPdiEEEvT_T0_DpT1_.has_dyn_sized_stack, 0
	.set _ZN2at6native12_GLOBAL__N_125multi_tensor_apply_kernelINS1_18TensorListMetadataILi1EEENS0_13LpNormFunctorIN3c108BFloat16ELNS0_8NormTypeE0EdLi1ELi1ELi0EEEJPdiEEEvT_T0_DpT1_.has_recursion, 0
	.set _ZN2at6native12_GLOBAL__N_125multi_tensor_apply_kernelINS1_18TensorListMetadataILi1EEENS0_13LpNormFunctorIN3c108BFloat16ELNS0_8NormTypeE0EdLi1ELi1ELi0EEEJPdiEEEvT_T0_DpT1_.has_indirect_call, 0
	.section	.AMDGPU.csdata,"",@progbits
; Kernel info:
; codeLenInByte = 1836
; TotalNumSgprs: 28
; NumVgprs: 34
; NumAgprs: 0
; TotalNumVgprs: 34
; ScratchSize: 0
; MemoryBound: 0
; FloatMode: 240
; IeeeMode: 1
; LDSByteSize: 4096 bytes/workgroup (compile time only)
; SGPRBlocks: 3
; VGPRBlocks: 4
; NumSGPRsForWavesPerEU: 28
; NumVGPRsForWavesPerEU: 34
; AccumOffset: 36
; Occupancy: 8
; WaveLimiterHint : 0
; COMPUTE_PGM_RSRC2:SCRATCH_EN: 0
; COMPUTE_PGM_RSRC2:USER_SGPR: 2
; COMPUTE_PGM_RSRC2:TRAP_HANDLER: 0
; COMPUTE_PGM_RSRC2:TGID_X_EN: 1
; COMPUTE_PGM_RSRC2:TGID_Y_EN: 0
; COMPUTE_PGM_RSRC2:TGID_Z_EN: 0
; COMPUTE_PGM_RSRC2:TIDIG_COMP_CNT: 0
; COMPUTE_PGM_RSRC3_GFX90A:ACCUM_OFFSET: 8
; COMPUTE_PGM_RSRC3_GFX90A:TG_SPLIT: 0
	.section	.text._ZN2at6native12_GLOBAL__N_125multi_tensor_apply_kernelINS1_18TensorListMetadataILi1EEENS0_13LpNormFunctorIN3c108BFloat16ELNS0_8NormTypeE1EdLi1ELi1ELi0EEEJPdiEEEvT_T0_DpT1_,"axG",@progbits,_ZN2at6native12_GLOBAL__N_125multi_tensor_apply_kernelINS1_18TensorListMetadataILi1EEENS0_13LpNormFunctorIN3c108BFloat16ELNS0_8NormTypeE1EdLi1ELi1ELi0EEEJPdiEEEvT_T0_DpT1_,comdat
	.globl	_ZN2at6native12_GLOBAL__N_125multi_tensor_apply_kernelINS1_18TensorListMetadataILi1EEENS0_13LpNormFunctorIN3c108BFloat16ELNS0_8NormTypeE1EdLi1ELi1ELi0EEEJPdiEEEvT_T0_DpT1_ ; -- Begin function _ZN2at6native12_GLOBAL__N_125multi_tensor_apply_kernelINS1_18TensorListMetadataILi1EEENS0_13LpNormFunctorIN3c108BFloat16ELNS0_8NormTypeE1EdLi1ELi1ELi0EEEJPdiEEEvT_T0_DpT1_
	.p2align	8
	.type	_ZN2at6native12_GLOBAL__N_125multi_tensor_apply_kernelINS1_18TensorListMetadataILi1EEENS0_13LpNormFunctorIN3c108BFloat16ELNS0_8NormTypeE1EdLi1ELi1ELi0EEEJPdiEEEvT_T0_DpT1_,@function
_ZN2at6native12_GLOBAL__N_125multi_tensor_apply_kernelINS1_18TensorListMetadataILi1EEENS0_13LpNormFunctorIN3c108BFloat16ELNS0_8NormTypeE1EdLi1ELi1ELi0EEEJPdiEEEvT_T0_DpT1_: ; @_ZN2at6native12_GLOBAL__N_125multi_tensor_apply_kernelINS1_18TensorListMetadataILi1EEENS0_13LpNormFunctorIN3c108BFloat16ELNS0_8NormTypeE1EdLi1ELi1ELi0EEEJPdiEEEvT_T0_DpT1_
; %bb.0:
	v_mov_b32_e32 v1, s2
	global_load_ubyte v1, v1, s[0:1] offset:1760
	s_add_u32 s3, s0, s2
	s_mul_hi_u32 s4, s2, 3
	s_mul_i32 s2, s2, 3
	s_addc_u32 s5, s1, 0
	s_add_u32 s2, s3, s2
	s_addc_u32 s3, s5, s4
	s_load_dword s4, s[2:3], 0x820
	s_mov_b32 s15, 0
	s_waitcnt vmcnt(0)
	v_readfirstlane_b32 s2, v1
	s_and_b32 s18, s2, 0xff
	s_lshl_b32 s5, s18, 3
	s_load_dwordx2 s[2:3], s[0:1], s5 offset:0x370
	s_load_dwordx2 s[6:7], s[0:1], s5 offset:0x0
	s_waitcnt lgkmcnt(0)
	s_ashr_i32 s5, s4, 31
	s_lshl_b64 s[10:11], s[4:5], 16
	s_lshl_b64 s[8:9], s[4:5], 17
	s_add_u32 s12, s6, s8
	s_addc_u32 s13, s7, s9
	s_sub_u32 s10, s2, s10
	s_subb_u32 s11, s3, s11
	s_and_b32 s14, s2, 3
	s_and_b32 s2, s12, 7
	s_mov_b32 s3, s15
	s_or_b64 s[2:3], s[14:15], s[2:3]
	s_cmp_eq_u64 s[2:3], 0
	s_cbranch_scc1 .LBB117_12
; %bb.1:
	v_cmp_lt_i64_e64 s[2:3], s[10:11], 1
	s_and_b64 vcc, exec, s[2:3]
	s_cbranch_vccnz .LBB117_13
; %bb.2:
	v_mov_b64_e32 v[2:3], 0x10000
	v_cmp_lt_i64_e32 vcc, s[10:11], v[2:3]
	s_and_b64 s[2:3], vcc, exec
	s_load_dword s2, s[0:1], 0xd4c
	v_mov_b32_e32 v11, 0
	v_mov_b32_e32 v10, v11
	s_cselect_b32 s15, s11, 0
	s_cselect_b32 s14, s10, 0x10000
	s_waitcnt lgkmcnt(0)
	s_and_b32 s16, s2, 0xffff
	v_mov_b32_e32 v12, v11
	v_mov_b32_e32 v13, v11
	;; [unrolled: 1-line block ×6, first 2 shown]
	v_mov_b64_e32 v[2:3], v[10:11]
	s_mov_b32 s5, 0x10000
	s_lshl_b32 s19, s16, 2
	v_lshl_add_u32 v18, s16, 1, v0
	v_mad_u64_u32 v[20:21], s[2:3], s16, 3, v[0:1]
	v_add_u32_e32 v22, s16, v0
	s_mov_b64 s[16:17], 0
	v_mov_b64_e32 v[4:5], v[12:13]
	v_mov_b64_e32 v[6:7], v[14:15]
	;; [unrolled: 1-line block ×3, first 2 shown]
	s_branch .LBB117_4
.LBB117_3:                              ;   in Loop: Header=BB117_4 Depth=1
	s_or_b64 exec, exec, s[2:3]
	s_add_u32 s16, s16, s19
	s_addc_u32 s17, s17, 0
	v_mov_b64_e32 v[12:13], s[14:15]
	v_cmp_lt_i64_e32 vcc, s[16:17], v[12:13]
	s_cbranch_vccz .LBB117_14
.LBB117_4:                              ; =>This Inner Loop Header: Depth=1
	v_add_u32_e32 v10, s16, v0
	v_cmp_gt_i64_e32 vcc, s[10:11], v[10:11]
	v_cmp_gt_u32_e64 s[2:3], s5, v10
	s_and_b64 s[20:21], s[2:3], vcc
	s_and_saveexec_b64 s[2:3], s[20:21]
	s_cbranch_execz .LBB117_6
; %bb.5:                                ;   in Loop: Header=BB117_4 Depth=1
	v_lshl_add_u64 v[12:13], v[10:11], 1, s[12:13]
	global_load_ushort v1, v[12:13], off
	s_waitcnt vmcnt(0)
	v_lshlrev_b32_e32 v1, 16, v1
	v_cvt_f64_f32_e64 v[12:13], |v1|
	v_add_f64 v[2:3], v[2:3], v[12:13]
.LBB117_6:                              ;   in Loop: Header=BB117_4 Depth=1
	s_or_b64 exec, exec, s[2:3]
	v_add_u32_e32 v10, s16, v22
	v_cmp_gt_i64_e32 vcc, s[10:11], v[10:11]
	v_cmp_gt_u32_e64 s[2:3], s5, v10
	s_and_b64 s[20:21], s[2:3], vcc
	s_and_saveexec_b64 s[2:3], s[20:21]
	s_cbranch_execz .LBB117_8
; %bb.7:                                ;   in Loop: Header=BB117_4 Depth=1
	v_lshl_add_u64 v[12:13], v[10:11], 1, s[12:13]
	global_load_ushort v1, v[12:13], off
	s_waitcnt vmcnt(0)
	v_lshlrev_b32_e32 v1, 16, v1
	v_cvt_f64_f32_e64 v[12:13], |v1|
	v_add_f64 v[4:5], v[4:5], v[12:13]
.LBB117_8:                              ;   in Loop: Header=BB117_4 Depth=1
	s_or_b64 exec, exec, s[2:3]
	v_add_u32_e32 v10, s16, v18
	v_cmp_gt_i64_e32 vcc, s[10:11], v[10:11]
	v_cmp_gt_u32_e64 s[2:3], s5, v10
	s_and_b64 s[20:21], s[2:3], vcc
	s_and_saveexec_b64 s[2:3], s[20:21]
	s_cbranch_execz .LBB117_10
; %bb.9:                                ;   in Loop: Header=BB117_4 Depth=1
	v_lshl_add_u64 v[12:13], v[10:11], 1, s[12:13]
	global_load_ushort v1, v[12:13], off
	s_waitcnt vmcnt(0)
	v_lshlrev_b32_e32 v1, 16, v1
	v_cvt_f64_f32_e64 v[12:13], |v1|
	v_add_f64 v[6:7], v[6:7], v[12:13]
.LBB117_10:                             ;   in Loop: Header=BB117_4 Depth=1
	s_or_b64 exec, exec, s[2:3]
	v_add_u32_e32 v10, s16, v20
	v_cmp_gt_i64_e32 vcc, s[10:11], v[10:11]
	v_cmp_gt_u32_e64 s[2:3], s5, v10
	s_and_b64 s[20:21], s[2:3], vcc
	s_and_saveexec_b64 s[2:3], s[20:21]
	s_cbranch_execz .LBB117_3
; %bb.11:                               ;   in Loop: Header=BB117_4 Depth=1
	v_lshl_add_u64 v[12:13], v[10:11], 1, s[12:13]
	global_load_ushort v1, v[12:13], off
	s_waitcnt vmcnt(0)
	v_lshlrev_b32_e32 v1, 16, v1
	v_cvt_f64_f32_e64 v[12:13], |v1|
	v_add_f64 v[8:9], v[8:9], v[12:13]
	s_branch .LBB117_3
.LBB117_12:
                                        ; implicit-def: $vgpr2_vgpr3_vgpr4_vgpr5_vgpr6_vgpr7_vgpr8_vgpr9
	s_branch .LBB117_15
.LBB117_13:
	v_mov_b32_e32 v2, 0
	v_mov_b32_e32 v3, v2
	;; [unrolled: 1-line block ×8, first 2 shown]
.LBB117_14:
	s_cbranch_execnz .LBB117_20
.LBB117_15:
	v_mov_b64_e32 v[4:5], 0x10000
	v_cmp_lt_i64_e32 vcc, s[10:11], v[4:5]
	s_and_b64 s[12:13], vcc, exec
	v_mov_b32_e32 v3, 0
	s_cselect_b32 s11, s11, 0
	s_cselect_b32 s10, s10, 0x10000
	v_lshlrev_b32_e32 v2, 2, v0
	s_mov_b32 s3, 0
	v_cmp_gt_i64_e32 vcc, s[10:11], v[2:3]
	v_mov_b32_e32 v2, v3
	v_mov_b32_e32 v4, v3
	;; [unrolled: 1-line block ×7, first 2 shown]
	s_and_saveexec_b64 s[12:13], vcc
	s_cbranch_execz .LBB117_19
; %bb.16:
	s_load_dword s2, s[0:1], 0xd4c
	v_mov_b32_e32 v1, v3
	v_lshlrev_b32_e32 v2, 3, v0
	s_mov_b32 s15, s3
	v_mov_b64_e32 v[12:13], v[0:1]
	s_waitcnt lgkmcnt(0)
	s_and_b32 s2, s2, 0xffff
	s_add_u32 s6, s6, s8
	s_addc_u32 s7, s7, s9
	s_lshl_b32 s14, s2, 3
	v_lshl_add_u64 v[10:11], s[6:7], 0, v[2:3]
	v_mov_b64_e32 v[2:3], 0
	s_mov_b64 s[6:7], 0
	v_mov_b64_e32 v[4:5], 0
	v_mov_b64_e32 v[6:7], 0
	v_mov_b64_e32 v[8:9], 0
.LBB117_17:                             ; =>This Inner Loop Header: Depth=1
	global_load_dwordx2 v[14:15], v[10:11], off
	v_lshl_add_u64 v[12:13], v[12:13], 0, s[2:3]
	v_lshlrev_b64 v[16:17], 2, v[12:13]
	v_cmp_le_i64_e32 vcc, s[10:11], v[16:17]
	v_lshl_add_u64 v[10:11], v[10:11], 0, s[14:15]
	s_or_b64 s[6:7], vcc, s[6:7]
	s_waitcnt vmcnt(0)
	v_and_b32_e32 v1, 0xffff0000, v14
	v_lshlrev_b32_e32 v16, 16, v14
	v_alignbit_b32 v18, v15, v14, 16
	v_and_b32_e32 v19, 0xffff0000, v15
	v_cvt_f64_f32_e64 v[14:15], |v16|
	v_cvt_f64_f32_e64 v[16:17], |v1|
	v_and_b32_e32 v1, 0xffff0000, v18
	v_cvt_f64_f32_e64 v[18:19], |v19|
	v_add_f64 v[2:3], v[2:3], v[14:15]
	v_cvt_f64_f32_e64 v[14:15], |v1|
	v_add_f64 v[4:5], v[4:5], v[16:17]
	v_add_f64 v[8:9], v[8:9], v[18:19]
	;; [unrolled: 1-line block ×3, first 2 shown]
	s_andn2_b64 exec, exec, s[6:7]
	s_cbranch_execnz .LBB117_17
; %bb.18:
	s_or_b64 exec, exec, s[6:7]
.LBB117_19:
	s_or_b64 exec, exec, s[12:13]
.LBB117_20:
	v_add_f64 v[2:3], v[2:3], 0
	v_add_f64 v[2:3], v[4:5], v[2:3]
	v_mbcnt_lo_u32_b32 v1, -1, 0
	v_add_f64 v[2:3], v[6:7], v[2:3]
	v_mbcnt_hi_u32_b32 v10, -1, v1
	v_mov_b32_e32 v1, 0x80
	v_add_f64 v[2:3], v[8:9], v[2:3]
	v_lshl_or_b32 v1, v10, 2, v1
	ds_bpermute_b32 v4, v1, v2
	ds_bpermute_b32 v5, v1, v3
	v_and_b32_e32 v12, 63, v10
	v_cmp_gt_u32_e32 vcc, 48, v12
	v_and_b32_e32 v11, 63, v0
	s_waitcnt lgkmcnt(0)
	v_add_f64 v[2:3], v[2:3], v[4:5]
	v_cndmask_b32_e64 v4, 0, 16, vcc
	v_add_lshl_u32 v6, v4, v10, 2
	ds_bpermute_b32 v4, v6, v2
	ds_bpermute_b32 v5, v6, v3
	v_cmp_gt_u32_e32 vcc, 56, v12
	s_barrier
	s_waitcnt lgkmcnt(0)
	v_add_f64 v[2:3], v[2:3], v[4:5]
	v_cndmask_b32_e64 v4, 0, 8, vcc
	v_add_lshl_u32 v7, v4, v10, 2
	ds_bpermute_b32 v4, v7, v2
	ds_bpermute_b32 v5, v7, v3
	v_cmp_gt_u32_e32 vcc, 60, v12
	s_waitcnt lgkmcnt(0)
	v_add_f64 v[2:3], v[2:3], v[4:5]
	v_cndmask_b32_e64 v4, 0, 4, vcc
	v_add_lshl_u32 v8, v4, v10, 2
	ds_bpermute_b32 v4, v8, v2
	ds_bpermute_b32 v5, v8, v3
	v_cmp_gt_u32_e32 vcc, 62, v12
	s_waitcnt lgkmcnt(0)
	v_add_f64 v[2:3], v[2:3], v[4:5]
	v_cndmask_b32_e64 v4, 0, 2, vcc
	v_add_lshl_u32 v9, v4, v10, 2
	ds_bpermute_b32 v4, v9, v2
	ds_bpermute_b32 v5, v9, v3
	v_cmp_ne_u32_e32 vcc, 63, v12
	s_waitcnt lgkmcnt(0)
	v_add_f64 v[2:3], v[2:3], v[4:5]
	v_addc_co_u32_e32 v4, vcc, 0, v10, vcc
	v_lshlrev_b32_e32 v10, 2, v4
	ds_bpermute_b32 v4, v10, v2
	ds_bpermute_b32 v5, v10, v3
	v_cmp_eq_u32_e32 vcc, 0, v11
	s_and_saveexec_b64 s[2:3], vcc
	s_cbranch_execz .LBB117_22
; %bb.21:
	v_lshrrev_b32_e32 v12, 3, v0
	s_waitcnt lgkmcnt(0)
	v_add_f64 v[2:3], v[2:3], v[4:5]
	ds_write_b64 v12, v[2:3]
.LBB117_22:
	s_or_b64 exec, exec, s[2:3]
	s_waitcnt lgkmcnt(0)
	s_barrier
	s_load_dword s2, s[0:1], 0xd4c
	v_mov_b64_e32 v[2:3], 0
	s_waitcnt lgkmcnt(0)
	s_bfe_u32 s2, s2, 0xa0006
	v_cmp_gt_u32_e32 vcc, s2, v0
	s_and_saveexec_b64 s[2:3], vcc
	s_cbranch_execnz .LBB117_26
; %bb.23:
	s_or_b64 exec, exec, s[2:3]
	v_cmp_gt_u32_e32 vcc, 64, v0
	s_and_saveexec_b64 s[2:3], vcc
	s_cbranch_execnz .LBB117_27
.LBB117_24:
	s_or_b64 exec, exec, s[2:3]
	v_cmp_eq_u32_e32 vcc, 0, v0
	s_and_saveexec_b64 s[2:3], vcc
	s_cbranch_execnz .LBB117_28
.LBB117_25:
	s_endpgm
.LBB117_26:
	v_lshlrev_b32_e32 v2, 3, v11
	ds_read_b64 v[2:3], v2
	s_or_b64 exec, exec, s[2:3]
	v_cmp_gt_u32_e32 vcc, 64, v0
	s_and_saveexec_b64 s[2:3], vcc
	s_cbranch_execz .LBB117_24
.LBB117_27:
	s_waitcnt lgkmcnt(0)
	ds_bpermute_b32 v4, v1, v2
	ds_bpermute_b32 v5, v1, v3
	s_waitcnt lgkmcnt(0)
	v_add_f64 v[2:3], v[2:3], v[4:5]
	ds_bpermute_b32 v4, v6, v2
	ds_bpermute_b32 v5, v6, v3
	s_waitcnt lgkmcnt(0)
	v_add_f64 v[2:3], v[2:3], v[4:5]
	;; [unrolled: 4-line block ×6, first 2 shown]
	s_or_b64 exec, exec, s[2:3]
	v_cmp_eq_u32_e32 vcc, 0, v0
	s_and_saveexec_b64 s[2:3], vcc
	s_cbranch_execz .LBB117_25
.LBB117_28:
	s_load_dword s5, s[0:1], 0xd20
	s_load_dword s6, s[0:1], 0xd38
	s_load_dwordx2 s[2:3], s[0:1], 0xd30
	v_mov_b32_e32 v0, 0
	s_waitcnt lgkmcnt(0)
	s_add_i32 s0, s5, s18
	s_mul_i32 s0, s0, s6
	s_add_i32 s0, s0, s4
	s_ashr_i32 s1, s0, 31
	s_lshl_b64 s[0:1], s[0:1], 3
	s_add_u32 s0, s2, s0
	s_addc_u32 s1, s3, s1
	global_store_dwordx2 v0, v[2:3], s[0:1]
	s_endpgm
	.section	.rodata,"a",@progbits
	.p2align	6, 0x0
	.amdhsa_kernel _ZN2at6native12_GLOBAL__N_125multi_tensor_apply_kernelINS1_18TensorListMetadataILi1EEENS0_13LpNormFunctorIN3c108BFloat16ELNS0_8NormTypeE1EdLi1ELi1ELi0EEEJPdiEEEvT_T0_DpT1_
		.amdhsa_group_segment_fixed_size 4096
		.amdhsa_private_segment_fixed_size 0
		.amdhsa_kernarg_size 3648
		.amdhsa_user_sgpr_count 2
		.amdhsa_user_sgpr_dispatch_ptr 0
		.amdhsa_user_sgpr_queue_ptr 0
		.amdhsa_user_sgpr_kernarg_segment_ptr 1
		.amdhsa_user_sgpr_dispatch_id 0
		.amdhsa_user_sgpr_kernarg_preload_length 0
		.amdhsa_user_sgpr_kernarg_preload_offset 0
		.amdhsa_user_sgpr_private_segment_size 0
		.amdhsa_uses_dynamic_stack 0
		.amdhsa_enable_private_segment 0
		.amdhsa_system_sgpr_workgroup_id_x 1
		.amdhsa_system_sgpr_workgroup_id_y 0
		.amdhsa_system_sgpr_workgroup_id_z 0
		.amdhsa_system_sgpr_workgroup_info 0
		.amdhsa_system_vgpr_workitem_id 0
		.amdhsa_next_free_vgpr 23
		.amdhsa_next_free_sgpr 22
		.amdhsa_accum_offset 24
		.amdhsa_reserve_vcc 1
		.amdhsa_float_round_mode_32 0
		.amdhsa_float_round_mode_16_64 0
		.amdhsa_float_denorm_mode_32 3
		.amdhsa_float_denorm_mode_16_64 3
		.amdhsa_dx10_clamp 1
		.amdhsa_ieee_mode 1
		.amdhsa_fp16_overflow 0
		.amdhsa_tg_split 0
		.amdhsa_exception_fp_ieee_invalid_op 0
		.amdhsa_exception_fp_denorm_src 0
		.amdhsa_exception_fp_ieee_div_zero 0
		.amdhsa_exception_fp_ieee_overflow 0
		.amdhsa_exception_fp_ieee_underflow 0
		.amdhsa_exception_fp_ieee_inexact 0
		.amdhsa_exception_int_div_zero 0
	.end_amdhsa_kernel
	.section	.text._ZN2at6native12_GLOBAL__N_125multi_tensor_apply_kernelINS1_18TensorListMetadataILi1EEENS0_13LpNormFunctorIN3c108BFloat16ELNS0_8NormTypeE1EdLi1ELi1ELi0EEEJPdiEEEvT_T0_DpT1_,"axG",@progbits,_ZN2at6native12_GLOBAL__N_125multi_tensor_apply_kernelINS1_18TensorListMetadataILi1EEENS0_13LpNormFunctorIN3c108BFloat16ELNS0_8NormTypeE1EdLi1ELi1ELi0EEEJPdiEEEvT_T0_DpT1_,comdat
.Lfunc_end117:
	.size	_ZN2at6native12_GLOBAL__N_125multi_tensor_apply_kernelINS1_18TensorListMetadataILi1EEENS0_13LpNormFunctorIN3c108BFloat16ELNS0_8NormTypeE1EdLi1ELi1ELi0EEEJPdiEEEvT_T0_DpT1_, .Lfunc_end117-_ZN2at6native12_GLOBAL__N_125multi_tensor_apply_kernelINS1_18TensorListMetadataILi1EEENS0_13LpNormFunctorIN3c108BFloat16ELNS0_8NormTypeE1EdLi1ELi1ELi0EEEJPdiEEEvT_T0_DpT1_
                                        ; -- End function
	.set _ZN2at6native12_GLOBAL__N_125multi_tensor_apply_kernelINS1_18TensorListMetadataILi1EEENS0_13LpNormFunctorIN3c108BFloat16ELNS0_8NormTypeE1EdLi1ELi1ELi0EEEJPdiEEEvT_T0_DpT1_.num_vgpr, 23
	.set _ZN2at6native12_GLOBAL__N_125multi_tensor_apply_kernelINS1_18TensorListMetadataILi1EEENS0_13LpNormFunctorIN3c108BFloat16ELNS0_8NormTypeE1EdLi1ELi1ELi0EEEJPdiEEEvT_T0_DpT1_.num_agpr, 0
	.set _ZN2at6native12_GLOBAL__N_125multi_tensor_apply_kernelINS1_18TensorListMetadataILi1EEENS0_13LpNormFunctorIN3c108BFloat16ELNS0_8NormTypeE1EdLi1ELi1ELi0EEEJPdiEEEvT_T0_DpT1_.numbered_sgpr, 22
	.set _ZN2at6native12_GLOBAL__N_125multi_tensor_apply_kernelINS1_18TensorListMetadataILi1EEENS0_13LpNormFunctorIN3c108BFloat16ELNS0_8NormTypeE1EdLi1ELi1ELi0EEEJPdiEEEvT_T0_DpT1_.num_named_barrier, 0
	.set _ZN2at6native12_GLOBAL__N_125multi_tensor_apply_kernelINS1_18TensorListMetadataILi1EEENS0_13LpNormFunctorIN3c108BFloat16ELNS0_8NormTypeE1EdLi1ELi1ELi0EEEJPdiEEEvT_T0_DpT1_.private_seg_size, 0
	.set _ZN2at6native12_GLOBAL__N_125multi_tensor_apply_kernelINS1_18TensorListMetadataILi1EEENS0_13LpNormFunctorIN3c108BFloat16ELNS0_8NormTypeE1EdLi1ELi1ELi0EEEJPdiEEEvT_T0_DpT1_.uses_vcc, 1
	.set _ZN2at6native12_GLOBAL__N_125multi_tensor_apply_kernelINS1_18TensorListMetadataILi1EEENS0_13LpNormFunctorIN3c108BFloat16ELNS0_8NormTypeE1EdLi1ELi1ELi0EEEJPdiEEEvT_T0_DpT1_.uses_flat_scratch, 0
	.set _ZN2at6native12_GLOBAL__N_125multi_tensor_apply_kernelINS1_18TensorListMetadataILi1EEENS0_13LpNormFunctorIN3c108BFloat16ELNS0_8NormTypeE1EdLi1ELi1ELi0EEEJPdiEEEvT_T0_DpT1_.has_dyn_sized_stack, 0
	.set _ZN2at6native12_GLOBAL__N_125multi_tensor_apply_kernelINS1_18TensorListMetadataILi1EEENS0_13LpNormFunctorIN3c108BFloat16ELNS0_8NormTypeE1EdLi1ELi1ELi0EEEJPdiEEEvT_T0_DpT1_.has_recursion, 0
	.set _ZN2at6native12_GLOBAL__N_125multi_tensor_apply_kernelINS1_18TensorListMetadataILi1EEENS0_13LpNormFunctorIN3c108BFloat16ELNS0_8NormTypeE1EdLi1ELi1ELi0EEEJPdiEEEvT_T0_DpT1_.has_indirect_call, 0
	.section	.AMDGPU.csdata,"",@progbits
; Kernel info:
; codeLenInByte = 1692
; TotalNumSgprs: 28
; NumVgprs: 23
; NumAgprs: 0
; TotalNumVgprs: 23
; ScratchSize: 0
; MemoryBound: 0
; FloatMode: 240
; IeeeMode: 1
; LDSByteSize: 4096 bytes/workgroup (compile time only)
; SGPRBlocks: 3
; VGPRBlocks: 2
; NumSGPRsForWavesPerEU: 28
; NumVGPRsForWavesPerEU: 23
; AccumOffset: 24
; Occupancy: 8
; WaveLimiterHint : 0
; COMPUTE_PGM_RSRC2:SCRATCH_EN: 0
; COMPUTE_PGM_RSRC2:USER_SGPR: 2
; COMPUTE_PGM_RSRC2:TRAP_HANDLER: 0
; COMPUTE_PGM_RSRC2:TGID_X_EN: 1
; COMPUTE_PGM_RSRC2:TGID_Y_EN: 0
; COMPUTE_PGM_RSRC2:TGID_Z_EN: 0
; COMPUTE_PGM_RSRC2:TIDIG_COMP_CNT: 0
; COMPUTE_PGM_RSRC3_GFX90A:ACCUM_OFFSET: 5
; COMPUTE_PGM_RSRC3_GFX90A:TG_SPLIT: 0
	.section	.text._ZN2at6native12_GLOBAL__N_125multi_tensor_apply_kernelINS1_18TensorListMetadataILi1EEENS0_13LpNormFunctorIN3c108BFloat16ELNS0_8NormTypeE2EdLi1ELi1ELi0EEEJPdiEEEvT_T0_DpT1_,"axG",@progbits,_ZN2at6native12_GLOBAL__N_125multi_tensor_apply_kernelINS1_18TensorListMetadataILi1EEENS0_13LpNormFunctorIN3c108BFloat16ELNS0_8NormTypeE2EdLi1ELi1ELi0EEEJPdiEEEvT_T0_DpT1_,comdat
	.globl	_ZN2at6native12_GLOBAL__N_125multi_tensor_apply_kernelINS1_18TensorListMetadataILi1EEENS0_13LpNormFunctorIN3c108BFloat16ELNS0_8NormTypeE2EdLi1ELi1ELi0EEEJPdiEEEvT_T0_DpT1_ ; -- Begin function _ZN2at6native12_GLOBAL__N_125multi_tensor_apply_kernelINS1_18TensorListMetadataILi1EEENS0_13LpNormFunctorIN3c108BFloat16ELNS0_8NormTypeE2EdLi1ELi1ELi0EEEJPdiEEEvT_T0_DpT1_
	.p2align	8
	.type	_ZN2at6native12_GLOBAL__N_125multi_tensor_apply_kernelINS1_18TensorListMetadataILi1EEENS0_13LpNormFunctorIN3c108BFloat16ELNS0_8NormTypeE2EdLi1ELi1ELi0EEEJPdiEEEvT_T0_DpT1_,@function
_ZN2at6native12_GLOBAL__N_125multi_tensor_apply_kernelINS1_18TensorListMetadataILi1EEENS0_13LpNormFunctorIN3c108BFloat16ELNS0_8NormTypeE2EdLi1ELi1ELi0EEEJPdiEEEvT_T0_DpT1_: ; @_ZN2at6native12_GLOBAL__N_125multi_tensor_apply_kernelINS1_18TensorListMetadataILi1EEENS0_13LpNormFunctorIN3c108BFloat16ELNS0_8NormTypeE2EdLi1ELi1ELi0EEEJPdiEEEvT_T0_DpT1_
; %bb.0:
	v_mov_b32_e32 v1, s2
	global_load_ubyte v1, v1, s[0:1] offset:1760
	s_add_u32 s3, s0, s2
	s_mul_hi_u32 s4, s2, 3
	s_mul_i32 s2, s2, 3
	s_addc_u32 s5, s1, 0
	s_add_u32 s2, s3, s2
	s_addc_u32 s3, s5, s4
	s_load_dword s4, s[2:3], 0x820
	s_mov_b32 s15, 0
	s_waitcnt vmcnt(0)
	v_readfirstlane_b32 s2, v1
	s_and_b32 s18, s2, 0xff
	s_lshl_b32 s5, s18, 3
	s_load_dwordx2 s[2:3], s[0:1], s5 offset:0x370
	s_load_dwordx2 s[6:7], s[0:1], s5 offset:0x0
	s_waitcnt lgkmcnt(0)
	s_ashr_i32 s5, s4, 31
	s_lshl_b64 s[10:11], s[4:5], 16
	s_lshl_b64 s[8:9], s[4:5], 17
	s_add_u32 s12, s6, s8
	s_addc_u32 s13, s7, s9
	s_sub_u32 s10, s2, s10
	s_subb_u32 s11, s3, s11
	s_and_b32 s14, s2, 3
	s_and_b32 s2, s12, 7
	s_mov_b32 s3, s15
	s_or_b64 s[2:3], s[14:15], s[2:3]
	s_cmp_eq_u64 s[2:3], 0
	s_cbranch_scc1 .LBB118_12
; %bb.1:
	v_cmp_lt_i64_e64 s[2:3], s[10:11], 1
	s_and_b64 vcc, exec, s[2:3]
	s_cbranch_vccnz .LBB118_13
; %bb.2:
	v_mov_b64_e32 v[2:3], 0x10000
	v_cmp_lt_i64_e32 vcc, s[10:11], v[2:3]
	s_and_b64 s[2:3], vcc, exec
	s_load_dword s2, s[0:1], 0xd4c
	v_mov_b32_e32 v11, 0
	v_mov_b32_e32 v10, v11
	s_cselect_b32 s15, s11, 0
	s_cselect_b32 s14, s10, 0x10000
	s_waitcnt lgkmcnt(0)
	s_and_b32 s16, s2, 0xffff
	v_mov_b32_e32 v12, v11
	v_mov_b32_e32 v13, v11
	;; [unrolled: 1-line block ×6, first 2 shown]
	v_mov_b64_e32 v[2:3], v[10:11]
	s_mov_b32 s5, 0x10000
	s_lshl_b32 s19, s16, 2
	v_lshl_add_u32 v18, s16, 1, v0
	v_mad_u64_u32 v[20:21], s[2:3], s16, 3, v[0:1]
	v_add_u32_e32 v22, s16, v0
	s_mov_b64 s[16:17], 0
	v_mov_b64_e32 v[4:5], v[12:13]
	v_mov_b64_e32 v[6:7], v[14:15]
	;; [unrolled: 1-line block ×3, first 2 shown]
	s_branch .LBB118_4
.LBB118_3:                              ;   in Loop: Header=BB118_4 Depth=1
	s_or_b64 exec, exec, s[2:3]
	s_add_u32 s16, s16, s19
	s_addc_u32 s17, s17, 0
	v_mov_b64_e32 v[12:13], s[14:15]
	v_cmp_lt_i64_e32 vcc, s[16:17], v[12:13]
	s_cbranch_vccz .LBB118_14
.LBB118_4:                              ; =>This Inner Loop Header: Depth=1
	v_add_u32_e32 v10, s16, v0
	v_cmp_gt_i64_e32 vcc, s[10:11], v[10:11]
	v_cmp_gt_u32_e64 s[2:3], s5, v10
	s_and_b64 s[20:21], s[2:3], vcc
	s_and_saveexec_b64 s[2:3], s[20:21]
	s_cbranch_execz .LBB118_6
; %bb.5:                                ;   in Loop: Header=BB118_4 Depth=1
	v_lshl_add_u64 v[12:13], v[10:11], 1, s[12:13]
	global_load_ushort v1, v[12:13], off
	s_waitcnt vmcnt(0)
	v_lshlrev_b32_e32 v1, 16, v1
	v_cvt_f64_f32_e32 v[12:13], v1
	v_fmac_f64_e32 v[2:3], v[12:13], v[12:13]
.LBB118_6:                              ;   in Loop: Header=BB118_4 Depth=1
	s_or_b64 exec, exec, s[2:3]
	v_add_u32_e32 v10, s16, v22
	v_cmp_gt_i64_e32 vcc, s[10:11], v[10:11]
	v_cmp_gt_u32_e64 s[2:3], s5, v10
	s_and_b64 s[20:21], s[2:3], vcc
	s_and_saveexec_b64 s[2:3], s[20:21]
	s_cbranch_execz .LBB118_8
; %bb.7:                                ;   in Loop: Header=BB118_4 Depth=1
	v_lshl_add_u64 v[12:13], v[10:11], 1, s[12:13]
	global_load_ushort v1, v[12:13], off
	s_waitcnt vmcnt(0)
	v_lshlrev_b32_e32 v1, 16, v1
	v_cvt_f64_f32_e32 v[12:13], v1
	v_fmac_f64_e32 v[4:5], v[12:13], v[12:13]
.LBB118_8:                              ;   in Loop: Header=BB118_4 Depth=1
	s_or_b64 exec, exec, s[2:3]
	v_add_u32_e32 v10, s16, v18
	v_cmp_gt_i64_e32 vcc, s[10:11], v[10:11]
	v_cmp_gt_u32_e64 s[2:3], s5, v10
	s_and_b64 s[20:21], s[2:3], vcc
	s_and_saveexec_b64 s[2:3], s[20:21]
	s_cbranch_execz .LBB118_10
; %bb.9:                                ;   in Loop: Header=BB118_4 Depth=1
	v_lshl_add_u64 v[12:13], v[10:11], 1, s[12:13]
	global_load_ushort v1, v[12:13], off
	s_waitcnt vmcnt(0)
	v_lshlrev_b32_e32 v1, 16, v1
	v_cvt_f64_f32_e32 v[12:13], v1
	v_fmac_f64_e32 v[6:7], v[12:13], v[12:13]
.LBB118_10:                             ;   in Loop: Header=BB118_4 Depth=1
	s_or_b64 exec, exec, s[2:3]
	v_add_u32_e32 v10, s16, v20
	v_cmp_gt_i64_e32 vcc, s[10:11], v[10:11]
	v_cmp_gt_u32_e64 s[2:3], s5, v10
	s_and_b64 s[20:21], s[2:3], vcc
	s_and_saveexec_b64 s[2:3], s[20:21]
	s_cbranch_execz .LBB118_3
; %bb.11:                               ;   in Loop: Header=BB118_4 Depth=1
	v_lshl_add_u64 v[12:13], v[10:11], 1, s[12:13]
	global_load_ushort v1, v[12:13], off
	s_waitcnt vmcnt(0)
	v_lshlrev_b32_e32 v1, 16, v1
	v_cvt_f64_f32_e32 v[12:13], v1
	v_fmac_f64_e32 v[8:9], v[12:13], v[12:13]
	s_branch .LBB118_3
.LBB118_12:
                                        ; implicit-def: $vgpr2_vgpr3_vgpr4_vgpr5_vgpr6_vgpr7_vgpr8_vgpr9
	s_branch .LBB118_15
.LBB118_13:
	v_mov_b32_e32 v2, 0
	v_mov_b32_e32 v3, v2
	;; [unrolled: 1-line block ×8, first 2 shown]
.LBB118_14:
	s_cbranch_execnz .LBB118_20
.LBB118_15:
	v_mov_b64_e32 v[4:5], 0x10000
	v_cmp_lt_i64_e32 vcc, s[10:11], v[4:5]
	s_and_b64 s[12:13], vcc, exec
	v_mov_b32_e32 v3, 0
	s_cselect_b32 s11, s11, 0
	s_cselect_b32 s10, s10, 0x10000
	v_lshlrev_b32_e32 v2, 2, v0
	s_mov_b32 s3, 0
	v_cmp_gt_i64_e32 vcc, s[10:11], v[2:3]
	v_mov_b32_e32 v2, v3
	v_mov_b32_e32 v4, v3
	;; [unrolled: 1-line block ×7, first 2 shown]
	s_and_saveexec_b64 s[12:13], vcc
	s_cbranch_execz .LBB118_19
; %bb.16:
	s_load_dword s2, s[0:1], 0xd4c
	v_mov_b32_e32 v1, v3
	v_lshlrev_b32_e32 v2, 3, v0
	s_mov_b32 s15, s3
	v_mov_b64_e32 v[12:13], v[0:1]
	s_waitcnt lgkmcnt(0)
	s_and_b32 s2, s2, 0xffff
	s_add_u32 s6, s6, s8
	s_addc_u32 s7, s7, s9
	s_lshl_b32 s14, s2, 3
	v_lshl_add_u64 v[10:11], s[6:7], 0, v[2:3]
	v_mov_b64_e32 v[2:3], 0
	s_mov_b64 s[6:7], 0
	v_mov_b64_e32 v[4:5], 0
	v_mov_b64_e32 v[6:7], 0
	;; [unrolled: 1-line block ×3, first 2 shown]
.LBB118_17:                             ; =>This Inner Loop Header: Depth=1
	global_load_dwordx2 v[14:15], v[10:11], off
	v_lshl_add_u64 v[12:13], v[12:13], 0, s[2:3]
	v_lshlrev_b64 v[16:17], 2, v[12:13]
	v_cmp_le_i64_e32 vcc, s[10:11], v[16:17]
	v_lshl_add_u64 v[10:11], v[10:11], 0, s[14:15]
	s_or_b64 s[6:7], vcc, s[6:7]
	s_waitcnt vmcnt(0)
	v_and_b32_e32 v1, 0xffff0000, v14
	v_lshlrev_b32_e32 v16, 16, v14
	v_alignbit_b32 v18, v15, v14, 16
	v_and_b32_e32 v19, 0xffff0000, v15
	v_cvt_f64_f32_e32 v[14:15], v16
	v_cvt_f64_f32_e32 v[16:17], v1
	v_and_b32_e32 v1, 0xffff0000, v18
	v_cvt_f64_f32_e32 v[18:19], v19
	v_fmac_f64_e32 v[2:3], v[14:15], v[14:15]
	v_cvt_f64_f32_e32 v[14:15], v1
	v_fmac_f64_e32 v[4:5], v[16:17], v[16:17]
	v_fmac_f64_e32 v[8:9], v[18:19], v[18:19]
	;; [unrolled: 1-line block ×3, first 2 shown]
	s_andn2_b64 exec, exec, s[6:7]
	s_cbranch_execnz .LBB118_17
; %bb.18:
	s_or_b64 exec, exec, s[6:7]
.LBB118_19:
	s_or_b64 exec, exec, s[12:13]
.LBB118_20:
	v_add_f64 v[2:3], v[2:3], 0
	v_add_f64 v[2:3], v[4:5], v[2:3]
	v_mbcnt_lo_u32_b32 v1, -1, 0
	v_add_f64 v[2:3], v[6:7], v[2:3]
	v_mbcnt_hi_u32_b32 v10, -1, v1
	v_mov_b32_e32 v1, 0x80
	v_add_f64 v[2:3], v[8:9], v[2:3]
	v_lshl_or_b32 v1, v10, 2, v1
	ds_bpermute_b32 v4, v1, v2
	ds_bpermute_b32 v5, v1, v3
	v_and_b32_e32 v12, 63, v10
	v_cmp_gt_u32_e32 vcc, 48, v12
	v_and_b32_e32 v11, 63, v0
	s_waitcnt lgkmcnt(0)
	v_add_f64 v[2:3], v[2:3], v[4:5]
	v_cndmask_b32_e64 v4, 0, 16, vcc
	v_add_lshl_u32 v6, v4, v10, 2
	ds_bpermute_b32 v4, v6, v2
	ds_bpermute_b32 v5, v6, v3
	v_cmp_gt_u32_e32 vcc, 56, v12
	s_barrier
	s_waitcnt lgkmcnt(0)
	v_add_f64 v[2:3], v[2:3], v[4:5]
	v_cndmask_b32_e64 v4, 0, 8, vcc
	v_add_lshl_u32 v7, v4, v10, 2
	ds_bpermute_b32 v4, v7, v2
	ds_bpermute_b32 v5, v7, v3
	v_cmp_gt_u32_e32 vcc, 60, v12
	s_waitcnt lgkmcnt(0)
	v_add_f64 v[2:3], v[2:3], v[4:5]
	v_cndmask_b32_e64 v4, 0, 4, vcc
	v_add_lshl_u32 v8, v4, v10, 2
	ds_bpermute_b32 v4, v8, v2
	ds_bpermute_b32 v5, v8, v3
	v_cmp_gt_u32_e32 vcc, 62, v12
	s_waitcnt lgkmcnt(0)
	v_add_f64 v[2:3], v[2:3], v[4:5]
	v_cndmask_b32_e64 v4, 0, 2, vcc
	v_add_lshl_u32 v9, v4, v10, 2
	ds_bpermute_b32 v4, v9, v2
	ds_bpermute_b32 v5, v9, v3
	v_cmp_ne_u32_e32 vcc, 63, v12
	s_waitcnt lgkmcnt(0)
	v_add_f64 v[2:3], v[2:3], v[4:5]
	v_addc_co_u32_e32 v4, vcc, 0, v10, vcc
	v_lshlrev_b32_e32 v10, 2, v4
	ds_bpermute_b32 v4, v10, v2
	ds_bpermute_b32 v5, v10, v3
	v_cmp_eq_u32_e32 vcc, 0, v11
	s_and_saveexec_b64 s[2:3], vcc
	s_cbranch_execz .LBB118_22
; %bb.21:
	v_lshrrev_b32_e32 v12, 3, v0
	s_waitcnt lgkmcnt(0)
	v_add_f64 v[2:3], v[2:3], v[4:5]
	ds_write_b64 v12, v[2:3]
.LBB118_22:
	s_or_b64 exec, exec, s[2:3]
	s_waitcnt lgkmcnt(0)
	s_barrier
	s_load_dword s2, s[0:1], 0xd4c
	v_mov_b64_e32 v[2:3], 0
	s_waitcnt lgkmcnt(0)
	s_bfe_u32 s2, s2, 0xa0006
	v_cmp_gt_u32_e32 vcc, s2, v0
	s_and_saveexec_b64 s[2:3], vcc
	s_cbranch_execnz .LBB118_26
; %bb.23:
	s_or_b64 exec, exec, s[2:3]
	v_cmp_gt_u32_e32 vcc, 64, v0
	s_and_saveexec_b64 s[2:3], vcc
	s_cbranch_execnz .LBB118_27
.LBB118_24:
	s_or_b64 exec, exec, s[2:3]
	v_cmp_eq_u32_e32 vcc, 0, v0
	s_and_saveexec_b64 s[2:3], vcc
	s_cbranch_execnz .LBB118_28
.LBB118_25:
	s_endpgm
.LBB118_26:
	v_lshlrev_b32_e32 v2, 3, v11
	ds_read_b64 v[2:3], v2
	s_or_b64 exec, exec, s[2:3]
	v_cmp_gt_u32_e32 vcc, 64, v0
	s_and_saveexec_b64 s[2:3], vcc
	s_cbranch_execz .LBB118_24
.LBB118_27:
	s_waitcnt lgkmcnt(0)
	ds_bpermute_b32 v4, v1, v2
	ds_bpermute_b32 v5, v1, v3
	s_waitcnt lgkmcnt(0)
	v_add_f64 v[2:3], v[2:3], v[4:5]
	ds_bpermute_b32 v4, v6, v2
	ds_bpermute_b32 v5, v6, v3
	s_waitcnt lgkmcnt(0)
	v_add_f64 v[2:3], v[2:3], v[4:5]
	;; [unrolled: 4-line block ×6, first 2 shown]
	s_or_b64 exec, exec, s[2:3]
	v_cmp_eq_u32_e32 vcc, 0, v0
	s_and_saveexec_b64 s[2:3], vcc
	s_cbranch_execz .LBB118_25
.LBB118_28:
	s_load_dword s5, s[0:1], 0xd20
	s_load_dword s6, s[0:1], 0xd38
	s_load_dwordx2 s[2:3], s[0:1], 0xd30
	v_mov_b32_e32 v0, 0
	s_waitcnt lgkmcnt(0)
	s_add_i32 s0, s5, s18
	s_mul_i32 s0, s0, s6
	s_add_i32 s0, s0, s4
	s_ashr_i32 s1, s0, 31
	s_lshl_b64 s[0:1], s[0:1], 3
	s_add_u32 s0, s2, s0
	s_addc_u32 s1, s3, s1
	global_store_dwordx2 v0, v[2:3], s[0:1]
	s_endpgm
	.section	.rodata,"a",@progbits
	.p2align	6, 0x0
	.amdhsa_kernel _ZN2at6native12_GLOBAL__N_125multi_tensor_apply_kernelINS1_18TensorListMetadataILi1EEENS0_13LpNormFunctorIN3c108BFloat16ELNS0_8NormTypeE2EdLi1ELi1ELi0EEEJPdiEEEvT_T0_DpT1_
		.amdhsa_group_segment_fixed_size 4096
		.amdhsa_private_segment_fixed_size 0
		.amdhsa_kernarg_size 3648
		.amdhsa_user_sgpr_count 2
		.amdhsa_user_sgpr_dispatch_ptr 0
		.amdhsa_user_sgpr_queue_ptr 0
		.amdhsa_user_sgpr_kernarg_segment_ptr 1
		.amdhsa_user_sgpr_dispatch_id 0
		.amdhsa_user_sgpr_kernarg_preload_length 0
		.amdhsa_user_sgpr_kernarg_preload_offset 0
		.amdhsa_user_sgpr_private_segment_size 0
		.amdhsa_uses_dynamic_stack 0
		.amdhsa_enable_private_segment 0
		.amdhsa_system_sgpr_workgroup_id_x 1
		.amdhsa_system_sgpr_workgroup_id_y 0
		.amdhsa_system_sgpr_workgroup_id_z 0
		.amdhsa_system_sgpr_workgroup_info 0
		.amdhsa_system_vgpr_workitem_id 0
		.amdhsa_next_free_vgpr 23
		.amdhsa_next_free_sgpr 22
		.amdhsa_accum_offset 24
		.amdhsa_reserve_vcc 1
		.amdhsa_float_round_mode_32 0
		.amdhsa_float_round_mode_16_64 0
		.amdhsa_float_denorm_mode_32 3
		.amdhsa_float_denorm_mode_16_64 3
		.amdhsa_dx10_clamp 1
		.amdhsa_ieee_mode 1
		.amdhsa_fp16_overflow 0
		.amdhsa_tg_split 0
		.amdhsa_exception_fp_ieee_invalid_op 0
		.amdhsa_exception_fp_denorm_src 0
		.amdhsa_exception_fp_ieee_div_zero 0
		.amdhsa_exception_fp_ieee_overflow 0
		.amdhsa_exception_fp_ieee_underflow 0
		.amdhsa_exception_fp_ieee_inexact 0
		.amdhsa_exception_int_div_zero 0
	.end_amdhsa_kernel
	.section	.text._ZN2at6native12_GLOBAL__N_125multi_tensor_apply_kernelINS1_18TensorListMetadataILi1EEENS0_13LpNormFunctorIN3c108BFloat16ELNS0_8NormTypeE2EdLi1ELi1ELi0EEEJPdiEEEvT_T0_DpT1_,"axG",@progbits,_ZN2at6native12_GLOBAL__N_125multi_tensor_apply_kernelINS1_18TensorListMetadataILi1EEENS0_13LpNormFunctorIN3c108BFloat16ELNS0_8NormTypeE2EdLi1ELi1ELi0EEEJPdiEEEvT_T0_DpT1_,comdat
.Lfunc_end118:
	.size	_ZN2at6native12_GLOBAL__N_125multi_tensor_apply_kernelINS1_18TensorListMetadataILi1EEENS0_13LpNormFunctorIN3c108BFloat16ELNS0_8NormTypeE2EdLi1ELi1ELi0EEEJPdiEEEvT_T0_DpT1_, .Lfunc_end118-_ZN2at6native12_GLOBAL__N_125multi_tensor_apply_kernelINS1_18TensorListMetadataILi1EEENS0_13LpNormFunctorIN3c108BFloat16ELNS0_8NormTypeE2EdLi1ELi1ELi0EEEJPdiEEEvT_T0_DpT1_
                                        ; -- End function
	.set _ZN2at6native12_GLOBAL__N_125multi_tensor_apply_kernelINS1_18TensorListMetadataILi1EEENS0_13LpNormFunctorIN3c108BFloat16ELNS0_8NormTypeE2EdLi1ELi1ELi0EEEJPdiEEEvT_T0_DpT1_.num_vgpr, 23
	.set _ZN2at6native12_GLOBAL__N_125multi_tensor_apply_kernelINS1_18TensorListMetadataILi1EEENS0_13LpNormFunctorIN3c108BFloat16ELNS0_8NormTypeE2EdLi1ELi1ELi0EEEJPdiEEEvT_T0_DpT1_.num_agpr, 0
	.set _ZN2at6native12_GLOBAL__N_125multi_tensor_apply_kernelINS1_18TensorListMetadataILi1EEENS0_13LpNormFunctorIN3c108BFloat16ELNS0_8NormTypeE2EdLi1ELi1ELi0EEEJPdiEEEvT_T0_DpT1_.numbered_sgpr, 22
	.set _ZN2at6native12_GLOBAL__N_125multi_tensor_apply_kernelINS1_18TensorListMetadataILi1EEENS0_13LpNormFunctorIN3c108BFloat16ELNS0_8NormTypeE2EdLi1ELi1ELi0EEEJPdiEEEvT_T0_DpT1_.num_named_barrier, 0
	.set _ZN2at6native12_GLOBAL__N_125multi_tensor_apply_kernelINS1_18TensorListMetadataILi1EEENS0_13LpNormFunctorIN3c108BFloat16ELNS0_8NormTypeE2EdLi1ELi1ELi0EEEJPdiEEEvT_T0_DpT1_.private_seg_size, 0
	.set _ZN2at6native12_GLOBAL__N_125multi_tensor_apply_kernelINS1_18TensorListMetadataILi1EEENS0_13LpNormFunctorIN3c108BFloat16ELNS0_8NormTypeE2EdLi1ELi1ELi0EEEJPdiEEEvT_T0_DpT1_.uses_vcc, 1
	.set _ZN2at6native12_GLOBAL__N_125multi_tensor_apply_kernelINS1_18TensorListMetadataILi1EEENS0_13LpNormFunctorIN3c108BFloat16ELNS0_8NormTypeE2EdLi1ELi1ELi0EEEJPdiEEEvT_T0_DpT1_.uses_flat_scratch, 0
	.set _ZN2at6native12_GLOBAL__N_125multi_tensor_apply_kernelINS1_18TensorListMetadataILi1EEENS0_13LpNormFunctorIN3c108BFloat16ELNS0_8NormTypeE2EdLi1ELi1ELi0EEEJPdiEEEvT_T0_DpT1_.has_dyn_sized_stack, 0
	.set _ZN2at6native12_GLOBAL__N_125multi_tensor_apply_kernelINS1_18TensorListMetadataILi1EEENS0_13LpNormFunctorIN3c108BFloat16ELNS0_8NormTypeE2EdLi1ELi1ELi0EEEJPdiEEEvT_T0_DpT1_.has_recursion, 0
	.set _ZN2at6native12_GLOBAL__N_125multi_tensor_apply_kernelINS1_18TensorListMetadataILi1EEENS0_13LpNormFunctorIN3c108BFloat16ELNS0_8NormTypeE2EdLi1ELi1ELi0EEEJPdiEEEvT_T0_DpT1_.has_indirect_call, 0
	.section	.AMDGPU.csdata,"",@progbits
; Kernel info:
; codeLenInByte = 1628
; TotalNumSgprs: 28
; NumVgprs: 23
; NumAgprs: 0
; TotalNumVgprs: 23
; ScratchSize: 0
; MemoryBound: 0
; FloatMode: 240
; IeeeMode: 1
; LDSByteSize: 4096 bytes/workgroup (compile time only)
; SGPRBlocks: 3
; VGPRBlocks: 2
; NumSGPRsForWavesPerEU: 28
; NumVGPRsForWavesPerEU: 23
; AccumOffset: 24
; Occupancy: 8
; WaveLimiterHint : 0
; COMPUTE_PGM_RSRC2:SCRATCH_EN: 0
; COMPUTE_PGM_RSRC2:USER_SGPR: 2
; COMPUTE_PGM_RSRC2:TRAP_HANDLER: 0
; COMPUTE_PGM_RSRC2:TGID_X_EN: 1
; COMPUTE_PGM_RSRC2:TGID_Y_EN: 0
; COMPUTE_PGM_RSRC2:TGID_Z_EN: 0
; COMPUTE_PGM_RSRC2:TIDIG_COMP_CNT: 0
; COMPUTE_PGM_RSRC3_GFX90A:ACCUM_OFFSET: 5
; COMPUTE_PGM_RSRC3_GFX90A:TG_SPLIT: 0
	.section	.text._ZN2at6native12_GLOBAL__N_125multi_tensor_apply_kernelINS1_18TensorListMetadataILi1EEENS0_13LpNormFunctorIN3c108BFloat16ELNS0_8NormTypeE3EdLi1ELi1ELi0EEEJPdiEEEvT_T0_DpT1_,"axG",@progbits,_ZN2at6native12_GLOBAL__N_125multi_tensor_apply_kernelINS1_18TensorListMetadataILi1EEENS0_13LpNormFunctorIN3c108BFloat16ELNS0_8NormTypeE3EdLi1ELi1ELi0EEEJPdiEEEvT_T0_DpT1_,comdat
	.globl	_ZN2at6native12_GLOBAL__N_125multi_tensor_apply_kernelINS1_18TensorListMetadataILi1EEENS0_13LpNormFunctorIN3c108BFloat16ELNS0_8NormTypeE3EdLi1ELi1ELi0EEEJPdiEEEvT_T0_DpT1_ ; -- Begin function _ZN2at6native12_GLOBAL__N_125multi_tensor_apply_kernelINS1_18TensorListMetadataILi1EEENS0_13LpNormFunctorIN3c108BFloat16ELNS0_8NormTypeE3EdLi1ELi1ELi0EEEJPdiEEEvT_T0_DpT1_
	.p2align	8
	.type	_ZN2at6native12_GLOBAL__N_125multi_tensor_apply_kernelINS1_18TensorListMetadataILi1EEENS0_13LpNormFunctorIN3c108BFloat16ELNS0_8NormTypeE3EdLi1ELi1ELi0EEEJPdiEEEvT_T0_DpT1_,@function
_ZN2at6native12_GLOBAL__N_125multi_tensor_apply_kernelINS1_18TensorListMetadataILi1EEENS0_13LpNormFunctorIN3c108BFloat16ELNS0_8NormTypeE3EdLi1ELi1ELi0EEEJPdiEEEvT_T0_DpT1_: ; @_ZN2at6native12_GLOBAL__N_125multi_tensor_apply_kernelINS1_18TensorListMetadataILi1EEENS0_13LpNormFunctorIN3c108BFloat16ELNS0_8NormTypeE3EdLi1ELi1ELi0EEEJPdiEEEvT_T0_DpT1_
; %bb.0:
	v_mov_b32_e32 v1, s2
	global_load_ubyte v1, v1, s[0:1] offset:1760
	s_add_u32 s3, s0, s2
	s_mul_hi_u32 s4, s2, 3
	s_mul_i32 s2, s2, 3
	s_addc_u32 s5, s1, 0
	s_add_u32 s2, s3, s2
	s_addc_u32 s3, s5, s4
	s_load_dword s16, s[2:3], 0x820
	s_mov_b32 s13, 0
	s_waitcnt lgkmcnt(0)
	s_ashr_i32 s17, s16, 31
	s_lshl_b64 s[8:9], s[16:17], 16
	s_waitcnt vmcnt(0)
	v_readfirstlane_b32 s2, v1
	s_and_b32 s28, s2, 0xff
	s_lshl_b32 s6, s28, 3
	s_load_dwordx2 s[2:3], s[0:1], s6 offset:0x370
	s_load_dwordx2 s[4:5], s[0:1], s6 offset:0x0
	s_lshl_b64 s[6:7], s[16:17], 17
	s_waitcnt lgkmcnt(0)
	s_add_u32 s10, s4, s6
	s_addc_u32 s11, s5, s7
	s_sub_u32 s8, s2, s8
	s_subb_u32 s9, s3, s9
	s_and_b32 s12, s2, 3
	s_and_b32 s2, s10, 7
	s_mov_b32 s3, s13
	s_or_b64 s[2:3], s[12:13], s[2:3]
	s_cmp_eq_u64 s[2:3], 0
	s_cbranch_scc1 .LBB119_12
; %bb.1:
	v_cmp_lt_i64_e64 s[2:3], s[8:9], 1
	s_and_b64 vcc, exec, s[2:3]
	s_cbranch_vccnz .LBB119_13
; %bb.2:
	v_mov_b64_e32 v[2:3], 0x10000
	v_cmp_lt_i64_e32 vcc, s[8:9], v[2:3]
	s_and_b64 s[2:3], vcc, exec
	s_load_dword s2, s[0:1], 0xd4c
	v_mov_b32_e32 v11, 0
	v_mov_b32_e32 v10, v11
	s_cselect_b32 s13, s9, 0
	s_cselect_b32 s12, s8, 0x10000
	s_waitcnt lgkmcnt(0)
	s_and_b32 s14, s2, 0xffff
	v_mov_b32_e32 v12, v11
	v_mov_b32_e32 v13, v11
	;; [unrolled: 1-line block ×6, first 2 shown]
	v_mov_b64_e32 v[2:3], v[10:11]
	s_mov_b32 s17, 0x10000
	s_lshl_b32 s20, s14, 2
	v_lshl_add_u32 v18, s14, 1, v0
	v_mad_u64_u32 v[20:21], s[2:3], s14, 3, v[0:1]
	v_add_u32_e32 v22, s14, v0
	s_mov_b64 s[14:15], 0
	v_mov_b64_e32 v[4:5], v[12:13]
	v_mov_b64_e32 v[6:7], v[14:15]
	;; [unrolled: 1-line block ×3, first 2 shown]
	s_branch .LBB119_4
.LBB119_3:                              ;   in Loop: Header=BB119_4 Depth=1
	s_or_b64 exec, exec, s[18:19]
	s_add_u32 s14, s14, s20
	s_addc_u32 s15, s15, 0
	v_mov_b64_e32 v[12:13], s[12:13]
	v_cmp_lt_i64_e32 vcc, s[14:15], v[12:13]
	s_cbranch_vccz .LBB119_14
.LBB119_4:                              ; =>This Inner Loop Header: Depth=1
	v_add_u32_e32 v10, s14, v0
	v_cmp_gt_i64_e32 vcc, s[8:9], v[10:11]
	v_cmp_gt_u32_e64 s[2:3], s17, v10
	s_and_b64 s[2:3], s[2:3], vcc
	s_and_saveexec_b64 s[18:19], s[2:3]
	s_cbranch_execz .LBB119_6
; %bb.5:                                ;   in Loop: Header=BB119_4 Depth=1
	v_lshl_add_u64 v[12:13], v[10:11], 1, s[10:11]
	global_load_ushort v1, v[12:13], off
	s_waitcnt vmcnt(0)
	v_lshlrev_b32_e32 v1, 16, v1
	v_cvt_f64_f32_e64 v[12:13], |v1|
	v_cmp_u_f32_e32 vcc, v1, v1
	v_cmp_lt_f64_e64 s[2:3], v[2:3], v[12:13]
	s_or_b64 vcc, vcc, s[2:3]
	v_cndmask_b32_e32 v3, v3, v13, vcc
	v_cndmask_b32_e32 v2, v2, v12, vcc
.LBB119_6:                              ;   in Loop: Header=BB119_4 Depth=1
	s_or_b64 exec, exec, s[18:19]
	v_add_u32_e32 v10, s14, v22
	v_cmp_gt_i64_e32 vcc, s[8:9], v[10:11]
	v_cmp_gt_u32_e64 s[2:3], s17, v10
	s_and_b64 s[2:3], s[2:3], vcc
	s_and_saveexec_b64 s[18:19], s[2:3]
	s_cbranch_execz .LBB119_8
; %bb.7:                                ;   in Loop: Header=BB119_4 Depth=1
	v_lshl_add_u64 v[12:13], v[10:11], 1, s[10:11]
	global_load_ushort v1, v[12:13], off
	s_waitcnt vmcnt(0)
	v_lshlrev_b32_e32 v1, 16, v1
	v_cvt_f64_f32_e64 v[12:13], |v1|
	v_cmp_u_f32_e32 vcc, v1, v1
	v_cmp_lt_f64_e64 s[2:3], v[4:5], v[12:13]
	s_or_b64 vcc, vcc, s[2:3]
	v_cndmask_b32_e32 v5, v5, v13, vcc
	v_cndmask_b32_e32 v4, v4, v12, vcc
.LBB119_8:                              ;   in Loop: Header=BB119_4 Depth=1
	s_or_b64 exec, exec, s[18:19]
	v_add_u32_e32 v10, s14, v18
	v_cmp_gt_i64_e32 vcc, s[8:9], v[10:11]
	v_cmp_gt_u32_e64 s[2:3], s17, v10
	s_and_b64 s[2:3], s[2:3], vcc
	s_and_saveexec_b64 s[18:19], s[2:3]
	s_cbranch_execz .LBB119_10
; %bb.9:                                ;   in Loop: Header=BB119_4 Depth=1
	v_lshl_add_u64 v[12:13], v[10:11], 1, s[10:11]
	global_load_ushort v1, v[12:13], off
	s_waitcnt vmcnt(0)
	v_lshlrev_b32_e32 v1, 16, v1
	v_cvt_f64_f32_e64 v[12:13], |v1|
	v_cmp_u_f32_e32 vcc, v1, v1
	v_cmp_lt_f64_e64 s[2:3], v[6:7], v[12:13]
	s_or_b64 vcc, vcc, s[2:3]
	v_cndmask_b32_e32 v7, v7, v13, vcc
	v_cndmask_b32_e32 v6, v6, v12, vcc
.LBB119_10:                             ;   in Loop: Header=BB119_4 Depth=1
	s_or_b64 exec, exec, s[18:19]
	v_add_u32_e32 v10, s14, v20
	v_cmp_gt_i64_e32 vcc, s[8:9], v[10:11]
	v_cmp_gt_u32_e64 s[2:3], s17, v10
	s_and_b64 s[2:3], s[2:3], vcc
	s_and_saveexec_b64 s[18:19], s[2:3]
	s_cbranch_execz .LBB119_3
; %bb.11:                               ;   in Loop: Header=BB119_4 Depth=1
	v_lshl_add_u64 v[12:13], v[10:11], 1, s[10:11]
	global_load_ushort v1, v[12:13], off
	s_waitcnt vmcnt(0)
	v_lshlrev_b32_e32 v1, 16, v1
	v_cvt_f64_f32_e64 v[12:13], |v1|
	v_cmp_u_f32_e32 vcc, v1, v1
	v_cmp_lt_f64_e64 s[2:3], v[8:9], v[12:13]
	s_or_b64 vcc, vcc, s[2:3]
	v_cndmask_b32_e32 v9, v9, v13, vcc
	v_cndmask_b32_e32 v8, v8, v12, vcc
	s_branch .LBB119_3
.LBB119_12:
                                        ; implicit-def: $vgpr2_vgpr3_vgpr4_vgpr5_vgpr6_vgpr7_vgpr8_vgpr9
	s_branch .LBB119_15
.LBB119_13:
	v_mov_b32_e32 v2, 0
	v_mov_b32_e32 v3, v2
	;; [unrolled: 1-line block ×8, first 2 shown]
.LBB119_14:
	s_cbranch_execnz .LBB119_20
.LBB119_15:
	v_mov_b64_e32 v[4:5], 0x10000
	v_cmp_lt_i64_e32 vcc, s[8:9], v[4:5]
	s_and_b64 s[2:3], vcc, exec
	v_mov_b32_e32 v3, 0
	s_cselect_b32 s21, s9, 0
	s_cselect_b32 s20, s8, 0x10000
	v_lshlrev_b32_e32 v2, 2, v0
	s_mov_b32 s19, 0
	v_cmp_gt_i64_e32 vcc, s[20:21], v[2:3]
	v_mov_b32_e32 v2, v3
	v_mov_b32_e32 v4, v3
	;; [unrolled: 1-line block ×7, first 2 shown]
	s_and_saveexec_b64 s[22:23], vcc
	s_cbranch_execz .LBB119_19
; %bb.16:
	s_load_dword s2, s[0:1], 0xd4c
	v_mov_b32_e32 v1, v3
	v_lshlrev_b32_e32 v2, 3, v0
	s_mov_b32 s25, s19
	s_mov_b64 s[26:27], 0
	s_waitcnt lgkmcnt(0)
	s_and_b32 s18, s2, 0xffff
	s_add_u32 s2, s4, s6
	s_addc_u32 s3, s5, s7
	s_lshl_b32 s24, s18, 3
	v_lshl_add_u64 v[10:11], s[2:3], 0, v[2:3]
	v_mov_b64_e32 v[2:3], 0
	v_mov_b64_e32 v[12:13], v[0:1]
	;; [unrolled: 1-line block ×5, first 2 shown]
.LBB119_17:                             ; =>This Inner Loop Header: Depth=1
	global_load_dwordx2 v[14:15], v[10:11], off
	v_lshl_add_u64 v[12:13], v[12:13], 0, s[18:19]
	v_lshlrev_b64 v[16:17], 2, v[12:13]
	v_cmp_le_i64_e32 vcc, s[20:21], v[16:17]
	v_lshl_add_u64 v[10:11], v[10:11], 0, s[24:25]
	s_waitcnt vmcnt(0)
	v_and_b32_e32 v1, 0xffff0000, v14
	v_lshlrev_b32_e32 v16, 16, v14
	v_alignbit_b32 v18, v15, v14, 16
	v_and_b32_e32 v20, 0xffff0000, v15
	v_cvt_f64_f32_e64 v[14:15], |v16|
	v_cmp_u_f32_e64 s[2:3], v16, v16
	v_cvt_f64_f32_e64 v[16:17], |v1|
	v_cmp_u_f32_e64 s[4:5], v1, v1
	v_and_b32_e32 v1, 0xffff0000, v18
	v_cvt_f64_f32_e64 v[18:19], |v20|
	v_cmp_u_f32_e64 s[6:7], v20, v20
	v_cmp_lt_f64_e64 s[8:9], v[2:3], v[14:15]
	v_cvt_f64_f32_e64 v[20:21], |v1|
	v_cmp_lt_f64_e64 s[10:11], v[4:5], v[16:17]
	v_cmp_u_f32_e64 s[12:13], v1, v1
	v_cmp_lt_f64_e64 s[14:15], v[8:9], v[18:19]
	s_or_b64 s[2:3], s[2:3], s[8:9]
	v_cmp_lt_f64_e64 s[8:9], v[6:7], v[20:21]
	v_cndmask_b32_e64 v3, v3, v15, s[2:3]
	s_or_b64 s[4:5], s[4:5], s[10:11]
	s_or_b64 s[6:7], s[6:7], s[14:15]
	v_cndmask_b32_e64 v2, v2, v14, s[2:3]
	s_or_b64 s[2:3], s[12:13], s[8:9]
	v_cndmask_b32_e64 v5, v5, v17, s[4:5]
	v_cndmask_b32_e64 v9, v9, v19, s[6:7]
	;; [unrolled: 1-line block ×5, first 2 shown]
	s_or_b64 s[26:27], vcc, s[26:27]
	v_cndmask_b32_e64 v6, v6, v20, s[2:3]
	s_andn2_b64 exec, exec, s[26:27]
	s_cbranch_execnz .LBB119_17
; %bb.18:
	s_or_b64 exec, exec, s[26:27]
.LBB119_19:
	s_or_b64 exec, exec, s[22:23]
.LBB119_20:
	v_cmp_nge_f64_e32 vcc, 0, v[2:3]
	v_mbcnt_lo_u32_b32 v1, -1, 0
	v_mbcnt_hi_u32_b32 v10, -1, v1
	v_cndmask_b32_e32 v3, 0, v3, vcc
	v_cndmask_b32_e32 v2, 0, v2, vcc
	v_cmp_u_f64_e32 vcc, v[4:5], v[4:5]
	v_cmp_lt_f64_e64 s[2:3], v[2:3], v[4:5]
	s_or_b64 vcc, vcc, s[2:3]
	v_cndmask_b32_e32 v3, v3, v5, vcc
	v_cndmask_b32_e32 v2, v2, v4, vcc
	v_cmp_u_f64_e32 vcc, v[6:7], v[6:7]
	v_cmp_lt_f64_e64 s[2:3], v[2:3], v[6:7]
	s_or_b64 vcc, vcc, s[2:3]
	;; [unrolled: 5-line block ×3, first 2 shown]
	v_mov_b32_e32 v1, 0x80
	v_cndmask_b32_e32 v3, v3, v9, vcc
	v_cndmask_b32_e32 v2, v2, v8, vcc
	v_lshl_or_b32 v1, v10, 2, v1
	ds_bpermute_b32 v4, v1, v2
	ds_bpermute_b32 v5, v1, v3
	v_and_b32_e32 v12, 63, v10
	v_and_b32_e32 v11, 63, v0
	s_waitcnt lgkmcnt(0)
	s_barrier
	v_cmp_u_f64_e32 vcc, v[4:5], v[4:5]
	v_cmp_lt_f64_e64 s[2:3], v[2:3], v[4:5]
	s_or_b64 vcc, vcc, s[2:3]
	v_cndmask_b32_e32 v3, v3, v5, vcc
	v_cndmask_b32_e32 v2, v2, v4, vcc
	v_cmp_gt_u32_e32 vcc, 48, v12
	s_nop 1
	v_cndmask_b32_e64 v4, 0, 16, vcc
	v_add_lshl_u32 v6, v4, v10, 2
	ds_bpermute_b32 v4, v6, v2
	ds_bpermute_b32 v5, v6, v3
	s_waitcnt lgkmcnt(0)
	v_cmp_u_f64_e32 vcc, v[4:5], v[4:5]
	v_cmp_lt_f64_e64 s[2:3], v[2:3], v[4:5]
	s_or_b64 vcc, vcc, s[2:3]
	v_cndmask_b32_e32 v3, v3, v5, vcc
	v_cndmask_b32_e32 v2, v2, v4, vcc
	v_cmp_gt_u32_e32 vcc, 56, v12
	s_nop 1
	v_cndmask_b32_e64 v4, 0, 8, vcc
	v_add_lshl_u32 v7, v4, v10, 2
	ds_bpermute_b32 v4, v7, v2
	ds_bpermute_b32 v5, v7, v3
	s_waitcnt lgkmcnt(0)
	;; [unrolled: 12-line block ×4, first 2 shown]
	v_cmp_u_f64_e32 vcc, v[4:5], v[4:5]
	v_cmp_lt_f64_e64 s[2:3], v[2:3], v[4:5]
	s_or_b64 vcc, vcc, s[2:3]
	v_cndmask_b32_e32 v3, v3, v5, vcc
	v_cndmask_b32_e32 v2, v2, v4, vcc
	v_cmp_ne_u32_e32 vcc, 63, v12
	s_nop 1
	v_addc_co_u32_e32 v4, vcc, 0, v10, vcc
	v_lshlrev_b32_e32 v10, 2, v4
	ds_bpermute_b32 v4, v10, v2
	ds_bpermute_b32 v5, v10, v3
	v_cmp_eq_u32_e32 vcc, 0, v11
	s_and_saveexec_b64 s[4:5], vcc
	s_cbranch_execz .LBB119_22
; %bb.21:
	s_waitcnt lgkmcnt(0)
	v_cmp_u_f64_e32 vcc, v[4:5], v[4:5]
	v_cmp_lt_f64_e64 s[2:3], v[2:3], v[4:5]
	s_or_b64 vcc, vcc, s[2:3]
	v_lshrrev_b32_e32 v12, 3, v0
	v_cndmask_b32_e32 v3, v3, v5, vcc
	v_cndmask_b32_e32 v2, v2, v4, vcc
	ds_write_b64 v12, v[2:3]
.LBB119_22:
	s_or_b64 exec, exec, s[4:5]
	s_waitcnt lgkmcnt(0)
	s_barrier
	s_load_dword s2, s[0:1], 0xd4c
	v_mov_b32_e32 v2, -1
	v_mov_b32_e32 v3, 0xffefffff
	s_waitcnt lgkmcnt(0)
	s_bfe_u32 s2, s2, 0xa0006
	v_cmp_gt_u32_e32 vcc, s2, v0
	s_and_saveexec_b64 s[2:3], vcc
	s_cbranch_execnz .LBB119_26
; %bb.23:
	s_or_b64 exec, exec, s[2:3]
	v_cmp_gt_u32_e32 vcc, 64, v0
	s_and_saveexec_b64 s[4:5], vcc
	s_cbranch_execnz .LBB119_27
.LBB119_24:
	s_or_b64 exec, exec, s[4:5]
	v_cmp_eq_u32_e32 vcc, 0, v0
	s_and_saveexec_b64 s[2:3], vcc
	s_cbranch_execnz .LBB119_28
.LBB119_25:
	s_endpgm
.LBB119_26:
	v_lshlrev_b32_e32 v2, 3, v11
	ds_read_b64 v[2:3], v2
	s_or_b64 exec, exec, s[2:3]
	v_cmp_gt_u32_e32 vcc, 64, v0
	s_and_saveexec_b64 s[4:5], vcc
	s_cbranch_execz .LBB119_24
.LBB119_27:
	s_waitcnt lgkmcnt(0)
	ds_bpermute_b32 v4, v1, v2
	ds_bpermute_b32 v5, v1, v3
	s_waitcnt lgkmcnt(0)
	v_cmp_u_f64_e32 vcc, v[4:5], v[4:5]
	v_cmp_lt_f64_e64 s[2:3], v[2:3], v[4:5]
	s_or_b64 vcc, vcc, s[2:3]
	v_cndmask_b32_e32 v3, v3, v5, vcc
	v_cndmask_b32_e32 v2, v2, v4, vcc
	ds_bpermute_b32 v5, v6, v3
	ds_bpermute_b32 v4, v6, v2
	s_waitcnt lgkmcnt(0)
	v_cmp_u_f64_e32 vcc, v[4:5], v[4:5]
	v_cmp_lt_f64_e64 s[2:3], v[2:3], v[4:5]
	s_or_b64 vcc, vcc, s[2:3]
	v_cndmask_b32_e32 v3, v3, v5, vcc
	v_cndmask_b32_e32 v2, v2, v4, vcc
	;; [unrolled: 8-line block ×6, first 2 shown]
	s_or_b64 exec, exec, s[4:5]
	v_cmp_eq_u32_e32 vcc, 0, v0
	s_and_saveexec_b64 s[2:3], vcc
	s_cbranch_execz .LBB119_25
.LBB119_28:
	s_load_dword s4, s[0:1], 0xd20
	s_load_dword s5, s[0:1], 0xd38
	s_load_dwordx2 s[2:3], s[0:1], 0xd30
	v_mov_b32_e32 v0, 0
	s_waitcnt lgkmcnt(0)
	s_add_i32 s0, s4, s28
	s_mul_i32 s0, s0, s5
	s_add_i32 s0, s0, s16
	s_ashr_i32 s1, s0, 31
	s_lshl_b64 s[0:1], s[0:1], 3
	s_add_u32 s0, s2, s0
	s_addc_u32 s1, s3, s1
	global_store_dwordx2 v0, v[2:3], s[0:1]
	s_endpgm
	.section	.rodata,"a",@progbits
	.p2align	6, 0x0
	.amdhsa_kernel _ZN2at6native12_GLOBAL__N_125multi_tensor_apply_kernelINS1_18TensorListMetadataILi1EEENS0_13LpNormFunctorIN3c108BFloat16ELNS0_8NormTypeE3EdLi1ELi1ELi0EEEJPdiEEEvT_T0_DpT1_
		.amdhsa_group_segment_fixed_size 4096
		.amdhsa_private_segment_fixed_size 0
		.amdhsa_kernarg_size 3648
		.amdhsa_user_sgpr_count 2
		.amdhsa_user_sgpr_dispatch_ptr 0
		.amdhsa_user_sgpr_queue_ptr 0
		.amdhsa_user_sgpr_kernarg_segment_ptr 1
		.amdhsa_user_sgpr_dispatch_id 0
		.amdhsa_user_sgpr_kernarg_preload_length 0
		.amdhsa_user_sgpr_kernarg_preload_offset 0
		.amdhsa_user_sgpr_private_segment_size 0
		.amdhsa_uses_dynamic_stack 0
		.amdhsa_enable_private_segment 0
		.amdhsa_system_sgpr_workgroup_id_x 1
		.amdhsa_system_sgpr_workgroup_id_y 0
		.amdhsa_system_sgpr_workgroup_id_z 0
		.amdhsa_system_sgpr_workgroup_info 0
		.amdhsa_system_vgpr_workitem_id 0
		.amdhsa_next_free_vgpr 23
		.amdhsa_next_free_sgpr 29
		.amdhsa_accum_offset 24
		.amdhsa_reserve_vcc 1
		.amdhsa_float_round_mode_32 0
		.amdhsa_float_round_mode_16_64 0
		.amdhsa_float_denorm_mode_32 3
		.amdhsa_float_denorm_mode_16_64 3
		.amdhsa_dx10_clamp 1
		.amdhsa_ieee_mode 1
		.amdhsa_fp16_overflow 0
		.amdhsa_tg_split 0
		.amdhsa_exception_fp_ieee_invalid_op 0
		.amdhsa_exception_fp_denorm_src 0
		.amdhsa_exception_fp_ieee_div_zero 0
		.amdhsa_exception_fp_ieee_overflow 0
		.amdhsa_exception_fp_ieee_underflow 0
		.amdhsa_exception_fp_ieee_inexact 0
		.amdhsa_exception_int_div_zero 0
	.end_amdhsa_kernel
	.section	.text._ZN2at6native12_GLOBAL__N_125multi_tensor_apply_kernelINS1_18TensorListMetadataILi1EEENS0_13LpNormFunctorIN3c108BFloat16ELNS0_8NormTypeE3EdLi1ELi1ELi0EEEJPdiEEEvT_T0_DpT1_,"axG",@progbits,_ZN2at6native12_GLOBAL__N_125multi_tensor_apply_kernelINS1_18TensorListMetadataILi1EEENS0_13LpNormFunctorIN3c108BFloat16ELNS0_8NormTypeE3EdLi1ELi1ELi0EEEJPdiEEEvT_T0_DpT1_,comdat
.Lfunc_end119:
	.size	_ZN2at6native12_GLOBAL__N_125multi_tensor_apply_kernelINS1_18TensorListMetadataILi1EEENS0_13LpNormFunctorIN3c108BFloat16ELNS0_8NormTypeE3EdLi1ELi1ELi0EEEJPdiEEEvT_T0_DpT1_, .Lfunc_end119-_ZN2at6native12_GLOBAL__N_125multi_tensor_apply_kernelINS1_18TensorListMetadataILi1EEENS0_13LpNormFunctorIN3c108BFloat16ELNS0_8NormTypeE3EdLi1ELi1ELi0EEEJPdiEEEvT_T0_DpT1_
                                        ; -- End function
	.set _ZN2at6native12_GLOBAL__N_125multi_tensor_apply_kernelINS1_18TensorListMetadataILi1EEENS0_13LpNormFunctorIN3c108BFloat16ELNS0_8NormTypeE3EdLi1ELi1ELi0EEEJPdiEEEvT_T0_DpT1_.num_vgpr, 23
	.set _ZN2at6native12_GLOBAL__N_125multi_tensor_apply_kernelINS1_18TensorListMetadataILi1EEENS0_13LpNormFunctorIN3c108BFloat16ELNS0_8NormTypeE3EdLi1ELi1ELi0EEEJPdiEEEvT_T0_DpT1_.num_agpr, 0
	.set _ZN2at6native12_GLOBAL__N_125multi_tensor_apply_kernelINS1_18TensorListMetadataILi1EEENS0_13LpNormFunctorIN3c108BFloat16ELNS0_8NormTypeE3EdLi1ELi1ELi0EEEJPdiEEEvT_T0_DpT1_.numbered_sgpr, 29
	.set _ZN2at6native12_GLOBAL__N_125multi_tensor_apply_kernelINS1_18TensorListMetadataILi1EEENS0_13LpNormFunctorIN3c108BFloat16ELNS0_8NormTypeE3EdLi1ELi1ELi0EEEJPdiEEEvT_T0_DpT1_.num_named_barrier, 0
	.set _ZN2at6native12_GLOBAL__N_125multi_tensor_apply_kernelINS1_18TensorListMetadataILi1EEENS0_13LpNormFunctorIN3c108BFloat16ELNS0_8NormTypeE3EdLi1ELi1ELi0EEEJPdiEEEvT_T0_DpT1_.private_seg_size, 0
	.set _ZN2at6native12_GLOBAL__N_125multi_tensor_apply_kernelINS1_18TensorListMetadataILi1EEENS0_13LpNormFunctorIN3c108BFloat16ELNS0_8NormTypeE3EdLi1ELi1ELi0EEEJPdiEEEvT_T0_DpT1_.uses_vcc, 1
	.set _ZN2at6native12_GLOBAL__N_125multi_tensor_apply_kernelINS1_18TensorListMetadataILi1EEENS0_13LpNormFunctorIN3c108BFloat16ELNS0_8NormTypeE3EdLi1ELi1ELi0EEEJPdiEEEvT_T0_DpT1_.uses_flat_scratch, 0
	.set _ZN2at6native12_GLOBAL__N_125multi_tensor_apply_kernelINS1_18TensorListMetadataILi1EEENS0_13LpNormFunctorIN3c108BFloat16ELNS0_8NormTypeE3EdLi1ELi1ELi0EEEJPdiEEEvT_T0_DpT1_.has_dyn_sized_stack, 0
	.set _ZN2at6native12_GLOBAL__N_125multi_tensor_apply_kernelINS1_18TensorListMetadataILi1EEENS0_13LpNormFunctorIN3c108BFloat16ELNS0_8NormTypeE3EdLi1ELi1ELi0EEEJPdiEEEvT_T0_DpT1_.has_recursion, 0
	.set _ZN2at6native12_GLOBAL__N_125multi_tensor_apply_kernelINS1_18TensorListMetadataILi1EEENS0_13LpNormFunctorIN3c108BFloat16ELNS0_8NormTypeE3EdLi1ELi1ELi0EEEJPdiEEEvT_T0_DpT1_.has_indirect_call, 0
	.section	.AMDGPU.csdata,"",@progbits
; Kernel info:
; codeLenInByte = 2144
; TotalNumSgprs: 35
; NumVgprs: 23
; NumAgprs: 0
; TotalNumVgprs: 23
; ScratchSize: 0
; MemoryBound: 0
; FloatMode: 240
; IeeeMode: 1
; LDSByteSize: 4096 bytes/workgroup (compile time only)
; SGPRBlocks: 4
; VGPRBlocks: 2
; NumSGPRsForWavesPerEU: 35
; NumVGPRsForWavesPerEU: 23
; AccumOffset: 24
; Occupancy: 8
; WaveLimiterHint : 0
; COMPUTE_PGM_RSRC2:SCRATCH_EN: 0
; COMPUTE_PGM_RSRC2:USER_SGPR: 2
; COMPUTE_PGM_RSRC2:TRAP_HANDLER: 0
; COMPUTE_PGM_RSRC2:TGID_X_EN: 1
; COMPUTE_PGM_RSRC2:TGID_Y_EN: 0
; COMPUTE_PGM_RSRC2:TGID_Z_EN: 0
; COMPUTE_PGM_RSRC2:TIDIG_COMP_CNT: 0
; COMPUTE_PGM_RSRC3_GFX90A:ACCUM_OFFSET: 5
; COMPUTE_PGM_RSRC3_GFX90A:TG_SPLIT: 0
	.section	.text._ZN2at6native14lpnorm_cleanupIN3c108BFloat16ELNS0_8NormTypeE0EdLb1EdEEvPKT3_NS0_19TensorListAddressesEi,"axG",@progbits,_ZN2at6native14lpnorm_cleanupIN3c108BFloat16ELNS0_8NormTypeE0EdLb1EdEEvPKT3_NS0_19TensorListAddressesEi,comdat
	.protected	_ZN2at6native14lpnorm_cleanupIN3c108BFloat16ELNS0_8NormTypeE0EdLb1EdEEvPKT3_NS0_19TensorListAddressesEi ; -- Begin function _ZN2at6native14lpnorm_cleanupIN3c108BFloat16ELNS0_8NormTypeE0EdLb1EdEEvPKT3_NS0_19TensorListAddressesEi
	.globl	_ZN2at6native14lpnorm_cleanupIN3c108BFloat16ELNS0_8NormTypeE0EdLb1EdEEvPKT3_NS0_19TensorListAddressesEi
	.p2align	8
	.type	_ZN2at6native14lpnorm_cleanupIN3c108BFloat16ELNS0_8NormTypeE0EdLb1EdEEvPKT3_NS0_19TensorListAddressesEi,@function
_ZN2at6native14lpnorm_cleanupIN3c108BFloat16ELNS0_8NormTypeE0EdLb1EdEEvPKT3_NS0_19TensorListAddressesEi: ; @_ZN2at6native14lpnorm_cleanupIN3c108BFloat16ELNS0_8NormTypeE0EdLb1EdEEvPKT3_NS0_19TensorListAddressesEi
; %bb.0:
	s_load_dword s6, s[0:1], 0xc88
	v_mov_b64_e32 v[2:3], 0
	s_waitcnt lgkmcnt(0)
	v_cmp_gt_u32_e32 vcc, s6, v0
	s_and_saveexec_b64 s[4:5], vcc
	s_cbranch_execz .LBB120_4
; %bb.1:
	s_load_dwordx2 s[12:13], s[0:1], 0x0
	s_load_dword s3, s[0:1], 0xc9c
	s_mul_i32 s8, s6, s2
	s_mov_b32 s9, 0
	s_ashr_i32 s7, s6, 31
	s_lshl_b64 s[14:15], s[8:9], 3
	s_waitcnt lgkmcnt(0)
	s_and_b32 s10, s3, 0xffff
	v_mov_b32_e32 v1, 0
	s_add_u32 s12, s12, s14
	v_lshlrev_b32_e32 v2, 3, v0
	v_mov_b32_e32 v3, v1
	s_addc_u32 s13, s13, s15
	s_mov_b32 s11, s9
	v_lshl_add_u64 v[4:5], s[12:13], 0, v[2:3]
	s_lshl_b32 s8, s10, 3
	v_mov_b64_e32 v[2:3], 0
	s_mov_b64 s[12:13], 0
	v_mov_b64_e32 v[6:7], v[0:1]
.LBB120_2:                              ; =>This Inner Loop Header: Depth=1
	global_load_dwordx2 v[8:9], v[4:5], off
	v_lshl_add_u64 v[6:7], v[6:7], 0, s[10:11]
	v_cmp_le_u64_e32 vcc, s[6:7], v[6:7]
	v_lshl_add_u64 v[4:5], v[4:5], 0, s[8:9]
	s_or_b64 s[12:13], vcc, s[12:13]
	s_waitcnt vmcnt(0)
	v_add_f64 v[2:3], v[2:3], v[8:9]
	s_andn2_b64 exec, exec, s[12:13]
	s_cbranch_execnz .LBB120_2
; %bb.3:
	s_or_b64 exec, exec, s[12:13]
.LBB120_4:
	s_or_b64 exec, exec, s[4:5]
	v_mbcnt_lo_u32_b32 v1, -1, 0
	v_mbcnt_hi_u32_b32 v10, -1, v1
	v_mov_b32_e32 v1, 0x80
	v_lshl_or_b32 v1, v10, 2, v1
	ds_bpermute_b32 v4, v1, v2
	ds_bpermute_b32 v5, v1, v3
	v_and_b32_e32 v12, 63, v10
	v_cmp_gt_u32_e32 vcc, 48, v12
	v_and_b32_e32 v11, 63, v0
	s_waitcnt lgkmcnt(0)
	v_add_f64 v[2:3], v[2:3], v[4:5]
	v_cndmask_b32_e64 v4, 0, 16, vcc
	v_add_lshl_u32 v6, v4, v10, 2
	ds_bpermute_b32 v4, v6, v2
	ds_bpermute_b32 v5, v6, v3
	v_cmp_gt_u32_e32 vcc, 56, v12
	s_barrier
	s_waitcnt lgkmcnt(0)
	v_add_f64 v[2:3], v[2:3], v[4:5]
	v_cndmask_b32_e64 v4, 0, 8, vcc
	v_add_lshl_u32 v7, v4, v10, 2
	ds_bpermute_b32 v4, v7, v2
	ds_bpermute_b32 v5, v7, v3
	v_cmp_gt_u32_e32 vcc, 60, v12
	s_waitcnt lgkmcnt(0)
	v_add_f64 v[2:3], v[2:3], v[4:5]
	v_cndmask_b32_e64 v4, 0, 4, vcc
	v_add_lshl_u32 v8, v4, v10, 2
	ds_bpermute_b32 v4, v8, v2
	ds_bpermute_b32 v5, v8, v3
	v_cmp_gt_u32_e32 vcc, 62, v12
	s_waitcnt lgkmcnt(0)
	v_add_f64 v[2:3], v[2:3], v[4:5]
	v_cndmask_b32_e64 v4, 0, 2, vcc
	v_add_lshl_u32 v9, v4, v10, 2
	ds_bpermute_b32 v4, v9, v2
	ds_bpermute_b32 v5, v9, v3
	v_cmp_ne_u32_e32 vcc, 63, v12
	s_waitcnt lgkmcnt(0)
	v_add_f64 v[2:3], v[2:3], v[4:5]
	v_addc_co_u32_e32 v4, vcc, 0, v10, vcc
	v_lshlrev_b32_e32 v10, 2, v4
	ds_bpermute_b32 v4, v10, v2
	ds_bpermute_b32 v5, v10, v3
	v_cmp_eq_u32_e32 vcc, 0, v11
	s_and_saveexec_b64 s[4:5], vcc
	s_cbranch_execz .LBB120_6
; %bb.5:
	v_lshrrev_b32_e32 v12, 3, v0
	s_waitcnt lgkmcnt(0)
	v_add_f64 v[2:3], v[2:3], v[4:5]
	ds_write_b64 v12, v[2:3]
.LBB120_6:
	s_or_b64 exec, exec, s[4:5]
	s_waitcnt lgkmcnt(0)
	s_barrier
	s_load_dword s3, s[0:1], 0xc9c
	v_mov_b64_e32 v[2:3], 0
	s_waitcnt lgkmcnt(0)
	s_bfe_u32 s3, s3, 0xa0006
	v_cmp_gt_u32_e32 vcc, s3, v0
	s_and_saveexec_b64 s[4:5], vcc
; %bb.7:
	v_lshlrev_b32_e32 v2, 3, v11
	ds_read_b64 v[2:3], v2
; %bb.8:
	s_or_b64 exec, exec, s[4:5]
	v_cmp_gt_u32_e32 vcc, 64, v0
	s_and_saveexec_b64 s[4:5], vcc
	s_cbranch_execz .LBB120_10
; %bb.9:
	s_waitcnt lgkmcnt(0)
	ds_bpermute_b32 v4, v1, v2
	ds_bpermute_b32 v5, v1, v3
	s_waitcnt lgkmcnt(0)
	v_add_f64 v[2:3], v[2:3], v[4:5]
	ds_bpermute_b32 v4, v6, v2
	ds_bpermute_b32 v5, v6, v3
	s_waitcnt lgkmcnt(0)
	v_add_f64 v[2:3], v[2:3], v[4:5]
	ds_bpermute_b32 v4, v7, v2
	ds_bpermute_b32 v5, v7, v3
	s_waitcnt lgkmcnt(0)
	v_add_f64 v[2:3], v[2:3], v[4:5]
	ds_bpermute_b32 v4, v8, v2
	ds_bpermute_b32 v5, v8, v3
	s_waitcnt lgkmcnt(0)
	v_add_f64 v[2:3], v[2:3], v[4:5]
	ds_bpermute_b32 v4, v9, v2
	ds_bpermute_b32 v5, v9, v3
	s_waitcnt lgkmcnt(0)
	v_add_f64 v[2:3], v[2:3], v[4:5]
	ds_bpermute_b32 v4, v10, v2
	ds_bpermute_b32 v5, v10, v3
	s_waitcnt lgkmcnt(0)
	v_add_f64 v[2:3], v[2:3], v[4:5]
.LBB120_10:
	s_or_b64 exec, exec, s[4:5]
	s_mov_b32 s3, 0
	v_cmp_eq_u32_e32 vcc, 0, v0
	s_and_saveexec_b64 s[4:5], vcc
	s_cbranch_execz .LBB120_12
; %bb.11:
	s_lshl_b64 s[2:3], s[2:3], 3
	s_add_u32 s0, s0, s2
	s_addc_u32 s1, s1, s3
	s_load_dwordx2 s[0:1], s[0:1], 0x8
	v_mov_b32_e32 v0, 0
	s_waitcnt lgkmcnt(0)
	global_store_dwordx2 v0, v[2:3], s[0:1]
.LBB120_12:
	s_endpgm
	.section	.rodata,"a",@progbits
	.p2align	6, 0x0
	.amdhsa_kernel _ZN2at6native14lpnorm_cleanupIN3c108BFloat16ELNS0_8NormTypeE0EdLb1EdEEvPKT3_NS0_19TensorListAddressesEi
		.amdhsa_group_segment_fixed_size 4096
		.amdhsa_private_segment_fixed_size 0
		.amdhsa_kernarg_size 3472
		.amdhsa_user_sgpr_count 2
		.amdhsa_user_sgpr_dispatch_ptr 0
		.amdhsa_user_sgpr_queue_ptr 0
		.amdhsa_user_sgpr_kernarg_segment_ptr 1
		.amdhsa_user_sgpr_dispatch_id 0
		.amdhsa_user_sgpr_kernarg_preload_length 0
		.amdhsa_user_sgpr_kernarg_preload_offset 0
		.amdhsa_user_sgpr_private_segment_size 0
		.amdhsa_uses_dynamic_stack 0
		.amdhsa_enable_private_segment 0
		.amdhsa_system_sgpr_workgroup_id_x 1
		.amdhsa_system_sgpr_workgroup_id_y 0
		.amdhsa_system_sgpr_workgroup_id_z 0
		.amdhsa_system_sgpr_workgroup_info 0
		.amdhsa_system_vgpr_workitem_id 0
		.amdhsa_next_free_vgpr 13
		.amdhsa_next_free_sgpr 16
		.amdhsa_accum_offset 16
		.amdhsa_reserve_vcc 1
		.amdhsa_float_round_mode_32 0
		.amdhsa_float_round_mode_16_64 0
		.amdhsa_float_denorm_mode_32 3
		.amdhsa_float_denorm_mode_16_64 3
		.amdhsa_dx10_clamp 1
		.amdhsa_ieee_mode 1
		.amdhsa_fp16_overflow 0
		.amdhsa_tg_split 0
		.amdhsa_exception_fp_ieee_invalid_op 0
		.amdhsa_exception_fp_denorm_src 0
		.amdhsa_exception_fp_ieee_div_zero 0
		.amdhsa_exception_fp_ieee_overflow 0
		.amdhsa_exception_fp_ieee_underflow 0
		.amdhsa_exception_fp_ieee_inexact 0
		.amdhsa_exception_int_div_zero 0
	.end_amdhsa_kernel
	.section	.text._ZN2at6native14lpnorm_cleanupIN3c108BFloat16ELNS0_8NormTypeE0EdLb1EdEEvPKT3_NS0_19TensorListAddressesEi,"axG",@progbits,_ZN2at6native14lpnorm_cleanupIN3c108BFloat16ELNS0_8NormTypeE0EdLb1EdEEvPKT3_NS0_19TensorListAddressesEi,comdat
.Lfunc_end120:
	.size	_ZN2at6native14lpnorm_cleanupIN3c108BFloat16ELNS0_8NormTypeE0EdLb1EdEEvPKT3_NS0_19TensorListAddressesEi, .Lfunc_end120-_ZN2at6native14lpnorm_cleanupIN3c108BFloat16ELNS0_8NormTypeE0EdLb1EdEEvPKT3_NS0_19TensorListAddressesEi
                                        ; -- End function
	.set _ZN2at6native14lpnorm_cleanupIN3c108BFloat16ELNS0_8NormTypeE0EdLb1EdEEvPKT3_NS0_19TensorListAddressesEi.num_vgpr, 13
	.set _ZN2at6native14lpnorm_cleanupIN3c108BFloat16ELNS0_8NormTypeE0EdLb1EdEEvPKT3_NS0_19TensorListAddressesEi.num_agpr, 0
	.set _ZN2at6native14lpnorm_cleanupIN3c108BFloat16ELNS0_8NormTypeE0EdLb1EdEEvPKT3_NS0_19TensorListAddressesEi.numbered_sgpr, 16
	.set _ZN2at6native14lpnorm_cleanupIN3c108BFloat16ELNS0_8NormTypeE0EdLb1EdEEvPKT3_NS0_19TensorListAddressesEi.num_named_barrier, 0
	.set _ZN2at6native14lpnorm_cleanupIN3c108BFloat16ELNS0_8NormTypeE0EdLb1EdEEvPKT3_NS0_19TensorListAddressesEi.private_seg_size, 0
	.set _ZN2at6native14lpnorm_cleanupIN3c108BFloat16ELNS0_8NormTypeE0EdLb1EdEEvPKT3_NS0_19TensorListAddressesEi.uses_vcc, 1
	.set _ZN2at6native14lpnorm_cleanupIN3c108BFloat16ELNS0_8NormTypeE0EdLb1EdEEvPKT3_NS0_19TensorListAddressesEi.uses_flat_scratch, 0
	.set _ZN2at6native14lpnorm_cleanupIN3c108BFloat16ELNS0_8NormTypeE0EdLb1EdEEvPKT3_NS0_19TensorListAddressesEi.has_dyn_sized_stack, 0
	.set _ZN2at6native14lpnorm_cleanupIN3c108BFloat16ELNS0_8NormTypeE0EdLb1EdEEvPKT3_NS0_19TensorListAddressesEi.has_recursion, 0
	.set _ZN2at6native14lpnorm_cleanupIN3c108BFloat16ELNS0_8NormTypeE0EdLb1EdEEvPKT3_NS0_19TensorListAddressesEi.has_indirect_call, 0
	.section	.AMDGPU.csdata,"",@progbits
; Kernel info:
; codeLenInByte = 812
; TotalNumSgprs: 22
; NumVgprs: 13
; NumAgprs: 0
; TotalNumVgprs: 13
; ScratchSize: 0
; MemoryBound: 0
; FloatMode: 240
; IeeeMode: 1
; LDSByteSize: 4096 bytes/workgroup (compile time only)
; SGPRBlocks: 2
; VGPRBlocks: 1
; NumSGPRsForWavesPerEU: 22
; NumVGPRsForWavesPerEU: 13
; AccumOffset: 16
; Occupancy: 8
; WaveLimiterHint : 0
; COMPUTE_PGM_RSRC2:SCRATCH_EN: 0
; COMPUTE_PGM_RSRC2:USER_SGPR: 2
; COMPUTE_PGM_RSRC2:TRAP_HANDLER: 0
; COMPUTE_PGM_RSRC2:TGID_X_EN: 1
; COMPUTE_PGM_RSRC2:TGID_Y_EN: 0
; COMPUTE_PGM_RSRC2:TGID_Z_EN: 0
; COMPUTE_PGM_RSRC2:TIDIG_COMP_CNT: 0
; COMPUTE_PGM_RSRC3_GFX90A:ACCUM_OFFSET: 3
; COMPUTE_PGM_RSRC3_GFX90A:TG_SPLIT: 0
	.section	.text._ZN2at6native14lpnorm_cleanupIN3c108BFloat16ELNS0_8NormTypeE1EdLb1EdEEvPKT3_NS0_19TensorListAddressesEi,"axG",@progbits,_ZN2at6native14lpnorm_cleanupIN3c108BFloat16ELNS0_8NormTypeE1EdLb1EdEEvPKT3_NS0_19TensorListAddressesEi,comdat
	.protected	_ZN2at6native14lpnorm_cleanupIN3c108BFloat16ELNS0_8NormTypeE1EdLb1EdEEvPKT3_NS0_19TensorListAddressesEi ; -- Begin function _ZN2at6native14lpnorm_cleanupIN3c108BFloat16ELNS0_8NormTypeE1EdLb1EdEEvPKT3_NS0_19TensorListAddressesEi
	.globl	_ZN2at6native14lpnorm_cleanupIN3c108BFloat16ELNS0_8NormTypeE1EdLb1EdEEvPKT3_NS0_19TensorListAddressesEi
	.p2align	8
	.type	_ZN2at6native14lpnorm_cleanupIN3c108BFloat16ELNS0_8NormTypeE1EdLb1EdEEvPKT3_NS0_19TensorListAddressesEi,@function
_ZN2at6native14lpnorm_cleanupIN3c108BFloat16ELNS0_8NormTypeE1EdLb1EdEEvPKT3_NS0_19TensorListAddressesEi: ; @_ZN2at6native14lpnorm_cleanupIN3c108BFloat16ELNS0_8NormTypeE1EdLb1EdEEvPKT3_NS0_19TensorListAddressesEi
; %bb.0:
	s_load_dword s6, s[0:1], 0xc88
	v_mov_b64_e32 v[2:3], 0
	s_waitcnt lgkmcnt(0)
	v_cmp_gt_u32_e32 vcc, s6, v0
	s_and_saveexec_b64 s[4:5], vcc
	s_cbranch_execz .LBB121_4
; %bb.1:
	s_load_dwordx2 s[12:13], s[0:1], 0x0
	s_load_dword s3, s[0:1], 0xc9c
	s_mul_i32 s8, s6, s2
	s_mov_b32 s9, 0
	s_ashr_i32 s7, s6, 31
	s_lshl_b64 s[14:15], s[8:9], 3
	s_waitcnt lgkmcnt(0)
	s_and_b32 s10, s3, 0xffff
	v_mov_b32_e32 v1, 0
	s_add_u32 s12, s12, s14
	v_lshlrev_b32_e32 v2, 3, v0
	v_mov_b32_e32 v3, v1
	s_addc_u32 s13, s13, s15
	s_mov_b32 s11, s9
	v_lshl_add_u64 v[4:5], s[12:13], 0, v[2:3]
	s_lshl_b32 s8, s10, 3
	v_mov_b64_e32 v[2:3], 0
	s_mov_b64 s[12:13], 0
	v_mov_b64_e32 v[6:7], v[0:1]
.LBB121_2:                              ; =>This Inner Loop Header: Depth=1
	global_load_dwordx2 v[8:9], v[4:5], off
	v_lshl_add_u64 v[6:7], v[6:7], 0, s[10:11]
	v_cmp_le_u64_e32 vcc, s[6:7], v[6:7]
	v_lshl_add_u64 v[4:5], v[4:5], 0, s[8:9]
	s_or_b64 s[12:13], vcc, s[12:13]
	s_waitcnt vmcnt(0)
	v_add_f64 v[2:3], v[2:3], v[8:9]
	s_andn2_b64 exec, exec, s[12:13]
	s_cbranch_execnz .LBB121_2
; %bb.3:
	s_or_b64 exec, exec, s[12:13]
.LBB121_4:
	s_or_b64 exec, exec, s[4:5]
	v_mbcnt_lo_u32_b32 v1, -1, 0
	v_mbcnt_hi_u32_b32 v10, -1, v1
	v_mov_b32_e32 v1, 0x80
	v_lshl_or_b32 v1, v10, 2, v1
	ds_bpermute_b32 v4, v1, v2
	ds_bpermute_b32 v5, v1, v3
	v_and_b32_e32 v12, 63, v10
	v_cmp_gt_u32_e32 vcc, 48, v12
	v_and_b32_e32 v11, 63, v0
	s_waitcnt lgkmcnt(0)
	v_add_f64 v[2:3], v[2:3], v[4:5]
	v_cndmask_b32_e64 v4, 0, 16, vcc
	v_add_lshl_u32 v6, v4, v10, 2
	ds_bpermute_b32 v4, v6, v2
	ds_bpermute_b32 v5, v6, v3
	v_cmp_gt_u32_e32 vcc, 56, v12
	s_barrier
	s_waitcnt lgkmcnt(0)
	v_add_f64 v[2:3], v[2:3], v[4:5]
	v_cndmask_b32_e64 v4, 0, 8, vcc
	v_add_lshl_u32 v7, v4, v10, 2
	ds_bpermute_b32 v4, v7, v2
	ds_bpermute_b32 v5, v7, v3
	v_cmp_gt_u32_e32 vcc, 60, v12
	s_waitcnt lgkmcnt(0)
	v_add_f64 v[2:3], v[2:3], v[4:5]
	v_cndmask_b32_e64 v4, 0, 4, vcc
	v_add_lshl_u32 v8, v4, v10, 2
	ds_bpermute_b32 v4, v8, v2
	ds_bpermute_b32 v5, v8, v3
	v_cmp_gt_u32_e32 vcc, 62, v12
	s_waitcnt lgkmcnt(0)
	v_add_f64 v[2:3], v[2:3], v[4:5]
	v_cndmask_b32_e64 v4, 0, 2, vcc
	v_add_lshl_u32 v9, v4, v10, 2
	ds_bpermute_b32 v4, v9, v2
	ds_bpermute_b32 v5, v9, v3
	v_cmp_ne_u32_e32 vcc, 63, v12
	s_waitcnt lgkmcnt(0)
	v_add_f64 v[2:3], v[2:3], v[4:5]
	v_addc_co_u32_e32 v4, vcc, 0, v10, vcc
	v_lshlrev_b32_e32 v10, 2, v4
	ds_bpermute_b32 v4, v10, v2
	ds_bpermute_b32 v5, v10, v3
	v_cmp_eq_u32_e32 vcc, 0, v11
	s_and_saveexec_b64 s[4:5], vcc
	s_cbranch_execz .LBB121_6
; %bb.5:
	v_lshrrev_b32_e32 v12, 3, v0
	s_waitcnt lgkmcnt(0)
	v_add_f64 v[2:3], v[2:3], v[4:5]
	ds_write_b64 v12, v[2:3]
.LBB121_6:
	s_or_b64 exec, exec, s[4:5]
	s_waitcnt lgkmcnt(0)
	s_barrier
	s_load_dword s3, s[0:1], 0xc9c
	v_mov_b64_e32 v[2:3], 0
	s_waitcnt lgkmcnt(0)
	s_bfe_u32 s3, s3, 0xa0006
	v_cmp_gt_u32_e32 vcc, s3, v0
	s_and_saveexec_b64 s[4:5], vcc
; %bb.7:
	v_lshlrev_b32_e32 v2, 3, v11
	ds_read_b64 v[2:3], v2
; %bb.8:
	s_or_b64 exec, exec, s[4:5]
	v_cmp_gt_u32_e32 vcc, 64, v0
	s_and_saveexec_b64 s[4:5], vcc
	s_cbranch_execz .LBB121_10
; %bb.9:
	s_waitcnt lgkmcnt(0)
	ds_bpermute_b32 v4, v1, v2
	ds_bpermute_b32 v5, v1, v3
	s_waitcnt lgkmcnt(0)
	v_add_f64 v[2:3], v[2:3], v[4:5]
	ds_bpermute_b32 v4, v6, v2
	ds_bpermute_b32 v5, v6, v3
	s_waitcnt lgkmcnt(0)
	v_add_f64 v[2:3], v[2:3], v[4:5]
	;; [unrolled: 4-line block ×6, first 2 shown]
.LBB121_10:
	s_or_b64 exec, exec, s[4:5]
	s_mov_b32 s3, 0
	v_cmp_eq_u32_e32 vcc, 0, v0
	s_and_saveexec_b64 s[4:5], vcc
	s_cbranch_execz .LBB121_12
; %bb.11:
	s_lshl_b64 s[2:3], s[2:3], 3
	s_add_u32 s0, s0, s2
	s_addc_u32 s1, s1, s3
	s_load_dwordx2 s[0:1], s[0:1], 0x8
	v_mov_b32_e32 v0, 0
	s_waitcnt lgkmcnt(0)
	global_store_dwordx2 v0, v[2:3], s[0:1]
.LBB121_12:
	s_endpgm
	.section	.rodata,"a",@progbits
	.p2align	6, 0x0
	.amdhsa_kernel _ZN2at6native14lpnorm_cleanupIN3c108BFloat16ELNS0_8NormTypeE1EdLb1EdEEvPKT3_NS0_19TensorListAddressesEi
		.amdhsa_group_segment_fixed_size 4096
		.amdhsa_private_segment_fixed_size 0
		.amdhsa_kernarg_size 3472
		.amdhsa_user_sgpr_count 2
		.amdhsa_user_sgpr_dispatch_ptr 0
		.amdhsa_user_sgpr_queue_ptr 0
		.amdhsa_user_sgpr_kernarg_segment_ptr 1
		.amdhsa_user_sgpr_dispatch_id 0
		.amdhsa_user_sgpr_kernarg_preload_length 0
		.amdhsa_user_sgpr_kernarg_preload_offset 0
		.amdhsa_user_sgpr_private_segment_size 0
		.amdhsa_uses_dynamic_stack 0
		.amdhsa_enable_private_segment 0
		.amdhsa_system_sgpr_workgroup_id_x 1
		.amdhsa_system_sgpr_workgroup_id_y 0
		.amdhsa_system_sgpr_workgroup_id_z 0
		.amdhsa_system_sgpr_workgroup_info 0
		.amdhsa_system_vgpr_workitem_id 0
		.amdhsa_next_free_vgpr 13
		.amdhsa_next_free_sgpr 16
		.amdhsa_accum_offset 16
		.amdhsa_reserve_vcc 1
		.amdhsa_float_round_mode_32 0
		.amdhsa_float_round_mode_16_64 0
		.amdhsa_float_denorm_mode_32 3
		.amdhsa_float_denorm_mode_16_64 3
		.amdhsa_dx10_clamp 1
		.amdhsa_ieee_mode 1
		.amdhsa_fp16_overflow 0
		.amdhsa_tg_split 0
		.amdhsa_exception_fp_ieee_invalid_op 0
		.amdhsa_exception_fp_denorm_src 0
		.amdhsa_exception_fp_ieee_div_zero 0
		.amdhsa_exception_fp_ieee_overflow 0
		.amdhsa_exception_fp_ieee_underflow 0
		.amdhsa_exception_fp_ieee_inexact 0
		.amdhsa_exception_int_div_zero 0
	.end_amdhsa_kernel
	.section	.text._ZN2at6native14lpnorm_cleanupIN3c108BFloat16ELNS0_8NormTypeE1EdLb1EdEEvPKT3_NS0_19TensorListAddressesEi,"axG",@progbits,_ZN2at6native14lpnorm_cleanupIN3c108BFloat16ELNS0_8NormTypeE1EdLb1EdEEvPKT3_NS0_19TensorListAddressesEi,comdat
.Lfunc_end121:
	.size	_ZN2at6native14lpnorm_cleanupIN3c108BFloat16ELNS0_8NormTypeE1EdLb1EdEEvPKT3_NS0_19TensorListAddressesEi, .Lfunc_end121-_ZN2at6native14lpnorm_cleanupIN3c108BFloat16ELNS0_8NormTypeE1EdLb1EdEEvPKT3_NS0_19TensorListAddressesEi
                                        ; -- End function
	.set _ZN2at6native14lpnorm_cleanupIN3c108BFloat16ELNS0_8NormTypeE1EdLb1EdEEvPKT3_NS0_19TensorListAddressesEi.num_vgpr, 13
	.set _ZN2at6native14lpnorm_cleanupIN3c108BFloat16ELNS0_8NormTypeE1EdLb1EdEEvPKT3_NS0_19TensorListAddressesEi.num_agpr, 0
	.set _ZN2at6native14lpnorm_cleanupIN3c108BFloat16ELNS0_8NormTypeE1EdLb1EdEEvPKT3_NS0_19TensorListAddressesEi.numbered_sgpr, 16
	.set _ZN2at6native14lpnorm_cleanupIN3c108BFloat16ELNS0_8NormTypeE1EdLb1EdEEvPKT3_NS0_19TensorListAddressesEi.num_named_barrier, 0
	.set _ZN2at6native14lpnorm_cleanupIN3c108BFloat16ELNS0_8NormTypeE1EdLb1EdEEvPKT3_NS0_19TensorListAddressesEi.private_seg_size, 0
	.set _ZN2at6native14lpnorm_cleanupIN3c108BFloat16ELNS0_8NormTypeE1EdLb1EdEEvPKT3_NS0_19TensorListAddressesEi.uses_vcc, 1
	.set _ZN2at6native14lpnorm_cleanupIN3c108BFloat16ELNS0_8NormTypeE1EdLb1EdEEvPKT3_NS0_19TensorListAddressesEi.uses_flat_scratch, 0
	.set _ZN2at6native14lpnorm_cleanupIN3c108BFloat16ELNS0_8NormTypeE1EdLb1EdEEvPKT3_NS0_19TensorListAddressesEi.has_dyn_sized_stack, 0
	.set _ZN2at6native14lpnorm_cleanupIN3c108BFloat16ELNS0_8NormTypeE1EdLb1EdEEvPKT3_NS0_19TensorListAddressesEi.has_recursion, 0
	.set _ZN2at6native14lpnorm_cleanupIN3c108BFloat16ELNS0_8NormTypeE1EdLb1EdEEvPKT3_NS0_19TensorListAddressesEi.has_indirect_call, 0
	.section	.AMDGPU.csdata,"",@progbits
; Kernel info:
; codeLenInByte = 812
; TotalNumSgprs: 22
; NumVgprs: 13
; NumAgprs: 0
; TotalNumVgprs: 13
; ScratchSize: 0
; MemoryBound: 0
; FloatMode: 240
; IeeeMode: 1
; LDSByteSize: 4096 bytes/workgroup (compile time only)
; SGPRBlocks: 2
; VGPRBlocks: 1
; NumSGPRsForWavesPerEU: 22
; NumVGPRsForWavesPerEU: 13
; AccumOffset: 16
; Occupancy: 8
; WaveLimiterHint : 0
; COMPUTE_PGM_RSRC2:SCRATCH_EN: 0
; COMPUTE_PGM_RSRC2:USER_SGPR: 2
; COMPUTE_PGM_RSRC2:TRAP_HANDLER: 0
; COMPUTE_PGM_RSRC2:TGID_X_EN: 1
; COMPUTE_PGM_RSRC2:TGID_Y_EN: 0
; COMPUTE_PGM_RSRC2:TGID_Z_EN: 0
; COMPUTE_PGM_RSRC2:TIDIG_COMP_CNT: 0
; COMPUTE_PGM_RSRC3_GFX90A:ACCUM_OFFSET: 3
; COMPUTE_PGM_RSRC3_GFX90A:TG_SPLIT: 0
	.section	.text._ZN2at6native14lpnorm_cleanupIN3c108BFloat16ELNS0_8NormTypeE2EdLb1EdEEvPKT3_NS0_19TensorListAddressesEi,"axG",@progbits,_ZN2at6native14lpnorm_cleanupIN3c108BFloat16ELNS0_8NormTypeE2EdLb1EdEEvPKT3_NS0_19TensorListAddressesEi,comdat
	.protected	_ZN2at6native14lpnorm_cleanupIN3c108BFloat16ELNS0_8NormTypeE2EdLb1EdEEvPKT3_NS0_19TensorListAddressesEi ; -- Begin function _ZN2at6native14lpnorm_cleanupIN3c108BFloat16ELNS0_8NormTypeE2EdLb1EdEEvPKT3_NS0_19TensorListAddressesEi
	.globl	_ZN2at6native14lpnorm_cleanupIN3c108BFloat16ELNS0_8NormTypeE2EdLb1EdEEvPKT3_NS0_19TensorListAddressesEi
	.p2align	8
	.type	_ZN2at6native14lpnorm_cleanupIN3c108BFloat16ELNS0_8NormTypeE2EdLb1EdEEvPKT3_NS0_19TensorListAddressesEi,@function
_ZN2at6native14lpnorm_cleanupIN3c108BFloat16ELNS0_8NormTypeE2EdLb1EdEEvPKT3_NS0_19TensorListAddressesEi: ; @_ZN2at6native14lpnorm_cleanupIN3c108BFloat16ELNS0_8NormTypeE2EdLb1EdEEvPKT3_NS0_19TensorListAddressesEi
; %bb.0:
	s_load_dword s6, s[0:1], 0xc88
	v_mov_b64_e32 v[2:3], 0
	s_waitcnt lgkmcnt(0)
	v_cmp_gt_u32_e32 vcc, s6, v0
	s_and_saveexec_b64 s[4:5], vcc
	s_cbranch_execz .LBB122_4
; %bb.1:
	s_load_dwordx2 s[12:13], s[0:1], 0x0
	s_load_dword s3, s[0:1], 0xc9c
	s_mul_i32 s8, s6, s2
	s_mov_b32 s9, 0
	s_ashr_i32 s7, s6, 31
	s_lshl_b64 s[14:15], s[8:9], 3
	s_waitcnt lgkmcnt(0)
	s_and_b32 s10, s3, 0xffff
	v_mov_b32_e32 v1, 0
	s_add_u32 s12, s12, s14
	v_lshlrev_b32_e32 v2, 3, v0
	v_mov_b32_e32 v3, v1
	s_addc_u32 s13, s13, s15
	s_mov_b32 s11, s9
	v_lshl_add_u64 v[4:5], s[12:13], 0, v[2:3]
	s_lshl_b32 s8, s10, 3
	v_mov_b64_e32 v[2:3], 0
	s_mov_b64 s[12:13], 0
	v_mov_b64_e32 v[6:7], v[0:1]
.LBB122_2:                              ; =>This Inner Loop Header: Depth=1
	global_load_dwordx2 v[8:9], v[4:5], off
	v_lshl_add_u64 v[6:7], v[6:7], 0, s[10:11]
	v_cmp_le_u64_e32 vcc, s[6:7], v[6:7]
	v_lshl_add_u64 v[4:5], v[4:5], 0, s[8:9]
	s_or_b64 s[12:13], vcc, s[12:13]
	s_waitcnt vmcnt(0)
	v_add_f64 v[2:3], v[2:3], v[8:9]
	s_andn2_b64 exec, exec, s[12:13]
	s_cbranch_execnz .LBB122_2
; %bb.3:
	s_or_b64 exec, exec, s[12:13]
.LBB122_4:
	s_or_b64 exec, exec, s[4:5]
	v_mbcnt_lo_u32_b32 v1, -1, 0
	v_mbcnt_hi_u32_b32 v10, -1, v1
	v_mov_b32_e32 v1, 0x80
	v_lshl_or_b32 v1, v10, 2, v1
	ds_bpermute_b32 v4, v1, v2
	ds_bpermute_b32 v5, v1, v3
	v_and_b32_e32 v12, 63, v10
	v_cmp_gt_u32_e32 vcc, 48, v12
	v_and_b32_e32 v11, 63, v0
	s_waitcnt lgkmcnt(0)
	v_add_f64 v[2:3], v[2:3], v[4:5]
	v_cndmask_b32_e64 v4, 0, 16, vcc
	v_add_lshl_u32 v6, v4, v10, 2
	ds_bpermute_b32 v4, v6, v2
	ds_bpermute_b32 v5, v6, v3
	v_cmp_gt_u32_e32 vcc, 56, v12
	s_barrier
	s_waitcnt lgkmcnt(0)
	v_add_f64 v[2:3], v[2:3], v[4:5]
	v_cndmask_b32_e64 v4, 0, 8, vcc
	v_add_lshl_u32 v7, v4, v10, 2
	ds_bpermute_b32 v4, v7, v2
	ds_bpermute_b32 v5, v7, v3
	v_cmp_gt_u32_e32 vcc, 60, v12
	s_waitcnt lgkmcnt(0)
	v_add_f64 v[2:3], v[2:3], v[4:5]
	v_cndmask_b32_e64 v4, 0, 4, vcc
	v_add_lshl_u32 v8, v4, v10, 2
	ds_bpermute_b32 v4, v8, v2
	ds_bpermute_b32 v5, v8, v3
	v_cmp_gt_u32_e32 vcc, 62, v12
	s_waitcnt lgkmcnt(0)
	v_add_f64 v[2:3], v[2:3], v[4:5]
	v_cndmask_b32_e64 v4, 0, 2, vcc
	v_add_lshl_u32 v9, v4, v10, 2
	ds_bpermute_b32 v4, v9, v2
	ds_bpermute_b32 v5, v9, v3
	v_cmp_ne_u32_e32 vcc, 63, v12
	s_waitcnt lgkmcnt(0)
	v_add_f64 v[2:3], v[2:3], v[4:5]
	v_addc_co_u32_e32 v4, vcc, 0, v10, vcc
	v_lshlrev_b32_e32 v10, 2, v4
	ds_bpermute_b32 v4, v10, v2
	ds_bpermute_b32 v5, v10, v3
	v_cmp_eq_u32_e32 vcc, 0, v11
	s_and_saveexec_b64 s[4:5], vcc
	s_cbranch_execz .LBB122_6
; %bb.5:
	v_lshrrev_b32_e32 v12, 3, v0
	s_waitcnt lgkmcnt(0)
	v_add_f64 v[2:3], v[2:3], v[4:5]
	ds_write_b64 v12, v[2:3]
.LBB122_6:
	s_or_b64 exec, exec, s[4:5]
	s_waitcnt lgkmcnt(0)
	s_barrier
	s_load_dword s3, s[0:1], 0xc9c
	v_mov_b64_e32 v[2:3], 0
	s_waitcnt lgkmcnt(0)
	s_bfe_u32 s3, s3, 0xa0006
	v_cmp_gt_u32_e32 vcc, s3, v0
	s_and_saveexec_b64 s[4:5], vcc
; %bb.7:
	v_lshlrev_b32_e32 v2, 3, v11
	ds_read_b64 v[2:3], v2
; %bb.8:
	s_or_b64 exec, exec, s[4:5]
	v_cmp_gt_u32_e32 vcc, 64, v0
	s_and_saveexec_b64 s[4:5], vcc
	s_cbranch_execz .LBB122_10
; %bb.9:
	s_waitcnt lgkmcnt(0)
	ds_bpermute_b32 v4, v1, v2
	ds_bpermute_b32 v5, v1, v3
	s_waitcnt lgkmcnt(0)
	v_add_f64 v[2:3], v[2:3], v[4:5]
	ds_bpermute_b32 v4, v6, v2
	ds_bpermute_b32 v5, v6, v3
	s_waitcnt lgkmcnt(0)
	v_add_f64 v[2:3], v[2:3], v[4:5]
	;; [unrolled: 4-line block ×6, first 2 shown]
.LBB122_10:
	s_or_b64 exec, exec, s[4:5]
	s_mov_b32 s3, 0
	v_cmp_eq_u32_e32 vcc, 0, v0
	s_and_saveexec_b64 s[4:5], vcc
	s_cbranch_execz .LBB122_12
; %bb.11:
	s_mov_b32 s4, 0
	s_brev_b32 s5, 8
	v_mov_b32_e32 v0, 0x100
	s_waitcnt lgkmcnt(0)
	v_cmp_gt_f64_e32 vcc, s[4:5], v[2:3]
	s_lshl_b64 s[2:3], s[2:3], 3
	s_add_u32 s0, s0, s2
	v_cndmask_b32_e32 v0, 0, v0, vcc
	v_ldexp_f64 v[0:1], v[2:3], v0
	v_rsq_f64_e32 v[2:3], v[0:1]
	s_addc_u32 s1, s1, s3
	s_load_dwordx2 s[0:1], s[0:1], 0x8
	v_mul_f64 v[4:5], v[0:1], v[2:3]
	v_mul_f64 v[2:3], v[2:3], 0.5
	v_fma_f64 v[6:7], -v[2:3], v[4:5], 0.5
	v_fmac_f64_e32 v[4:5], v[4:5], v[6:7]
	v_fma_f64 v[8:9], -v[4:5], v[4:5], v[0:1]
	v_fmac_f64_e32 v[2:3], v[2:3], v[6:7]
	v_fmac_f64_e32 v[4:5], v[8:9], v[2:3]
	v_fma_f64 v[6:7], -v[4:5], v[4:5], v[0:1]
	v_fmac_f64_e32 v[4:5], v[6:7], v[2:3]
	v_mov_b32_e32 v2, 0xffffff80
	v_cndmask_b32_e32 v2, 0, v2, vcc
	v_ldexp_f64 v[2:3], v[4:5], v2
	v_mov_b32_e32 v4, 0x260
	v_cmp_class_f64_e32 vcc, v[0:1], v4
	s_nop 1
	v_cndmask_b32_e32 v1, v3, v1, vcc
	v_cndmask_b32_e32 v0, v2, v0, vcc
	v_mov_b32_e32 v2, 0
	s_waitcnt lgkmcnt(0)
	global_store_dwordx2 v2, v[0:1], s[0:1]
.LBB122_12:
	s_endpgm
	.section	.rodata,"a",@progbits
	.p2align	6, 0x0
	.amdhsa_kernel _ZN2at6native14lpnorm_cleanupIN3c108BFloat16ELNS0_8NormTypeE2EdLb1EdEEvPKT3_NS0_19TensorListAddressesEi
		.amdhsa_group_segment_fixed_size 4096
		.amdhsa_private_segment_fixed_size 0
		.amdhsa_kernarg_size 3472
		.amdhsa_user_sgpr_count 2
		.amdhsa_user_sgpr_dispatch_ptr 0
		.amdhsa_user_sgpr_queue_ptr 0
		.amdhsa_user_sgpr_kernarg_segment_ptr 1
		.amdhsa_user_sgpr_dispatch_id 0
		.amdhsa_user_sgpr_kernarg_preload_length 0
		.amdhsa_user_sgpr_kernarg_preload_offset 0
		.amdhsa_user_sgpr_private_segment_size 0
		.amdhsa_uses_dynamic_stack 0
		.amdhsa_enable_private_segment 0
		.amdhsa_system_sgpr_workgroup_id_x 1
		.amdhsa_system_sgpr_workgroup_id_y 0
		.amdhsa_system_sgpr_workgroup_id_z 0
		.amdhsa_system_sgpr_workgroup_info 0
		.amdhsa_system_vgpr_workitem_id 0
		.amdhsa_next_free_vgpr 13
		.amdhsa_next_free_sgpr 16
		.amdhsa_accum_offset 16
		.amdhsa_reserve_vcc 1
		.amdhsa_float_round_mode_32 0
		.amdhsa_float_round_mode_16_64 0
		.amdhsa_float_denorm_mode_32 3
		.amdhsa_float_denorm_mode_16_64 3
		.amdhsa_dx10_clamp 1
		.amdhsa_ieee_mode 1
		.amdhsa_fp16_overflow 0
		.amdhsa_tg_split 0
		.amdhsa_exception_fp_ieee_invalid_op 0
		.amdhsa_exception_fp_denorm_src 0
		.amdhsa_exception_fp_ieee_div_zero 0
		.amdhsa_exception_fp_ieee_overflow 0
		.amdhsa_exception_fp_ieee_underflow 0
		.amdhsa_exception_fp_ieee_inexact 0
		.amdhsa_exception_int_div_zero 0
	.end_amdhsa_kernel
	.section	.text._ZN2at6native14lpnorm_cleanupIN3c108BFloat16ELNS0_8NormTypeE2EdLb1EdEEvPKT3_NS0_19TensorListAddressesEi,"axG",@progbits,_ZN2at6native14lpnorm_cleanupIN3c108BFloat16ELNS0_8NormTypeE2EdLb1EdEEvPKT3_NS0_19TensorListAddressesEi,comdat
.Lfunc_end122:
	.size	_ZN2at6native14lpnorm_cleanupIN3c108BFloat16ELNS0_8NormTypeE2EdLb1EdEEvPKT3_NS0_19TensorListAddressesEi, .Lfunc_end122-_ZN2at6native14lpnorm_cleanupIN3c108BFloat16ELNS0_8NormTypeE2EdLb1EdEEvPKT3_NS0_19TensorListAddressesEi
                                        ; -- End function
	.set _ZN2at6native14lpnorm_cleanupIN3c108BFloat16ELNS0_8NormTypeE2EdLb1EdEEvPKT3_NS0_19TensorListAddressesEi.num_vgpr, 13
	.set _ZN2at6native14lpnorm_cleanupIN3c108BFloat16ELNS0_8NormTypeE2EdLb1EdEEvPKT3_NS0_19TensorListAddressesEi.num_agpr, 0
	.set _ZN2at6native14lpnorm_cleanupIN3c108BFloat16ELNS0_8NormTypeE2EdLb1EdEEvPKT3_NS0_19TensorListAddressesEi.numbered_sgpr, 16
	.set _ZN2at6native14lpnorm_cleanupIN3c108BFloat16ELNS0_8NormTypeE2EdLb1EdEEvPKT3_NS0_19TensorListAddressesEi.num_named_barrier, 0
	.set _ZN2at6native14lpnorm_cleanupIN3c108BFloat16ELNS0_8NormTypeE2EdLb1EdEEvPKT3_NS0_19TensorListAddressesEi.private_seg_size, 0
	.set _ZN2at6native14lpnorm_cleanupIN3c108BFloat16ELNS0_8NormTypeE2EdLb1EdEEvPKT3_NS0_19TensorListAddressesEi.uses_vcc, 1
	.set _ZN2at6native14lpnorm_cleanupIN3c108BFloat16ELNS0_8NormTypeE2EdLb1EdEEvPKT3_NS0_19TensorListAddressesEi.uses_flat_scratch, 0
	.set _ZN2at6native14lpnorm_cleanupIN3c108BFloat16ELNS0_8NormTypeE2EdLb1EdEEvPKT3_NS0_19TensorListAddressesEi.has_dyn_sized_stack, 0
	.set _ZN2at6native14lpnorm_cleanupIN3c108BFloat16ELNS0_8NormTypeE2EdLb1EdEEvPKT3_NS0_19TensorListAddressesEi.has_recursion, 0
	.set _ZN2at6native14lpnorm_cleanupIN3c108BFloat16ELNS0_8NormTypeE2EdLb1EdEEvPKT3_NS0_19TensorListAddressesEi.has_indirect_call, 0
	.section	.AMDGPU.csdata,"",@progbits
; Kernel info:
; codeLenInByte = 952
; TotalNumSgprs: 22
; NumVgprs: 13
; NumAgprs: 0
; TotalNumVgprs: 13
; ScratchSize: 0
; MemoryBound: 0
; FloatMode: 240
; IeeeMode: 1
; LDSByteSize: 4096 bytes/workgroup (compile time only)
; SGPRBlocks: 2
; VGPRBlocks: 1
; NumSGPRsForWavesPerEU: 22
; NumVGPRsForWavesPerEU: 13
; AccumOffset: 16
; Occupancy: 8
; WaveLimiterHint : 0
; COMPUTE_PGM_RSRC2:SCRATCH_EN: 0
; COMPUTE_PGM_RSRC2:USER_SGPR: 2
; COMPUTE_PGM_RSRC2:TRAP_HANDLER: 0
; COMPUTE_PGM_RSRC2:TGID_X_EN: 1
; COMPUTE_PGM_RSRC2:TGID_Y_EN: 0
; COMPUTE_PGM_RSRC2:TGID_Z_EN: 0
; COMPUTE_PGM_RSRC2:TIDIG_COMP_CNT: 0
; COMPUTE_PGM_RSRC3_GFX90A:ACCUM_OFFSET: 3
; COMPUTE_PGM_RSRC3_GFX90A:TG_SPLIT: 0
	.section	.text._ZN2at6native14lpnorm_cleanupIN3c108BFloat16ELNS0_8NormTypeE3EdLb1EdEEvPKT3_NS0_19TensorListAddressesEi,"axG",@progbits,_ZN2at6native14lpnorm_cleanupIN3c108BFloat16ELNS0_8NormTypeE3EdLb1EdEEvPKT3_NS0_19TensorListAddressesEi,comdat
	.protected	_ZN2at6native14lpnorm_cleanupIN3c108BFloat16ELNS0_8NormTypeE3EdLb1EdEEvPKT3_NS0_19TensorListAddressesEi ; -- Begin function _ZN2at6native14lpnorm_cleanupIN3c108BFloat16ELNS0_8NormTypeE3EdLb1EdEEvPKT3_NS0_19TensorListAddressesEi
	.globl	_ZN2at6native14lpnorm_cleanupIN3c108BFloat16ELNS0_8NormTypeE3EdLb1EdEEvPKT3_NS0_19TensorListAddressesEi
	.p2align	8
	.type	_ZN2at6native14lpnorm_cleanupIN3c108BFloat16ELNS0_8NormTypeE3EdLb1EdEEvPKT3_NS0_19TensorListAddressesEi,@function
_ZN2at6native14lpnorm_cleanupIN3c108BFloat16ELNS0_8NormTypeE3EdLb1EdEEvPKT3_NS0_19TensorListAddressesEi: ; @_ZN2at6native14lpnorm_cleanupIN3c108BFloat16ELNS0_8NormTypeE3EdLb1EdEEvPKT3_NS0_19TensorListAddressesEi
; %bb.0:
	s_load_dword s10, s[0:1], 0xc88
	v_mov_b64_e32 v[2:3], 0
	s_waitcnt lgkmcnt(0)
	v_cmp_gt_u32_e32 vcc, s10, v0
	s_and_saveexec_b64 s[8:9], vcc
	s_cbranch_execz .LBB123_4
; %bb.1:
	s_load_dwordx2 s[4:5], s[0:1], 0x0
	s_load_dword s3, s[0:1], 0xc9c
	s_mul_i32 s12, s10, s2
	s_mov_b32 s13, 0
	s_ashr_i32 s11, s10, 31
	s_lshl_b64 s[6:7], s[12:13], 3
	s_waitcnt lgkmcnt(0)
	s_and_b32 s14, s3, 0xffff
	v_mov_b32_e32 v1, 0
	s_add_u32 s4, s4, s6
	v_lshlrev_b32_e32 v2, 3, v0
	v_mov_b32_e32 v3, v1
	s_addc_u32 s5, s5, s7
	s_mov_b32 s15, s13
	v_lshl_add_u64 v[4:5], s[4:5], 0, v[2:3]
	s_lshl_b32 s12, s14, 3
	v_mov_b64_e32 v[2:3], 0
	s_mov_b64 s[16:17], 0
	v_mov_b64_e32 v[6:7], v[0:1]
.LBB123_2:                              ; =>This Inner Loop Header: Depth=1
	global_load_dwordx2 v[8:9], v[4:5], off
	v_lshl_add_u64 v[6:7], v[6:7], 0, s[14:15]
	v_cmp_le_u64_e32 vcc, s[10:11], v[6:7]
	v_lshl_add_u64 v[4:5], v[4:5], 0, s[12:13]
	s_waitcnt vmcnt(0)
	v_cmp_u_f64_e64 s[4:5], v[8:9], v[8:9]
	v_cmp_lt_f64_e64 s[6:7], v[2:3], v[8:9]
	s_or_b64 s[4:5], s[4:5], s[6:7]
	v_cndmask_b32_e64 v3, v3, v9, s[4:5]
	s_or_b64 s[16:17], vcc, s[16:17]
	v_cndmask_b32_e64 v2, v2, v8, s[4:5]
	s_andn2_b64 exec, exec, s[16:17]
	s_cbranch_execnz .LBB123_2
; %bb.3:
	s_or_b64 exec, exec, s[16:17]
.LBB123_4:
	s_or_b64 exec, exec, s[8:9]
	v_mbcnt_lo_u32_b32 v1, -1, 0
	v_mbcnt_hi_u32_b32 v10, -1, v1
	v_mov_b32_e32 v1, 0x80
	v_lshl_or_b32 v1, v10, 2, v1
	ds_bpermute_b32 v4, v1, v2
	ds_bpermute_b32 v5, v1, v3
	v_and_b32_e32 v12, 63, v10
	v_and_b32_e32 v11, 63, v0
	s_waitcnt lgkmcnt(0)
	s_barrier
	v_cmp_u_f64_e32 vcc, v[4:5], v[4:5]
	v_cmp_lt_f64_e64 s[4:5], v[2:3], v[4:5]
	s_or_b64 vcc, vcc, s[4:5]
	v_cndmask_b32_e32 v3, v3, v5, vcc
	v_cndmask_b32_e32 v2, v2, v4, vcc
	v_cmp_gt_u32_e32 vcc, 48, v12
	s_nop 1
	v_cndmask_b32_e64 v4, 0, 16, vcc
	v_add_lshl_u32 v6, v4, v10, 2
	ds_bpermute_b32 v4, v6, v2
	ds_bpermute_b32 v5, v6, v3
	s_waitcnt lgkmcnt(0)
	v_cmp_u_f64_e32 vcc, v[4:5], v[4:5]
	v_cmp_lt_f64_e64 s[4:5], v[2:3], v[4:5]
	s_or_b64 vcc, vcc, s[4:5]
	v_cndmask_b32_e32 v3, v3, v5, vcc
	v_cndmask_b32_e32 v2, v2, v4, vcc
	v_cmp_gt_u32_e32 vcc, 56, v12
	s_nop 1
	v_cndmask_b32_e64 v4, 0, 8, vcc
	v_add_lshl_u32 v7, v4, v10, 2
	ds_bpermute_b32 v4, v7, v2
	ds_bpermute_b32 v5, v7, v3
	s_waitcnt lgkmcnt(0)
	v_cmp_u_f64_e32 vcc, v[4:5], v[4:5]
	v_cmp_lt_f64_e64 s[4:5], v[2:3], v[4:5]
	s_or_b64 vcc, vcc, s[4:5]
	v_cndmask_b32_e32 v3, v3, v5, vcc
	v_cndmask_b32_e32 v2, v2, v4, vcc
	v_cmp_gt_u32_e32 vcc, 60, v12
	s_nop 1
	v_cndmask_b32_e64 v4, 0, 4, vcc
	v_add_lshl_u32 v8, v4, v10, 2
	ds_bpermute_b32 v4, v8, v2
	ds_bpermute_b32 v5, v8, v3
	s_waitcnt lgkmcnt(0)
	v_cmp_u_f64_e32 vcc, v[4:5], v[4:5]
	v_cmp_lt_f64_e64 s[4:5], v[2:3], v[4:5]
	s_or_b64 vcc, vcc, s[4:5]
	v_cndmask_b32_e32 v3, v3, v5, vcc
	v_cndmask_b32_e32 v2, v2, v4, vcc
	v_cmp_gt_u32_e32 vcc, 62, v12
	s_nop 1
	v_cndmask_b32_e64 v4, 0, 2, vcc
	v_add_lshl_u32 v9, v4, v10, 2
	ds_bpermute_b32 v4, v9, v2
	ds_bpermute_b32 v5, v9, v3
	s_waitcnt lgkmcnt(0)
	v_cmp_u_f64_e32 vcc, v[4:5], v[4:5]
	v_cmp_lt_f64_e64 s[4:5], v[2:3], v[4:5]
	s_or_b64 vcc, vcc, s[4:5]
	v_cndmask_b32_e32 v3, v3, v5, vcc
	v_cndmask_b32_e32 v2, v2, v4, vcc
	v_cmp_ne_u32_e32 vcc, 63, v12
	s_nop 1
	v_addc_co_u32_e32 v4, vcc, 0, v10, vcc
	v_lshlrev_b32_e32 v10, 2, v4
	ds_bpermute_b32 v4, v10, v2
	ds_bpermute_b32 v5, v10, v3
	v_cmp_eq_u32_e32 vcc, 0, v11
	s_and_saveexec_b64 s[6:7], vcc
	s_cbranch_execz .LBB123_6
; %bb.5:
	s_waitcnt lgkmcnt(0)
	v_cmp_u_f64_e32 vcc, v[4:5], v[4:5]
	v_cmp_lt_f64_e64 s[4:5], v[2:3], v[4:5]
	s_or_b64 vcc, vcc, s[4:5]
	v_lshrrev_b32_e32 v12, 3, v0
	v_cndmask_b32_e32 v3, v3, v5, vcc
	v_cndmask_b32_e32 v2, v2, v4, vcc
	ds_write_b64 v12, v[2:3]
.LBB123_6:
	s_or_b64 exec, exec, s[6:7]
	s_waitcnt lgkmcnt(0)
	s_barrier
	s_load_dword s3, s[0:1], 0xc9c
	v_mov_b32_e32 v2, -1
	v_mov_b32_e32 v3, 0xffefffff
	s_waitcnt lgkmcnt(0)
	s_bfe_u32 s3, s3, 0xa0006
	v_cmp_gt_u32_e32 vcc, s3, v0
	s_and_saveexec_b64 s[4:5], vcc
; %bb.7:
	v_lshlrev_b32_e32 v2, 3, v11
	ds_read_b64 v[2:3], v2
; %bb.8:
	s_or_b64 exec, exec, s[4:5]
	v_cmp_gt_u32_e32 vcc, 64, v0
	s_and_saveexec_b64 s[6:7], vcc
	s_cbranch_execz .LBB123_10
; %bb.9:
	s_waitcnt lgkmcnt(0)
	ds_bpermute_b32 v4, v1, v2
	ds_bpermute_b32 v5, v1, v3
	s_waitcnt lgkmcnt(0)
	v_cmp_u_f64_e32 vcc, v[4:5], v[4:5]
	v_cmp_lt_f64_e64 s[4:5], v[2:3], v[4:5]
	s_or_b64 vcc, vcc, s[4:5]
	v_cndmask_b32_e32 v3, v3, v5, vcc
	v_cndmask_b32_e32 v2, v2, v4, vcc
	ds_bpermute_b32 v5, v6, v3
	ds_bpermute_b32 v4, v6, v2
	s_waitcnt lgkmcnt(0)
	v_cmp_u_f64_e32 vcc, v[4:5], v[4:5]
	v_cmp_lt_f64_e64 s[4:5], v[2:3], v[4:5]
	s_or_b64 vcc, vcc, s[4:5]
	v_cndmask_b32_e32 v3, v3, v5, vcc
	v_cndmask_b32_e32 v2, v2, v4, vcc
	;; [unrolled: 8-line block ×6, first 2 shown]
.LBB123_10:
	s_or_b64 exec, exec, s[6:7]
	s_mov_b32 s3, 0
	v_cmp_eq_u32_e32 vcc, 0, v0
	s_and_saveexec_b64 s[4:5], vcc
	s_cbranch_execz .LBB123_12
; %bb.11:
	s_lshl_b64 s[2:3], s[2:3], 3
	s_add_u32 s0, s0, s2
	s_addc_u32 s1, s1, s3
	s_load_dwordx2 s[0:1], s[0:1], 0x8
	v_mov_b32_e32 v0, 0
	s_waitcnt lgkmcnt(0)
	global_store_dwordx2 v0, v[2:3], s[0:1]
.LBB123_12:
	s_endpgm
	.section	.rodata,"a",@progbits
	.p2align	6, 0x0
	.amdhsa_kernel _ZN2at6native14lpnorm_cleanupIN3c108BFloat16ELNS0_8NormTypeE3EdLb1EdEEvPKT3_NS0_19TensorListAddressesEi
		.amdhsa_group_segment_fixed_size 4096
		.amdhsa_private_segment_fixed_size 0
		.amdhsa_kernarg_size 3472
		.amdhsa_user_sgpr_count 2
		.amdhsa_user_sgpr_dispatch_ptr 0
		.amdhsa_user_sgpr_queue_ptr 0
		.amdhsa_user_sgpr_kernarg_segment_ptr 1
		.amdhsa_user_sgpr_dispatch_id 0
		.amdhsa_user_sgpr_kernarg_preload_length 0
		.amdhsa_user_sgpr_kernarg_preload_offset 0
		.amdhsa_user_sgpr_private_segment_size 0
		.amdhsa_uses_dynamic_stack 0
		.amdhsa_enable_private_segment 0
		.amdhsa_system_sgpr_workgroup_id_x 1
		.amdhsa_system_sgpr_workgroup_id_y 0
		.amdhsa_system_sgpr_workgroup_id_z 0
		.amdhsa_system_sgpr_workgroup_info 0
		.amdhsa_system_vgpr_workitem_id 0
		.amdhsa_next_free_vgpr 13
		.amdhsa_next_free_sgpr 18
		.amdhsa_accum_offset 16
		.amdhsa_reserve_vcc 1
		.amdhsa_float_round_mode_32 0
		.amdhsa_float_round_mode_16_64 0
		.amdhsa_float_denorm_mode_32 3
		.amdhsa_float_denorm_mode_16_64 3
		.amdhsa_dx10_clamp 1
		.amdhsa_ieee_mode 1
		.amdhsa_fp16_overflow 0
		.amdhsa_tg_split 0
		.amdhsa_exception_fp_ieee_invalid_op 0
		.amdhsa_exception_fp_denorm_src 0
		.amdhsa_exception_fp_ieee_div_zero 0
		.amdhsa_exception_fp_ieee_overflow 0
		.amdhsa_exception_fp_ieee_underflow 0
		.amdhsa_exception_fp_ieee_inexact 0
		.amdhsa_exception_int_div_zero 0
	.end_amdhsa_kernel
	.section	.text._ZN2at6native14lpnorm_cleanupIN3c108BFloat16ELNS0_8NormTypeE3EdLb1EdEEvPKT3_NS0_19TensorListAddressesEi,"axG",@progbits,_ZN2at6native14lpnorm_cleanupIN3c108BFloat16ELNS0_8NormTypeE3EdLb1EdEEvPKT3_NS0_19TensorListAddressesEi,comdat
.Lfunc_end123:
	.size	_ZN2at6native14lpnorm_cleanupIN3c108BFloat16ELNS0_8NormTypeE3EdLb1EdEEvPKT3_NS0_19TensorListAddressesEi, .Lfunc_end123-_ZN2at6native14lpnorm_cleanupIN3c108BFloat16ELNS0_8NormTypeE3EdLb1EdEEvPKT3_NS0_19TensorListAddressesEi
                                        ; -- End function
	.set _ZN2at6native14lpnorm_cleanupIN3c108BFloat16ELNS0_8NormTypeE3EdLb1EdEEvPKT3_NS0_19TensorListAddressesEi.num_vgpr, 13
	.set _ZN2at6native14lpnorm_cleanupIN3c108BFloat16ELNS0_8NormTypeE3EdLb1EdEEvPKT3_NS0_19TensorListAddressesEi.num_agpr, 0
	.set _ZN2at6native14lpnorm_cleanupIN3c108BFloat16ELNS0_8NormTypeE3EdLb1EdEEvPKT3_NS0_19TensorListAddressesEi.numbered_sgpr, 18
	.set _ZN2at6native14lpnorm_cleanupIN3c108BFloat16ELNS0_8NormTypeE3EdLb1EdEEvPKT3_NS0_19TensorListAddressesEi.num_named_barrier, 0
	.set _ZN2at6native14lpnorm_cleanupIN3c108BFloat16ELNS0_8NormTypeE3EdLb1EdEEvPKT3_NS0_19TensorListAddressesEi.private_seg_size, 0
	.set _ZN2at6native14lpnorm_cleanupIN3c108BFloat16ELNS0_8NormTypeE3EdLb1EdEEvPKT3_NS0_19TensorListAddressesEi.uses_vcc, 1
	.set _ZN2at6native14lpnorm_cleanupIN3c108BFloat16ELNS0_8NormTypeE3EdLb1EdEEvPKT3_NS0_19TensorListAddressesEi.uses_flat_scratch, 0
	.set _ZN2at6native14lpnorm_cleanupIN3c108BFloat16ELNS0_8NormTypeE3EdLb1EdEEvPKT3_NS0_19TensorListAddressesEi.has_dyn_sized_stack, 0
	.set _ZN2at6native14lpnorm_cleanupIN3c108BFloat16ELNS0_8NormTypeE3EdLb1EdEEvPKT3_NS0_19TensorListAddressesEi.has_recursion, 0
	.set _ZN2at6native14lpnorm_cleanupIN3c108BFloat16ELNS0_8NormTypeE3EdLb1EdEEvPKT3_NS0_19TensorListAddressesEi.has_indirect_call, 0
	.section	.AMDGPU.csdata,"",@progbits
; Kernel info:
; codeLenInByte = 1060
; TotalNumSgprs: 24
; NumVgprs: 13
; NumAgprs: 0
; TotalNumVgprs: 13
; ScratchSize: 0
; MemoryBound: 0
; FloatMode: 240
; IeeeMode: 1
; LDSByteSize: 4096 bytes/workgroup (compile time only)
; SGPRBlocks: 2
; VGPRBlocks: 1
; NumSGPRsForWavesPerEU: 24
; NumVGPRsForWavesPerEU: 13
; AccumOffset: 16
; Occupancy: 8
; WaveLimiterHint : 0
; COMPUTE_PGM_RSRC2:SCRATCH_EN: 0
; COMPUTE_PGM_RSRC2:USER_SGPR: 2
; COMPUTE_PGM_RSRC2:TRAP_HANDLER: 0
; COMPUTE_PGM_RSRC2:TGID_X_EN: 1
; COMPUTE_PGM_RSRC2:TGID_Y_EN: 0
; COMPUTE_PGM_RSRC2:TGID_Z_EN: 0
; COMPUTE_PGM_RSRC2:TIDIG_COMP_CNT: 0
; COMPUTE_PGM_RSRC3_GFX90A:ACCUM_OFFSET: 3
; COMPUTE_PGM_RSRC3_GFX90A:TG_SPLIT: 0
	.section	.text._ZN2at6native12_GLOBAL__N_125multi_tensor_apply_kernelINS1_18TensorListMetadataILi1EEENS0_13LpNormFunctorIN3c108BFloat16ELNS0_8NormTypeE0EfLi1ELi1ELi0EEEJPfiEEEvT_T0_DpT1_,"axG",@progbits,_ZN2at6native12_GLOBAL__N_125multi_tensor_apply_kernelINS1_18TensorListMetadataILi1EEENS0_13LpNormFunctorIN3c108BFloat16ELNS0_8NormTypeE0EfLi1ELi1ELi0EEEJPfiEEEvT_T0_DpT1_,comdat
	.globl	_ZN2at6native12_GLOBAL__N_125multi_tensor_apply_kernelINS1_18TensorListMetadataILi1EEENS0_13LpNormFunctorIN3c108BFloat16ELNS0_8NormTypeE0EfLi1ELi1ELi0EEEJPfiEEEvT_T0_DpT1_ ; -- Begin function _ZN2at6native12_GLOBAL__N_125multi_tensor_apply_kernelINS1_18TensorListMetadataILi1EEENS0_13LpNormFunctorIN3c108BFloat16ELNS0_8NormTypeE0EfLi1ELi1ELi0EEEJPfiEEEvT_T0_DpT1_
	.p2align	8
	.type	_ZN2at6native12_GLOBAL__N_125multi_tensor_apply_kernelINS1_18TensorListMetadataILi1EEENS0_13LpNormFunctorIN3c108BFloat16ELNS0_8NormTypeE0EfLi1ELi1ELi0EEEJPfiEEEvT_T0_DpT1_,@function
_ZN2at6native12_GLOBAL__N_125multi_tensor_apply_kernelINS1_18TensorListMetadataILi1EEENS0_13LpNormFunctorIN3c108BFloat16ELNS0_8NormTypeE0EfLi1ELi1ELi0EEEJPfiEEEvT_T0_DpT1_: ; @_ZN2at6native12_GLOBAL__N_125multi_tensor_apply_kernelINS1_18TensorListMetadataILi1EEENS0_13LpNormFunctorIN3c108BFloat16ELNS0_8NormTypeE0EfLi1ELi1ELi0EEEJPfiEEEvT_T0_DpT1_
; %bb.0:
	v_mov_b32_e32 v1, s2
	global_load_ubyte v1, v1, s[0:1] offset:1760
	s_add_u32 s3, s0, s2
	s_mul_hi_u32 s4, s2, 3
	s_mul_i32 s2, s2, 3
	s_addc_u32 s5, s1, 0
	s_add_u32 s2, s3, s2
	s_addc_u32 s3, s5, s4
	s_load_dword s4, s[2:3], 0x820
	s_mov_b32 s15, 0
	s_waitcnt vmcnt(0)
	v_readfirstlane_b32 s2, v1
	s_and_b32 s16, s2, 0xff
	s_lshl_b32 s5, s16, 3
	s_load_dwordx2 s[2:3], s[0:1], s5 offset:0x370
	s_load_dwordx2 s[6:7], s[0:1], s5 offset:0x0
	s_waitcnt lgkmcnt(0)
	s_ashr_i32 s5, s4, 31
	s_lshl_b64 s[10:11], s[4:5], 16
	s_lshl_b64 s[8:9], s[4:5], 17
	s_add_u32 s12, s6, s8
	s_addc_u32 s13, s7, s9
	s_sub_u32 s10, s2, s10
	s_subb_u32 s11, s3, s11
	s_and_b32 s14, s2, 3
	s_and_b32 s2, s12, 7
	s_mov_b32 s3, s15
	s_or_b64 s[2:3], s[14:15], s[2:3]
	s_cmp_eq_u64 s[2:3], 0
	s_cbranch_scc1 .LBB124_12
; %bb.1:
	v_cmp_lt_i64_e64 s[2:3], s[10:11], 1
	s_and_b64 vcc, exec, s[2:3]
	s_cbranch_vccnz .LBB124_13
; %bb.2:
	s_load_dword s14, s[0:1], 0xd4c
	v_mov_b64_e32 v[2:3], 0x10000
	v_cmp_lt_i64_e32 vcc, s[10:11], v[2:3]
	s_and_b64 s[2:3], vcc, exec
	v_mov_b32_e32 v7, 0
	s_cselect_b32 s3, s11, 0
	s_cselect_b32 s2, s10, 0x10000
	s_waitcnt lgkmcnt(0)
	s_and_b32 s18, s14, 0xffff
	v_mov_b32_e32 v6, v7
	v_mad_u64_u32 v[12:13], s[14:15], s18, 3, v[0:1]
	v_mov_b32_e32 v8, v7
	v_mov_b32_e32 v9, v7
	v_mov_b64_e32 v[2:3], v[6:7]
	s_mov_b32 s5, 0x10000
	s_lshl_b32 s17, s18, 2
	v_lshl_add_u32 v10, s18, 1, v0
	v_add_u32_e32 v14, s18, v0
	s_mov_b64 s[14:15], 0
	v_mov_b64_e32 v[16:17], s[2:3]
	v_mov_b64_e32 v[4:5], v[8:9]
	s_branch .LBB124_4
.LBB124_3:                              ;   in Loop: Header=BB124_4 Depth=1
	s_or_b64 exec, exec, s[2:3]
	s_add_u32 s14, s14, s17
	s_addc_u32 s15, s15, 0
	v_cmp_lt_i64_e32 vcc, s[14:15], v[16:17]
	s_cbranch_vccz .LBB124_14
.LBB124_4:                              ; =>This Inner Loop Header: Depth=1
	v_add_u32_e32 v6, s14, v0
	v_cmp_gt_i64_e32 vcc, s[10:11], v[6:7]
	v_cmp_gt_u32_e64 s[2:3], s5, v6
	s_and_b64 s[18:19], s[2:3], vcc
	s_and_saveexec_b64 s[2:3], s[18:19]
	s_cbranch_execz .LBB124_6
; %bb.5:                                ;   in Loop: Header=BB124_4 Depth=1
	v_lshl_add_u64 v[8:9], v[6:7], 1, s[12:13]
	global_load_ushort v1, v[8:9], off
	s_waitcnt vmcnt(0)
	v_and_b32_e32 v1, 0x7fff, v1
	v_cmp_eq_u16_e32 vcc, 0, v1
	s_nop 1
	v_cndmask_b32_e64 v1, 1.0, 0, vcc
	v_add_f32_e32 v2, v2, v1
.LBB124_6:                              ;   in Loop: Header=BB124_4 Depth=1
	s_or_b64 exec, exec, s[2:3]
	v_add_u32_e32 v6, s14, v14
	v_cmp_gt_i64_e32 vcc, s[10:11], v[6:7]
	v_cmp_gt_u32_e64 s[2:3], s5, v6
	s_and_b64 s[18:19], s[2:3], vcc
	s_and_saveexec_b64 s[2:3], s[18:19]
	s_cbranch_execz .LBB124_8
; %bb.7:                                ;   in Loop: Header=BB124_4 Depth=1
	v_lshl_add_u64 v[8:9], v[6:7], 1, s[12:13]
	global_load_ushort v1, v[8:9], off
	s_waitcnt vmcnt(0)
	v_and_b32_e32 v1, 0x7fff, v1
	v_cmp_eq_u16_e32 vcc, 0, v1
	s_nop 1
	v_cndmask_b32_e64 v1, 1.0, 0, vcc
	v_add_f32_e32 v3, v3, v1
.LBB124_8:                              ;   in Loop: Header=BB124_4 Depth=1
	s_or_b64 exec, exec, s[2:3]
	v_add_u32_e32 v6, s14, v10
	v_cmp_gt_i64_e32 vcc, s[10:11], v[6:7]
	v_cmp_gt_u32_e64 s[2:3], s5, v6
	s_and_b64 s[18:19], s[2:3], vcc
	s_and_saveexec_b64 s[2:3], s[18:19]
	s_cbranch_execz .LBB124_10
; %bb.9:                                ;   in Loop: Header=BB124_4 Depth=1
	v_lshl_add_u64 v[8:9], v[6:7], 1, s[12:13]
	global_load_ushort v1, v[8:9], off
	s_waitcnt vmcnt(0)
	v_and_b32_e32 v1, 0x7fff, v1
	v_cmp_eq_u16_e32 vcc, 0, v1
	s_nop 1
	v_cndmask_b32_e64 v1, 1.0, 0, vcc
	v_add_f32_e32 v4, v4, v1
.LBB124_10:                             ;   in Loop: Header=BB124_4 Depth=1
	s_or_b64 exec, exec, s[2:3]
	v_add_u32_e32 v6, s14, v12
	v_cmp_gt_i64_e32 vcc, s[10:11], v[6:7]
	v_cmp_gt_u32_e64 s[2:3], s5, v6
	s_and_b64 s[18:19], s[2:3], vcc
	s_and_saveexec_b64 s[2:3], s[18:19]
	s_cbranch_execz .LBB124_3
; %bb.11:                               ;   in Loop: Header=BB124_4 Depth=1
	v_lshl_add_u64 v[8:9], v[6:7], 1, s[12:13]
	global_load_ushort v1, v[8:9], off
	s_waitcnt vmcnt(0)
	v_and_b32_e32 v1, 0x7fff, v1
	v_cmp_eq_u16_e32 vcc, 0, v1
	s_nop 1
	v_cndmask_b32_e64 v1, 1.0, 0, vcc
	v_add_f32_e32 v5, v5, v1
	s_branch .LBB124_3
.LBB124_12:
                                        ; implicit-def: $vgpr2_vgpr3_vgpr4_vgpr5
	s_branch .LBB124_15
.LBB124_13:
	v_mov_b32_e32 v2, 0
	v_mov_b32_e32 v3, v2
	;; [unrolled: 1-line block ×4, first 2 shown]
.LBB124_14:
	s_cbranch_execnz .LBB124_20
.LBB124_15:
	v_mov_b64_e32 v[4:5], 0x10000
	v_cmp_lt_i64_e32 vcc, s[10:11], v[4:5]
	s_and_b64 s[2:3], vcc, exec
	v_mov_b32_e32 v3, 0
	s_cselect_b32 s3, s11, 0
	s_cselect_b32 s2, s10, 0x10000
	v_lshlrev_b32_e32 v2, 2, v0
	v_cmp_gt_i64_e32 vcc, s[2:3], v[2:3]
	s_mov_b32 s13, 0
	v_mov_b32_e32 v2, v3
	v_mov_b32_e32 v4, v3
	;; [unrolled: 1-line block ×3, first 2 shown]
	s_and_saveexec_b64 s[10:11], vcc
	s_cbranch_execz .LBB124_19
; %bb.16:
	s_load_dword s5, s[0:1], 0xd4c
	v_mov_b32_e32 v1, v3
	v_lshlrev_b32_e32 v2, 3, v0
	s_mov_b32 s15, s13
	v_mov_b64_e32 v[10:11], v[0:1]
	s_waitcnt lgkmcnt(0)
	s_and_b32 s12, s5, 0xffff
	s_add_u32 s6, s6, s8
	s_addc_u32 s7, s7, s9
	s_lshl_b32 s14, s12, 3
	v_lshl_add_u64 v[8:9], s[6:7], 0, v[2:3]
	s_mov_b64 s[6:7], 0
	v_mov_b32_e32 v4, 0
	v_mov_b32_e32 v5, 0
	;; [unrolled: 1-line block ×4, first 2 shown]
.LBB124_17:                             ; =>This Inner Loop Header: Depth=1
	global_load_dwordx2 v[12:13], v[8:9], off
	v_lshl_add_u64 v[10:11], v[10:11], 0, s[12:13]
	v_lshlrev_b64 v[18:19], 2, v[10:11]
	v_cmp_le_i64_e32 vcc, s[2:3], v[18:19]
	v_mov_b32_e32 v14, v3
	s_or_b64 s[6:7], vcc, s[6:7]
	v_mov_b32_e32 v16, v3
	v_lshl_add_u64 v[8:9], v[8:9], 0, s[14:15]
	s_waitcnt vmcnt(0)
	v_and_b32_e32 v2, 0x7fff, v12
	v_and_b32_e32 v15, 0x7fff, v13
	v_cmp_eq_u64_e32 vcc, 0, v[2:3]
	v_and_b32_e32 v17, 0x7fff0000, v13
	v_and_b32_e32 v2, 0x7fff0000, v12
	v_cndmask_b32_e64 v1, 1.0, 0, vcc
	v_cmp_eq_u64_e32 vcc, 0, v[14:15]
	v_add_f32_e32 v4, v4, v1
	s_nop 0
	v_cndmask_b32_e64 v12, 1.0, 0, vcc
	v_cmp_eq_u64_e32 vcc, 0, v[16:17]
	v_add_f32_e32 v6, v6, v12
	s_nop 0
	;; [unrolled: 4-line block ×3, first 2 shown]
	v_cndmask_b32_e64 v1, 1.0, 0, vcc
	v_add_f32_e32 v5, v5, v1
	s_andn2_b64 exec, exec, s[6:7]
	s_cbranch_execnz .LBB124_17
; %bb.18:
	s_or_b64 exec, exec, s[6:7]
	v_mov_b64_e32 v[2:3], v[4:5]
	v_mov_b64_e32 v[4:5], v[6:7]
.LBB124_19:
	s_or_b64 exec, exec, s[10:11]
.LBB124_20:
	v_add_f32_e32 v1, 0, v2
	v_add_f32_e32 v1, v3, v1
	;; [unrolled: 1-line block ×4, first 2 shown]
	v_mbcnt_lo_u32_b32 v1, -1, 0
	v_mbcnt_hi_u32_b32 v6, -1, v1
	v_mov_b32_e32 v1, 0x80
	v_lshl_or_b32 v1, v6, 2, v1
	ds_bpermute_b32 v3, v1, v2
	v_and_b32_e32 v9, 63, v6
	v_cmp_gt_u32_e32 vcc, 48, v9
	s_waitcnt lgkmcnt(0)
	s_barrier
	v_add_f32_e32 v3, v2, v3
	v_cndmask_b32_e64 v2, 0, 16, vcc
	v_add_lshl_u32 v2, v2, v6, 2
	ds_bpermute_b32 v4, v2, v3
	v_cmp_gt_u32_e32 vcc, 56, v9
	s_waitcnt lgkmcnt(0)
	v_add_f32_e32 v4, v3, v4
	v_cndmask_b32_e64 v3, 0, 8, vcc
	v_add_lshl_u32 v3, v3, v6, 2
	ds_bpermute_b32 v5, v3, v4
	v_cmp_gt_u32_e32 vcc, 60, v9
	s_waitcnt lgkmcnt(0)
	v_add_f32_e32 v5, v4, v5
	v_cndmask_b32_e64 v4, 0, 4, vcc
	v_add_lshl_u32 v4, v4, v6, 2
	ds_bpermute_b32 v7, v4, v5
	v_cmp_gt_u32_e32 vcc, 62, v9
	s_waitcnt lgkmcnt(0)
	v_add_f32_e32 v7, v5, v7
	v_cndmask_b32_e64 v8, 0, 2, vcc
	v_add_lshl_u32 v5, v8, v6, 2
	ds_bpermute_b32 v10, v5, v7
	v_cmp_ne_u32_e32 vcc, 63, v9
	v_and_b32_e32 v8, 63, v0
	s_waitcnt lgkmcnt(0)
	v_add_f32_e32 v7, v7, v10
	v_addc_co_u32_e32 v6, vcc, 0, v6, vcc
	v_lshlrev_b32_e32 v6, 2, v6
	ds_bpermute_b32 v9, v6, v7
	v_cmp_eq_u32_e32 vcc, 0, v8
	s_and_saveexec_b64 s[2:3], vcc
	s_cbranch_execz .LBB124_22
; %bb.21:
	v_lshrrev_b32_e32 v10, 4, v0
	s_waitcnt lgkmcnt(0)
	v_add_f32_e32 v7, v7, v9
	ds_write_b32 v10, v7
.LBB124_22:
	s_or_b64 exec, exec, s[2:3]
	s_waitcnt lgkmcnt(0)
	s_barrier
	s_load_dword s2, s[0:1], 0xd4c
	v_mov_b32_e32 v7, 0
	s_waitcnt lgkmcnt(0)
	s_bfe_u32 s2, s2, 0xa0006
	v_cmp_gt_u32_e32 vcc, s2, v0
	s_and_saveexec_b64 s[2:3], vcc
	s_cbranch_execnz .LBB124_26
; %bb.23:
	s_or_b64 exec, exec, s[2:3]
	v_cmp_gt_u32_e32 vcc, 64, v0
	s_and_saveexec_b64 s[2:3], vcc
	s_cbranch_execnz .LBB124_27
.LBB124_24:
	s_or_b64 exec, exec, s[2:3]
	v_cmp_eq_u32_e32 vcc, 0, v0
	s_and_saveexec_b64 s[2:3], vcc
	s_cbranch_execnz .LBB124_28
.LBB124_25:
	s_endpgm
.LBB124_26:
	v_lshlrev_b32_e32 v7, 2, v8
	ds_read_b32 v7, v7
	s_or_b64 exec, exec, s[2:3]
	v_cmp_gt_u32_e32 vcc, 64, v0
	s_and_saveexec_b64 s[2:3], vcc
	s_cbranch_execz .LBB124_24
.LBB124_27:
	s_waitcnt lgkmcnt(0)
	ds_bpermute_b32 v1, v1, v7
	s_waitcnt lgkmcnt(0)
	v_add_f32_e32 v1, v7, v1
	ds_bpermute_b32 v2, v2, v1
	s_waitcnt lgkmcnt(0)
	v_add_f32_e32 v1, v1, v2
	;; [unrolled: 3-line block ×6, first 2 shown]
	s_or_b64 exec, exec, s[2:3]
	v_cmp_eq_u32_e32 vcc, 0, v0
	s_and_saveexec_b64 s[2:3], vcc
	s_cbranch_execz .LBB124_25
.LBB124_28:
	s_load_dword s5, s[0:1], 0xd20
	s_load_dword s6, s[0:1], 0xd38
	s_load_dwordx2 s[2:3], s[0:1], 0xd30
	v_mov_b32_e32 v0, 0
	s_waitcnt lgkmcnt(0)
	s_add_i32 s0, s5, s16
	s_mul_i32 s0, s0, s6
	s_add_i32 s0, s0, s4
	s_ashr_i32 s1, s0, 31
	s_lshl_b64 s[0:1], s[0:1], 2
	s_add_u32 s0, s2, s0
	s_addc_u32 s1, s3, s1
	global_store_dword v0, v7, s[0:1]
	s_endpgm
	.section	.rodata,"a",@progbits
	.p2align	6, 0x0
	.amdhsa_kernel _ZN2at6native12_GLOBAL__N_125multi_tensor_apply_kernelINS1_18TensorListMetadataILi1EEENS0_13LpNormFunctorIN3c108BFloat16ELNS0_8NormTypeE0EfLi1ELi1ELi0EEEJPfiEEEvT_T0_DpT1_
		.amdhsa_group_segment_fixed_size 2048
		.amdhsa_private_segment_fixed_size 0
		.amdhsa_kernarg_size 3648
		.amdhsa_user_sgpr_count 2
		.amdhsa_user_sgpr_dispatch_ptr 0
		.amdhsa_user_sgpr_queue_ptr 0
		.amdhsa_user_sgpr_kernarg_segment_ptr 1
		.amdhsa_user_sgpr_dispatch_id 0
		.amdhsa_user_sgpr_kernarg_preload_length 0
		.amdhsa_user_sgpr_kernarg_preload_offset 0
		.amdhsa_user_sgpr_private_segment_size 0
		.amdhsa_uses_dynamic_stack 0
		.amdhsa_enable_private_segment 0
		.amdhsa_system_sgpr_workgroup_id_x 1
		.amdhsa_system_sgpr_workgroup_id_y 0
		.amdhsa_system_sgpr_workgroup_id_z 0
		.amdhsa_system_sgpr_workgroup_info 0
		.amdhsa_system_vgpr_workitem_id 0
		.amdhsa_next_free_vgpr 20
		.amdhsa_next_free_sgpr 20
		.amdhsa_accum_offset 20
		.amdhsa_reserve_vcc 1
		.amdhsa_float_round_mode_32 0
		.amdhsa_float_round_mode_16_64 0
		.amdhsa_float_denorm_mode_32 3
		.amdhsa_float_denorm_mode_16_64 3
		.amdhsa_dx10_clamp 1
		.amdhsa_ieee_mode 1
		.amdhsa_fp16_overflow 0
		.amdhsa_tg_split 0
		.amdhsa_exception_fp_ieee_invalid_op 0
		.amdhsa_exception_fp_denorm_src 0
		.amdhsa_exception_fp_ieee_div_zero 0
		.amdhsa_exception_fp_ieee_overflow 0
		.amdhsa_exception_fp_ieee_underflow 0
		.amdhsa_exception_fp_ieee_inexact 0
		.amdhsa_exception_int_div_zero 0
	.end_amdhsa_kernel
	.section	.text._ZN2at6native12_GLOBAL__N_125multi_tensor_apply_kernelINS1_18TensorListMetadataILi1EEENS0_13LpNormFunctorIN3c108BFloat16ELNS0_8NormTypeE0EfLi1ELi1ELi0EEEJPfiEEEvT_T0_DpT1_,"axG",@progbits,_ZN2at6native12_GLOBAL__N_125multi_tensor_apply_kernelINS1_18TensorListMetadataILi1EEENS0_13LpNormFunctorIN3c108BFloat16ELNS0_8NormTypeE0EfLi1ELi1ELi0EEEJPfiEEEvT_T0_DpT1_,comdat
.Lfunc_end124:
	.size	_ZN2at6native12_GLOBAL__N_125multi_tensor_apply_kernelINS1_18TensorListMetadataILi1EEENS0_13LpNormFunctorIN3c108BFloat16ELNS0_8NormTypeE0EfLi1ELi1ELi0EEEJPfiEEEvT_T0_DpT1_, .Lfunc_end124-_ZN2at6native12_GLOBAL__N_125multi_tensor_apply_kernelINS1_18TensorListMetadataILi1EEENS0_13LpNormFunctorIN3c108BFloat16ELNS0_8NormTypeE0EfLi1ELi1ELi0EEEJPfiEEEvT_T0_DpT1_
                                        ; -- End function
	.set _ZN2at6native12_GLOBAL__N_125multi_tensor_apply_kernelINS1_18TensorListMetadataILi1EEENS0_13LpNormFunctorIN3c108BFloat16ELNS0_8NormTypeE0EfLi1ELi1ELi0EEEJPfiEEEvT_T0_DpT1_.num_vgpr, 20
	.set _ZN2at6native12_GLOBAL__N_125multi_tensor_apply_kernelINS1_18TensorListMetadataILi1EEENS0_13LpNormFunctorIN3c108BFloat16ELNS0_8NormTypeE0EfLi1ELi1ELi0EEEJPfiEEEvT_T0_DpT1_.num_agpr, 0
	.set _ZN2at6native12_GLOBAL__N_125multi_tensor_apply_kernelINS1_18TensorListMetadataILi1EEENS0_13LpNormFunctorIN3c108BFloat16ELNS0_8NormTypeE0EfLi1ELi1ELi0EEEJPfiEEEvT_T0_DpT1_.numbered_sgpr, 20
	.set _ZN2at6native12_GLOBAL__N_125multi_tensor_apply_kernelINS1_18TensorListMetadataILi1EEENS0_13LpNormFunctorIN3c108BFloat16ELNS0_8NormTypeE0EfLi1ELi1ELi0EEEJPfiEEEvT_T0_DpT1_.num_named_barrier, 0
	.set _ZN2at6native12_GLOBAL__N_125multi_tensor_apply_kernelINS1_18TensorListMetadataILi1EEENS0_13LpNormFunctorIN3c108BFloat16ELNS0_8NormTypeE0EfLi1ELi1ELi0EEEJPfiEEEvT_T0_DpT1_.private_seg_size, 0
	.set _ZN2at6native12_GLOBAL__N_125multi_tensor_apply_kernelINS1_18TensorListMetadataILi1EEENS0_13LpNormFunctorIN3c108BFloat16ELNS0_8NormTypeE0EfLi1ELi1ELi0EEEJPfiEEEvT_T0_DpT1_.uses_vcc, 1
	.set _ZN2at6native12_GLOBAL__N_125multi_tensor_apply_kernelINS1_18TensorListMetadataILi1EEENS0_13LpNormFunctorIN3c108BFloat16ELNS0_8NormTypeE0EfLi1ELi1ELi0EEEJPfiEEEvT_T0_DpT1_.uses_flat_scratch, 0
	.set _ZN2at6native12_GLOBAL__N_125multi_tensor_apply_kernelINS1_18TensorListMetadataILi1EEENS0_13LpNormFunctorIN3c108BFloat16ELNS0_8NormTypeE0EfLi1ELi1ELi0EEEJPfiEEEvT_T0_DpT1_.has_dyn_sized_stack, 0
	.set _ZN2at6native12_GLOBAL__N_125multi_tensor_apply_kernelINS1_18TensorListMetadataILi1EEENS0_13LpNormFunctorIN3c108BFloat16ELNS0_8NormTypeE0EfLi1ELi1ELi0EEEJPfiEEEvT_T0_DpT1_.has_recursion, 0
	.set _ZN2at6native12_GLOBAL__N_125multi_tensor_apply_kernelINS1_18TensorListMetadataILi1EEENS0_13LpNormFunctorIN3c108BFloat16ELNS0_8NormTypeE0EfLi1ELi1ELi0EEEJPfiEEEvT_T0_DpT1_.has_indirect_call, 0
	.section	.AMDGPU.csdata,"",@progbits
; Kernel info:
; codeLenInByte = 1532
; TotalNumSgprs: 26
; NumVgprs: 20
; NumAgprs: 0
; TotalNumVgprs: 20
; ScratchSize: 0
; MemoryBound: 0
; FloatMode: 240
; IeeeMode: 1
; LDSByteSize: 2048 bytes/workgroup (compile time only)
; SGPRBlocks: 3
; VGPRBlocks: 2
; NumSGPRsForWavesPerEU: 26
; NumVGPRsForWavesPerEU: 20
; AccumOffset: 20
; Occupancy: 8
; WaveLimiterHint : 0
; COMPUTE_PGM_RSRC2:SCRATCH_EN: 0
; COMPUTE_PGM_RSRC2:USER_SGPR: 2
; COMPUTE_PGM_RSRC2:TRAP_HANDLER: 0
; COMPUTE_PGM_RSRC2:TGID_X_EN: 1
; COMPUTE_PGM_RSRC2:TGID_Y_EN: 0
; COMPUTE_PGM_RSRC2:TGID_Z_EN: 0
; COMPUTE_PGM_RSRC2:TIDIG_COMP_CNT: 0
; COMPUTE_PGM_RSRC3_GFX90A:ACCUM_OFFSET: 4
; COMPUTE_PGM_RSRC3_GFX90A:TG_SPLIT: 0
	.section	.text._ZN2at6native12_GLOBAL__N_125multi_tensor_apply_kernelINS1_18TensorListMetadataILi1EEENS0_13LpNormFunctorIN3c108BFloat16ELNS0_8NormTypeE1EfLi1ELi1ELi0EEEJPfiEEEvT_T0_DpT1_,"axG",@progbits,_ZN2at6native12_GLOBAL__N_125multi_tensor_apply_kernelINS1_18TensorListMetadataILi1EEENS0_13LpNormFunctorIN3c108BFloat16ELNS0_8NormTypeE1EfLi1ELi1ELi0EEEJPfiEEEvT_T0_DpT1_,comdat
	.globl	_ZN2at6native12_GLOBAL__N_125multi_tensor_apply_kernelINS1_18TensorListMetadataILi1EEENS0_13LpNormFunctorIN3c108BFloat16ELNS0_8NormTypeE1EfLi1ELi1ELi0EEEJPfiEEEvT_T0_DpT1_ ; -- Begin function _ZN2at6native12_GLOBAL__N_125multi_tensor_apply_kernelINS1_18TensorListMetadataILi1EEENS0_13LpNormFunctorIN3c108BFloat16ELNS0_8NormTypeE1EfLi1ELi1ELi0EEEJPfiEEEvT_T0_DpT1_
	.p2align	8
	.type	_ZN2at6native12_GLOBAL__N_125multi_tensor_apply_kernelINS1_18TensorListMetadataILi1EEENS0_13LpNormFunctorIN3c108BFloat16ELNS0_8NormTypeE1EfLi1ELi1ELi0EEEJPfiEEEvT_T0_DpT1_,@function
_ZN2at6native12_GLOBAL__N_125multi_tensor_apply_kernelINS1_18TensorListMetadataILi1EEENS0_13LpNormFunctorIN3c108BFloat16ELNS0_8NormTypeE1EfLi1ELi1ELi0EEEJPfiEEEvT_T0_DpT1_: ; @_ZN2at6native12_GLOBAL__N_125multi_tensor_apply_kernelINS1_18TensorListMetadataILi1EEENS0_13LpNormFunctorIN3c108BFloat16ELNS0_8NormTypeE1EfLi1ELi1ELi0EEEJPfiEEEvT_T0_DpT1_
; %bb.0:
	v_mov_b32_e32 v1, s2
	global_load_ubyte v1, v1, s[0:1] offset:1760
	s_add_u32 s3, s0, s2
	s_mul_hi_u32 s4, s2, 3
	s_mul_i32 s2, s2, 3
	s_addc_u32 s5, s1, 0
	s_add_u32 s2, s3, s2
	s_addc_u32 s3, s5, s4
	s_load_dword s4, s[2:3], 0x820
	s_mov_b32 s15, 0
	s_waitcnt vmcnt(0)
	v_readfirstlane_b32 s2, v1
	s_and_b32 s16, s2, 0xff
	s_lshl_b32 s5, s16, 3
	s_load_dwordx2 s[2:3], s[0:1], s5 offset:0x370
	s_load_dwordx2 s[6:7], s[0:1], s5 offset:0x0
	s_waitcnt lgkmcnt(0)
	s_ashr_i32 s5, s4, 31
	s_lshl_b64 s[10:11], s[4:5], 16
	s_lshl_b64 s[8:9], s[4:5], 17
	s_add_u32 s12, s6, s8
	s_addc_u32 s13, s7, s9
	s_sub_u32 s10, s2, s10
	s_subb_u32 s11, s3, s11
	s_and_b32 s14, s2, 3
	s_and_b32 s2, s12, 7
	s_mov_b32 s3, s15
	s_or_b64 s[2:3], s[14:15], s[2:3]
	s_cmp_eq_u64 s[2:3], 0
	s_cbranch_scc1 .LBB125_12
; %bb.1:
	v_cmp_lt_i64_e64 s[2:3], s[10:11], 1
	s_and_b64 vcc, exec, s[2:3]
	s_cbranch_vccnz .LBB125_13
; %bb.2:
	s_load_dword s14, s[0:1], 0xd4c
	v_mov_b64_e32 v[2:3], 0x10000
	v_cmp_lt_i64_e32 vcc, s[10:11], v[2:3]
	s_and_b64 s[2:3], vcc, exec
	v_mov_b32_e32 v7, 0
	s_cselect_b32 s3, s11, 0
	s_cselect_b32 s2, s10, 0x10000
	s_waitcnt lgkmcnt(0)
	s_and_b32 s18, s14, 0xffff
	v_mov_b32_e32 v6, v7
	v_mad_u64_u32 v[12:13], s[14:15], s18, 3, v[0:1]
	v_mov_b32_e32 v8, v7
	v_mov_b32_e32 v9, v7
	v_mov_b64_e32 v[2:3], v[6:7]
	s_mov_b32 s5, 0x10000
	s_lshl_b32 s17, s18, 2
	v_lshl_add_u32 v10, s18, 1, v0
	v_add_u32_e32 v14, s18, v0
	s_mov_b64 s[14:15], 0
	v_mov_b64_e32 v[16:17], s[2:3]
	v_mov_b64_e32 v[4:5], v[8:9]
	s_branch .LBB125_4
.LBB125_3:                              ;   in Loop: Header=BB125_4 Depth=1
	s_or_b64 exec, exec, s[2:3]
	s_add_u32 s14, s14, s17
	s_addc_u32 s15, s15, 0
	v_cmp_lt_i64_e32 vcc, s[14:15], v[16:17]
	s_cbranch_vccz .LBB125_14
.LBB125_4:                              ; =>This Inner Loop Header: Depth=1
	v_add_u32_e32 v6, s14, v0
	v_cmp_gt_i64_e32 vcc, s[10:11], v[6:7]
	v_cmp_gt_u32_e64 s[2:3], s5, v6
	s_and_b64 s[18:19], s[2:3], vcc
	s_and_saveexec_b64 s[2:3], s[18:19]
	s_cbranch_execz .LBB125_6
; %bb.5:                                ;   in Loop: Header=BB125_4 Depth=1
	v_lshl_add_u64 v[8:9], v[6:7], 1, s[12:13]
	global_load_ushort v1, v[8:9], off
	s_waitcnt vmcnt(0)
	v_lshlrev_b32_e32 v1, 16, v1
	v_add_f32_e64 v2, v2, |v1|
.LBB125_6:                              ;   in Loop: Header=BB125_4 Depth=1
	s_or_b64 exec, exec, s[2:3]
	v_add_u32_e32 v6, s14, v14
	v_cmp_gt_i64_e32 vcc, s[10:11], v[6:7]
	v_cmp_gt_u32_e64 s[2:3], s5, v6
	s_and_b64 s[18:19], s[2:3], vcc
	s_and_saveexec_b64 s[2:3], s[18:19]
	s_cbranch_execz .LBB125_8
; %bb.7:                                ;   in Loop: Header=BB125_4 Depth=1
	v_lshl_add_u64 v[8:9], v[6:7], 1, s[12:13]
	global_load_ushort v1, v[8:9], off
	s_waitcnt vmcnt(0)
	v_lshlrev_b32_e32 v1, 16, v1
	v_add_f32_e64 v3, v3, |v1|
.LBB125_8:                              ;   in Loop: Header=BB125_4 Depth=1
	s_or_b64 exec, exec, s[2:3]
	v_add_u32_e32 v6, s14, v10
	v_cmp_gt_i64_e32 vcc, s[10:11], v[6:7]
	v_cmp_gt_u32_e64 s[2:3], s5, v6
	s_and_b64 s[18:19], s[2:3], vcc
	s_and_saveexec_b64 s[2:3], s[18:19]
	s_cbranch_execz .LBB125_10
; %bb.9:                                ;   in Loop: Header=BB125_4 Depth=1
	v_lshl_add_u64 v[8:9], v[6:7], 1, s[12:13]
	global_load_ushort v1, v[8:9], off
	s_waitcnt vmcnt(0)
	v_lshlrev_b32_e32 v1, 16, v1
	v_add_f32_e64 v4, v4, |v1|
.LBB125_10:                             ;   in Loop: Header=BB125_4 Depth=1
	s_or_b64 exec, exec, s[2:3]
	v_add_u32_e32 v6, s14, v12
	v_cmp_gt_i64_e32 vcc, s[10:11], v[6:7]
	v_cmp_gt_u32_e64 s[2:3], s5, v6
	s_and_b64 s[18:19], s[2:3], vcc
	s_and_saveexec_b64 s[2:3], s[18:19]
	s_cbranch_execz .LBB125_3
; %bb.11:                               ;   in Loop: Header=BB125_4 Depth=1
	v_lshl_add_u64 v[8:9], v[6:7], 1, s[12:13]
	global_load_ushort v1, v[8:9], off
	s_waitcnt vmcnt(0)
	v_lshlrev_b32_e32 v1, 16, v1
	v_add_f32_e64 v5, v5, |v1|
	s_branch .LBB125_3
.LBB125_12:
                                        ; implicit-def: $vgpr2_vgpr3_vgpr4_vgpr5
	s_branch .LBB125_15
.LBB125_13:
	v_mov_b32_e32 v2, 0
	v_mov_b32_e32 v3, v2
	;; [unrolled: 1-line block ×4, first 2 shown]
.LBB125_14:
	s_cbranch_execnz .LBB125_20
.LBB125_15:
	v_mov_b64_e32 v[4:5], 0x10000
	v_cmp_lt_i64_e32 vcc, s[10:11], v[4:5]
	v_mov_b32_e32 v2, 0
	s_and_b64 s[2:3], vcc, exec
	s_cselect_b32 s3, s11, 0
	s_cselect_b32 s2, s10, 0x10000
	v_lshlrev_b32_e32 v4, 2, v0
	v_mov_b32_e32 v5, v2
	v_cmp_gt_i64_e32 vcc, s[2:3], v[4:5]
	s_mov_b32 s13, 0
	v_mov_b32_e32 v3, v2
	v_mov_b32_e32 v4, v2
	s_and_saveexec_b64 s[10:11], vcc
	s_cbranch_execz .LBB125_19
; %bb.16:
	s_load_dword s5, s[0:1], 0xd4c
	v_mov_b32_e32 v1, v2
	v_lshlrev_b32_e32 v4, 3, v0
	v_mov_b32_e32 v5, v2
	v_mov_b64_e32 v[8:9], v[0:1]
	s_waitcnt lgkmcnt(0)
	s_and_b32 s12, s5, 0xffff
	s_add_u32 s8, s6, s8
	s_addc_u32 s9, s7, s9
	s_lshl_b32 s6, s12, 3
	v_lshl_add_u64 v[6:7], s[8:9], 0, v[4:5]
	s_mov_b32 s7, s13
	s_mov_b64 s[8:9], 0
	v_mov_b32_e32 v3, v2
	v_mov_b32_e32 v4, v2
.LBB125_17:                             ; =>This Inner Loop Header: Depth=1
	global_load_dwordx2 v[10:11], v[6:7], off
	v_lshl_add_u64 v[8:9], v[8:9], 0, s[12:13]
	v_lshlrev_b64 v[12:13], 2, v[8:9]
	v_cmp_le_i64_e32 vcc, s[2:3], v[12:13]
	v_lshl_add_u64 v[6:7], v[6:7], 0, s[6:7]
	s_or_b64 s[8:9], vcc, s[8:9]
	s_waitcnt vmcnt(0)
	v_and_b32_e32 v1, 0xffff0000, v10
	v_lshlrev_b32_e32 v12, 16, v10
	v_alignbit_b32 v10, v11, v10, 16
	v_and_b32_e32 v11, 0xffff0000, v11
	v_and_b32_e32 v10, 0xffff0000, v10
	;; [unrolled: 1-line block ×6, first 2 shown]
	v_pk_add_f32 v[2:3], v[2:3], v[12:13]
	v_pk_add_f32 v[4:5], v[4:5], v[10:11]
	s_andn2_b64 exec, exec, s[8:9]
	s_cbranch_execnz .LBB125_17
; %bb.18:
	s_or_b64 exec, exec, s[8:9]
.LBB125_19:
	s_or_b64 exec, exec, s[10:11]
.LBB125_20:
	v_add_f32_e32 v1, 0, v2
	v_add_f32_e32 v1, v3, v1
	v_add_f32_e32 v1, v4, v1
	v_add_f32_e32 v2, v5, v1
	v_mbcnt_lo_u32_b32 v1, -1, 0
	v_mbcnt_hi_u32_b32 v6, -1, v1
	v_mov_b32_e32 v1, 0x80
	v_lshl_or_b32 v1, v6, 2, v1
	ds_bpermute_b32 v3, v1, v2
	v_and_b32_e32 v9, 63, v6
	v_cmp_gt_u32_e32 vcc, 48, v9
	s_waitcnt lgkmcnt(0)
	s_barrier
	v_add_f32_e32 v3, v2, v3
	v_cndmask_b32_e64 v2, 0, 16, vcc
	v_add_lshl_u32 v2, v2, v6, 2
	ds_bpermute_b32 v4, v2, v3
	v_cmp_gt_u32_e32 vcc, 56, v9
	s_waitcnt lgkmcnt(0)
	v_add_f32_e32 v4, v3, v4
	v_cndmask_b32_e64 v3, 0, 8, vcc
	v_add_lshl_u32 v3, v3, v6, 2
	ds_bpermute_b32 v5, v3, v4
	v_cmp_gt_u32_e32 vcc, 60, v9
	s_waitcnt lgkmcnt(0)
	;; [unrolled: 6-line block ×3, first 2 shown]
	v_add_f32_e32 v7, v5, v7
	v_cndmask_b32_e64 v8, 0, 2, vcc
	v_add_lshl_u32 v5, v8, v6, 2
	ds_bpermute_b32 v10, v5, v7
	v_cmp_ne_u32_e32 vcc, 63, v9
	v_and_b32_e32 v8, 63, v0
	s_waitcnt lgkmcnt(0)
	v_add_f32_e32 v7, v7, v10
	v_addc_co_u32_e32 v6, vcc, 0, v6, vcc
	v_lshlrev_b32_e32 v6, 2, v6
	ds_bpermute_b32 v9, v6, v7
	v_cmp_eq_u32_e32 vcc, 0, v8
	s_and_saveexec_b64 s[2:3], vcc
	s_cbranch_execz .LBB125_22
; %bb.21:
	v_lshrrev_b32_e32 v10, 4, v0
	s_waitcnt lgkmcnt(0)
	v_add_f32_e32 v7, v7, v9
	ds_write_b32 v10, v7
.LBB125_22:
	s_or_b64 exec, exec, s[2:3]
	s_waitcnt lgkmcnt(0)
	s_barrier
	s_load_dword s2, s[0:1], 0xd4c
	v_mov_b32_e32 v7, 0
	s_waitcnt lgkmcnt(0)
	s_bfe_u32 s2, s2, 0xa0006
	v_cmp_gt_u32_e32 vcc, s2, v0
	s_and_saveexec_b64 s[2:3], vcc
	s_cbranch_execnz .LBB125_26
; %bb.23:
	s_or_b64 exec, exec, s[2:3]
	v_cmp_gt_u32_e32 vcc, 64, v0
	s_and_saveexec_b64 s[2:3], vcc
	s_cbranch_execnz .LBB125_27
.LBB125_24:
	s_or_b64 exec, exec, s[2:3]
	v_cmp_eq_u32_e32 vcc, 0, v0
	s_and_saveexec_b64 s[2:3], vcc
	s_cbranch_execnz .LBB125_28
.LBB125_25:
	s_endpgm
.LBB125_26:
	v_lshlrev_b32_e32 v7, 2, v8
	ds_read_b32 v7, v7
	s_or_b64 exec, exec, s[2:3]
	v_cmp_gt_u32_e32 vcc, 64, v0
	s_and_saveexec_b64 s[2:3], vcc
	s_cbranch_execz .LBB125_24
.LBB125_27:
	s_waitcnt lgkmcnt(0)
	ds_bpermute_b32 v1, v1, v7
	s_waitcnt lgkmcnt(0)
	v_add_f32_e32 v1, v7, v1
	ds_bpermute_b32 v2, v2, v1
	s_waitcnt lgkmcnt(0)
	v_add_f32_e32 v1, v1, v2
	;; [unrolled: 3-line block ×6, first 2 shown]
	s_or_b64 exec, exec, s[2:3]
	v_cmp_eq_u32_e32 vcc, 0, v0
	s_and_saveexec_b64 s[2:3], vcc
	s_cbranch_execz .LBB125_25
.LBB125_28:
	s_load_dword s5, s[0:1], 0xd20
	s_load_dword s6, s[0:1], 0xd38
	s_load_dwordx2 s[2:3], s[0:1], 0xd30
	v_mov_b32_e32 v0, 0
	s_waitcnt lgkmcnt(0)
	s_add_i32 s0, s5, s16
	s_mul_i32 s0, s0, s6
	s_add_i32 s0, s0, s4
	s_ashr_i32 s1, s0, 31
	s_lshl_b64 s[0:1], s[0:1], 2
	s_add_u32 s0, s2, s0
	s_addc_u32 s1, s3, s1
	global_store_dword v0, v7, s[0:1]
	s_endpgm
	.section	.rodata,"a",@progbits
	.p2align	6, 0x0
	.amdhsa_kernel _ZN2at6native12_GLOBAL__N_125multi_tensor_apply_kernelINS1_18TensorListMetadataILi1EEENS0_13LpNormFunctorIN3c108BFloat16ELNS0_8NormTypeE1EfLi1ELi1ELi0EEEJPfiEEEvT_T0_DpT1_
		.amdhsa_group_segment_fixed_size 2048
		.amdhsa_private_segment_fixed_size 0
		.amdhsa_kernarg_size 3648
		.amdhsa_user_sgpr_count 2
		.amdhsa_user_sgpr_dispatch_ptr 0
		.amdhsa_user_sgpr_queue_ptr 0
		.amdhsa_user_sgpr_kernarg_segment_ptr 1
		.amdhsa_user_sgpr_dispatch_id 0
		.amdhsa_user_sgpr_kernarg_preload_length 0
		.amdhsa_user_sgpr_kernarg_preload_offset 0
		.amdhsa_user_sgpr_private_segment_size 0
		.amdhsa_uses_dynamic_stack 0
		.amdhsa_enable_private_segment 0
		.amdhsa_system_sgpr_workgroup_id_x 1
		.amdhsa_system_sgpr_workgroup_id_y 0
		.amdhsa_system_sgpr_workgroup_id_z 0
		.amdhsa_system_sgpr_workgroup_info 0
		.amdhsa_system_vgpr_workitem_id 0
		.amdhsa_next_free_vgpr 18
		.amdhsa_next_free_sgpr 20
		.amdhsa_accum_offset 20
		.amdhsa_reserve_vcc 1
		.amdhsa_float_round_mode_32 0
		.amdhsa_float_round_mode_16_64 0
		.amdhsa_float_denorm_mode_32 3
		.amdhsa_float_denorm_mode_16_64 3
		.amdhsa_dx10_clamp 1
		.amdhsa_ieee_mode 1
		.amdhsa_fp16_overflow 0
		.amdhsa_tg_split 0
		.amdhsa_exception_fp_ieee_invalid_op 0
		.amdhsa_exception_fp_denorm_src 0
		.amdhsa_exception_fp_ieee_div_zero 0
		.amdhsa_exception_fp_ieee_overflow 0
		.amdhsa_exception_fp_ieee_underflow 0
		.amdhsa_exception_fp_ieee_inexact 0
		.amdhsa_exception_int_div_zero 0
	.end_amdhsa_kernel
	.section	.text._ZN2at6native12_GLOBAL__N_125multi_tensor_apply_kernelINS1_18TensorListMetadataILi1EEENS0_13LpNormFunctorIN3c108BFloat16ELNS0_8NormTypeE1EfLi1ELi1ELi0EEEJPfiEEEvT_T0_DpT1_,"axG",@progbits,_ZN2at6native12_GLOBAL__N_125multi_tensor_apply_kernelINS1_18TensorListMetadataILi1EEENS0_13LpNormFunctorIN3c108BFloat16ELNS0_8NormTypeE1EfLi1ELi1ELi0EEEJPfiEEEvT_T0_DpT1_,comdat
.Lfunc_end125:
	.size	_ZN2at6native12_GLOBAL__N_125multi_tensor_apply_kernelINS1_18TensorListMetadataILi1EEENS0_13LpNormFunctorIN3c108BFloat16ELNS0_8NormTypeE1EfLi1ELi1ELi0EEEJPfiEEEvT_T0_DpT1_, .Lfunc_end125-_ZN2at6native12_GLOBAL__N_125multi_tensor_apply_kernelINS1_18TensorListMetadataILi1EEENS0_13LpNormFunctorIN3c108BFloat16ELNS0_8NormTypeE1EfLi1ELi1ELi0EEEJPfiEEEvT_T0_DpT1_
                                        ; -- End function
	.set _ZN2at6native12_GLOBAL__N_125multi_tensor_apply_kernelINS1_18TensorListMetadataILi1EEENS0_13LpNormFunctorIN3c108BFloat16ELNS0_8NormTypeE1EfLi1ELi1ELi0EEEJPfiEEEvT_T0_DpT1_.num_vgpr, 18
	.set _ZN2at6native12_GLOBAL__N_125multi_tensor_apply_kernelINS1_18TensorListMetadataILi1EEENS0_13LpNormFunctorIN3c108BFloat16ELNS0_8NormTypeE1EfLi1ELi1ELi0EEEJPfiEEEvT_T0_DpT1_.num_agpr, 0
	.set _ZN2at6native12_GLOBAL__N_125multi_tensor_apply_kernelINS1_18TensorListMetadataILi1EEENS0_13LpNormFunctorIN3c108BFloat16ELNS0_8NormTypeE1EfLi1ELi1ELi0EEEJPfiEEEvT_T0_DpT1_.numbered_sgpr, 20
	.set _ZN2at6native12_GLOBAL__N_125multi_tensor_apply_kernelINS1_18TensorListMetadataILi1EEENS0_13LpNormFunctorIN3c108BFloat16ELNS0_8NormTypeE1EfLi1ELi1ELi0EEEJPfiEEEvT_T0_DpT1_.num_named_barrier, 0
	.set _ZN2at6native12_GLOBAL__N_125multi_tensor_apply_kernelINS1_18TensorListMetadataILi1EEENS0_13LpNormFunctorIN3c108BFloat16ELNS0_8NormTypeE1EfLi1ELi1ELi0EEEJPfiEEEvT_T0_DpT1_.private_seg_size, 0
	.set _ZN2at6native12_GLOBAL__N_125multi_tensor_apply_kernelINS1_18TensorListMetadataILi1EEENS0_13LpNormFunctorIN3c108BFloat16ELNS0_8NormTypeE1EfLi1ELi1ELi0EEEJPfiEEEvT_T0_DpT1_.uses_vcc, 1
	.set _ZN2at6native12_GLOBAL__N_125multi_tensor_apply_kernelINS1_18TensorListMetadataILi1EEENS0_13LpNormFunctorIN3c108BFloat16ELNS0_8NormTypeE1EfLi1ELi1ELi0EEEJPfiEEEvT_T0_DpT1_.uses_flat_scratch, 0
	.set _ZN2at6native12_GLOBAL__N_125multi_tensor_apply_kernelINS1_18TensorListMetadataILi1EEENS0_13LpNormFunctorIN3c108BFloat16ELNS0_8NormTypeE1EfLi1ELi1ELi0EEEJPfiEEEvT_T0_DpT1_.has_dyn_sized_stack, 0
	.set _ZN2at6native12_GLOBAL__N_125multi_tensor_apply_kernelINS1_18TensorListMetadataILi1EEENS0_13LpNormFunctorIN3c108BFloat16ELNS0_8NormTypeE1EfLi1ELi1ELi0EEEJPfiEEEvT_T0_DpT1_.has_recursion, 0
	.set _ZN2at6native12_GLOBAL__N_125multi_tensor_apply_kernelINS1_18TensorListMetadataILi1EEENS0_13LpNormFunctorIN3c108BFloat16ELNS0_8NormTypeE1EfLi1ELi1ELi0EEEJPfiEEEvT_T0_DpT1_.has_indirect_call, 0
	.section	.AMDGPU.csdata,"",@progbits
; Kernel info:
; codeLenInByte = 1424
; TotalNumSgprs: 26
; NumVgprs: 18
; NumAgprs: 0
; TotalNumVgprs: 18
; ScratchSize: 0
; MemoryBound: 0
; FloatMode: 240
; IeeeMode: 1
; LDSByteSize: 2048 bytes/workgroup (compile time only)
; SGPRBlocks: 3
; VGPRBlocks: 2
; NumSGPRsForWavesPerEU: 26
; NumVGPRsForWavesPerEU: 18
; AccumOffset: 20
; Occupancy: 8
; WaveLimiterHint : 0
; COMPUTE_PGM_RSRC2:SCRATCH_EN: 0
; COMPUTE_PGM_RSRC2:USER_SGPR: 2
; COMPUTE_PGM_RSRC2:TRAP_HANDLER: 0
; COMPUTE_PGM_RSRC2:TGID_X_EN: 1
; COMPUTE_PGM_RSRC2:TGID_Y_EN: 0
; COMPUTE_PGM_RSRC2:TGID_Z_EN: 0
; COMPUTE_PGM_RSRC2:TIDIG_COMP_CNT: 0
; COMPUTE_PGM_RSRC3_GFX90A:ACCUM_OFFSET: 4
; COMPUTE_PGM_RSRC3_GFX90A:TG_SPLIT: 0
	.section	.text._ZN2at6native12_GLOBAL__N_125multi_tensor_apply_kernelINS1_18TensorListMetadataILi1EEENS0_13LpNormFunctorIN3c108BFloat16ELNS0_8NormTypeE2EfLi1ELi1ELi0EEEJPfiEEEvT_T0_DpT1_,"axG",@progbits,_ZN2at6native12_GLOBAL__N_125multi_tensor_apply_kernelINS1_18TensorListMetadataILi1EEENS0_13LpNormFunctorIN3c108BFloat16ELNS0_8NormTypeE2EfLi1ELi1ELi0EEEJPfiEEEvT_T0_DpT1_,comdat
	.globl	_ZN2at6native12_GLOBAL__N_125multi_tensor_apply_kernelINS1_18TensorListMetadataILi1EEENS0_13LpNormFunctorIN3c108BFloat16ELNS0_8NormTypeE2EfLi1ELi1ELi0EEEJPfiEEEvT_T0_DpT1_ ; -- Begin function _ZN2at6native12_GLOBAL__N_125multi_tensor_apply_kernelINS1_18TensorListMetadataILi1EEENS0_13LpNormFunctorIN3c108BFloat16ELNS0_8NormTypeE2EfLi1ELi1ELi0EEEJPfiEEEvT_T0_DpT1_
	.p2align	8
	.type	_ZN2at6native12_GLOBAL__N_125multi_tensor_apply_kernelINS1_18TensorListMetadataILi1EEENS0_13LpNormFunctorIN3c108BFloat16ELNS0_8NormTypeE2EfLi1ELi1ELi0EEEJPfiEEEvT_T0_DpT1_,@function
_ZN2at6native12_GLOBAL__N_125multi_tensor_apply_kernelINS1_18TensorListMetadataILi1EEENS0_13LpNormFunctorIN3c108BFloat16ELNS0_8NormTypeE2EfLi1ELi1ELi0EEEJPfiEEEvT_T0_DpT1_: ; @_ZN2at6native12_GLOBAL__N_125multi_tensor_apply_kernelINS1_18TensorListMetadataILi1EEENS0_13LpNormFunctorIN3c108BFloat16ELNS0_8NormTypeE2EfLi1ELi1ELi0EEEJPfiEEEvT_T0_DpT1_
; %bb.0:
	v_mov_b32_e32 v1, s2
	global_load_ubyte v1, v1, s[0:1] offset:1760
	s_add_u32 s3, s0, s2
	s_mul_hi_u32 s4, s2, 3
	s_mul_i32 s2, s2, 3
	s_addc_u32 s5, s1, 0
	s_add_u32 s2, s3, s2
	s_addc_u32 s3, s5, s4
	s_load_dword s4, s[2:3], 0x820
	s_mov_b32 s15, 0
	s_waitcnt vmcnt(0)
	v_readfirstlane_b32 s2, v1
	s_and_b32 s16, s2, 0xff
	s_lshl_b32 s5, s16, 3
	s_load_dwordx2 s[2:3], s[0:1], s5 offset:0x370
	s_load_dwordx2 s[6:7], s[0:1], s5 offset:0x0
	s_waitcnt lgkmcnt(0)
	s_ashr_i32 s5, s4, 31
	s_lshl_b64 s[10:11], s[4:5], 16
	s_lshl_b64 s[8:9], s[4:5], 17
	s_add_u32 s12, s6, s8
	s_addc_u32 s13, s7, s9
	s_sub_u32 s10, s2, s10
	s_subb_u32 s11, s3, s11
	s_and_b32 s14, s2, 3
	s_and_b32 s2, s12, 7
	s_mov_b32 s3, s15
	s_or_b64 s[2:3], s[14:15], s[2:3]
	s_cmp_eq_u64 s[2:3], 0
	s_cbranch_scc1 .LBB126_12
; %bb.1:
	v_cmp_lt_i64_e64 s[2:3], s[10:11], 1
	s_and_b64 vcc, exec, s[2:3]
	s_cbranch_vccnz .LBB126_13
; %bb.2:
	s_load_dword s14, s[0:1], 0xd4c
	v_mov_b64_e32 v[2:3], 0x10000
	v_cmp_lt_i64_e32 vcc, s[10:11], v[2:3]
	s_and_b64 s[2:3], vcc, exec
	v_mov_b32_e32 v7, 0
	s_cselect_b32 s3, s11, 0
	s_cselect_b32 s2, s10, 0x10000
	s_waitcnt lgkmcnt(0)
	s_and_b32 s18, s14, 0xffff
	v_mov_b32_e32 v6, v7
	v_mad_u64_u32 v[12:13], s[14:15], s18, 3, v[0:1]
	v_mov_b32_e32 v8, v7
	v_mov_b32_e32 v9, v7
	v_mov_b64_e32 v[2:3], v[6:7]
	s_mov_b32 s5, 0x10000
	s_lshl_b32 s17, s18, 2
	v_lshl_add_u32 v10, s18, 1, v0
	v_add_u32_e32 v14, s18, v0
	s_mov_b64 s[14:15], 0
	v_mov_b64_e32 v[16:17], s[2:3]
	v_mov_b64_e32 v[4:5], v[8:9]
	s_branch .LBB126_4
.LBB126_3:                              ;   in Loop: Header=BB126_4 Depth=1
	s_or_b64 exec, exec, s[2:3]
	s_add_u32 s14, s14, s17
	s_addc_u32 s15, s15, 0
	v_cmp_lt_i64_e32 vcc, s[14:15], v[16:17]
	s_cbranch_vccz .LBB126_14
.LBB126_4:                              ; =>This Inner Loop Header: Depth=1
	v_add_u32_e32 v6, s14, v0
	v_cmp_gt_i64_e32 vcc, s[10:11], v[6:7]
	v_cmp_gt_u32_e64 s[2:3], s5, v6
	s_and_b64 s[18:19], s[2:3], vcc
	s_and_saveexec_b64 s[2:3], s[18:19]
	s_cbranch_execz .LBB126_6
; %bb.5:                                ;   in Loop: Header=BB126_4 Depth=1
	v_lshl_add_u64 v[8:9], v[6:7], 1, s[12:13]
	global_load_ushort v1, v[8:9], off
	s_waitcnt vmcnt(0)
	v_lshlrev_b32_e32 v1, 16, v1
	v_fma_f32 v2, v1, v1, v2
.LBB126_6:                              ;   in Loop: Header=BB126_4 Depth=1
	s_or_b64 exec, exec, s[2:3]
	v_add_u32_e32 v6, s14, v14
	v_cmp_gt_i64_e32 vcc, s[10:11], v[6:7]
	v_cmp_gt_u32_e64 s[2:3], s5, v6
	s_and_b64 s[18:19], s[2:3], vcc
	s_and_saveexec_b64 s[2:3], s[18:19]
	s_cbranch_execz .LBB126_8
; %bb.7:                                ;   in Loop: Header=BB126_4 Depth=1
	v_lshl_add_u64 v[8:9], v[6:7], 1, s[12:13]
	global_load_ushort v1, v[8:9], off
	s_waitcnt vmcnt(0)
	v_lshlrev_b32_e32 v1, 16, v1
	v_fma_f32 v3, v1, v1, v3
.LBB126_8:                              ;   in Loop: Header=BB126_4 Depth=1
	s_or_b64 exec, exec, s[2:3]
	v_add_u32_e32 v6, s14, v10
	v_cmp_gt_i64_e32 vcc, s[10:11], v[6:7]
	v_cmp_gt_u32_e64 s[2:3], s5, v6
	s_and_b64 s[18:19], s[2:3], vcc
	s_and_saveexec_b64 s[2:3], s[18:19]
	s_cbranch_execz .LBB126_10
; %bb.9:                                ;   in Loop: Header=BB126_4 Depth=1
	v_lshl_add_u64 v[8:9], v[6:7], 1, s[12:13]
	global_load_ushort v1, v[8:9], off
	s_waitcnt vmcnt(0)
	v_lshlrev_b32_e32 v1, 16, v1
	v_fma_f32 v4, v1, v1, v4
.LBB126_10:                             ;   in Loop: Header=BB126_4 Depth=1
	s_or_b64 exec, exec, s[2:3]
	v_add_u32_e32 v6, s14, v12
	v_cmp_gt_i64_e32 vcc, s[10:11], v[6:7]
	v_cmp_gt_u32_e64 s[2:3], s5, v6
	s_and_b64 s[18:19], s[2:3], vcc
	s_and_saveexec_b64 s[2:3], s[18:19]
	s_cbranch_execz .LBB126_3
; %bb.11:                               ;   in Loop: Header=BB126_4 Depth=1
	v_lshl_add_u64 v[8:9], v[6:7], 1, s[12:13]
	global_load_ushort v1, v[8:9], off
	s_waitcnt vmcnt(0)
	v_lshlrev_b32_e32 v1, 16, v1
	v_fma_f32 v5, v1, v1, v5
	s_branch .LBB126_3
.LBB126_12:
                                        ; implicit-def: $vgpr2_vgpr3_vgpr4_vgpr5
	s_branch .LBB126_15
.LBB126_13:
	v_mov_b32_e32 v2, 0
	v_mov_b32_e32 v3, v2
	;; [unrolled: 1-line block ×4, first 2 shown]
.LBB126_14:
	s_cbranch_execnz .LBB126_20
.LBB126_15:
	v_mov_b64_e32 v[4:5], 0x10000
	v_cmp_lt_i64_e32 vcc, s[10:11], v[4:5]
	s_and_b64 s[2:3], vcc, exec
	v_mov_b32_e32 v3, 0
	s_cselect_b32 s3, s11, 0
	s_cselect_b32 s2, s10, 0x10000
	v_lshlrev_b32_e32 v2, 2, v0
	v_cmp_gt_i64_e32 vcc, s[2:3], v[2:3]
	s_mov_b32 s13, 0
	v_mov_b32_e32 v2, v3
	v_mov_b32_e32 v4, v3
	;; [unrolled: 1-line block ×3, first 2 shown]
	s_and_saveexec_b64 s[10:11], vcc
	s_cbranch_execz .LBB126_19
; %bb.16:
	s_load_dword s5, s[0:1], 0xd4c
	v_mov_b32_e32 v1, v3
	v_lshlrev_b32_e32 v2, 3, v0
	s_mov_b32 s15, s13
	v_mov_b64_e32 v[10:11], v[0:1]
	s_waitcnt lgkmcnt(0)
	s_and_b32 s12, s5, 0xffff
	s_add_u32 s6, s6, s8
	s_addc_u32 s7, s7, s9
	s_lshl_b32 s14, s12, 3
	v_lshl_add_u64 v[8:9], s[6:7], 0, v[2:3]
	s_mov_b64 s[6:7], 0
	v_mov_b32_e32 v5, 0
	v_mov_b32_e32 v6, 0
	;; [unrolled: 1-line block ×3, first 2 shown]
.LBB126_17:                             ; =>This Inner Loop Header: Depth=1
	global_load_dwordx2 v[12:13], v[8:9], off
	v_lshl_add_u64 v[10:11], v[10:11], 0, s[12:13]
	v_lshlrev_b64 v[14:15], 2, v[10:11]
	v_cmp_le_i64_e32 vcc, s[2:3], v[14:15]
	v_lshl_add_u64 v[8:9], v[8:9], 0, s[14:15]
	s_or_b64 s[6:7], vcc, s[6:7]
	s_waitcnt vmcnt(0)
	v_and_b32_e32 v1, 0xffff0000, v12
	v_alignbit_b32 v4, v13, v12, 16
	v_lshlrev_b32_e32 v2, 16, v12
	v_and_b32_e32 v12, 0xffff0000, v13
	v_fmac_f32_e32 v5, v1, v1
	v_and_b32_e32 v1, 0xffff0000, v4
	v_fmac_f32_e32 v3, v2, v2
	v_fmac_f32_e32 v7, v12, v12
	;; [unrolled: 1-line block ×3, first 2 shown]
	s_andn2_b64 exec, exec, s[6:7]
	s_cbranch_execnz .LBB126_17
; %bb.18:
	s_or_b64 exec, exec, s[6:7]
	v_mov_b32_e32 v4, v3
	v_mov_b64_e32 v[2:3], v[4:5]
	v_mov_b64_e32 v[4:5], v[6:7]
.LBB126_19:
	s_or_b64 exec, exec, s[10:11]
.LBB126_20:
	v_add_f32_e32 v1, 0, v2
	v_add_f32_e32 v1, v3, v1
	v_add_f32_e32 v1, v4, v1
	v_add_f32_e32 v2, v5, v1
	v_mbcnt_lo_u32_b32 v1, -1, 0
	v_mbcnt_hi_u32_b32 v6, -1, v1
	v_mov_b32_e32 v1, 0x80
	v_lshl_or_b32 v1, v6, 2, v1
	ds_bpermute_b32 v3, v1, v2
	v_and_b32_e32 v9, 63, v6
	v_cmp_gt_u32_e32 vcc, 48, v9
	s_waitcnt lgkmcnt(0)
	s_barrier
	v_add_f32_e32 v3, v2, v3
	v_cndmask_b32_e64 v2, 0, 16, vcc
	v_add_lshl_u32 v2, v2, v6, 2
	ds_bpermute_b32 v4, v2, v3
	v_cmp_gt_u32_e32 vcc, 56, v9
	s_waitcnt lgkmcnt(0)
	v_add_f32_e32 v4, v3, v4
	v_cndmask_b32_e64 v3, 0, 8, vcc
	v_add_lshl_u32 v3, v3, v6, 2
	ds_bpermute_b32 v5, v3, v4
	v_cmp_gt_u32_e32 vcc, 60, v9
	s_waitcnt lgkmcnt(0)
	;; [unrolled: 6-line block ×3, first 2 shown]
	v_add_f32_e32 v7, v5, v7
	v_cndmask_b32_e64 v8, 0, 2, vcc
	v_add_lshl_u32 v5, v8, v6, 2
	ds_bpermute_b32 v10, v5, v7
	v_cmp_ne_u32_e32 vcc, 63, v9
	v_and_b32_e32 v8, 63, v0
	s_waitcnt lgkmcnt(0)
	v_add_f32_e32 v7, v7, v10
	v_addc_co_u32_e32 v6, vcc, 0, v6, vcc
	v_lshlrev_b32_e32 v6, 2, v6
	ds_bpermute_b32 v9, v6, v7
	v_cmp_eq_u32_e32 vcc, 0, v8
	s_and_saveexec_b64 s[2:3], vcc
	s_cbranch_execz .LBB126_22
; %bb.21:
	v_lshrrev_b32_e32 v10, 4, v0
	s_waitcnt lgkmcnt(0)
	v_add_f32_e32 v7, v7, v9
	ds_write_b32 v10, v7
.LBB126_22:
	s_or_b64 exec, exec, s[2:3]
	s_waitcnt lgkmcnt(0)
	s_barrier
	s_load_dword s2, s[0:1], 0xd4c
	v_mov_b32_e32 v7, 0
	s_waitcnt lgkmcnt(0)
	s_bfe_u32 s2, s2, 0xa0006
	v_cmp_gt_u32_e32 vcc, s2, v0
	s_and_saveexec_b64 s[2:3], vcc
	s_cbranch_execnz .LBB126_26
; %bb.23:
	s_or_b64 exec, exec, s[2:3]
	v_cmp_gt_u32_e32 vcc, 64, v0
	s_and_saveexec_b64 s[2:3], vcc
	s_cbranch_execnz .LBB126_27
.LBB126_24:
	s_or_b64 exec, exec, s[2:3]
	v_cmp_eq_u32_e32 vcc, 0, v0
	s_and_saveexec_b64 s[2:3], vcc
	s_cbranch_execnz .LBB126_28
.LBB126_25:
	s_endpgm
.LBB126_26:
	v_lshlrev_b32_e32 v7, 2, v8
	ds_read_b32 v7, v7
	s_or_b64 exec, exec, s[2:3]
	v_cmp_gt_u32_e32 vcc, 64, v0
	s_and_saveexec_b64 s[2:3], vcc
	s_cbranch_execz .LBB126_24
.LBB126_27:
	s_waitcnt lgkmcnt(0)
	ds_bpermute_b32 v1, v1, v7
	s_waitcnt lgkmcnt(0)
	v_add_f32_e32 v1, v7, v1
	ds_bpermute_b32 v2, v2, v1
	s_waitcnt lgkmcnt(0)
	v_add_f32_e32 v1, v1, v2
	;; [unrolled: 3-line block ×6, first 2 shown]
	s_or_b64 exec, exec, s[2:3]
	v_cmp_eq_u32_e32 vcc, 0, v0
	s_and_saveexec_b64 s[2:3], vcc
	s_cbranch_execz .LBB126_25
.LBB126_28:
	s_load_dword s5, s[0:1], 0xd20
	s_load_dword s6, s[0:1], 0xd38
	s_load_dwordx2 s[2:3], s[0:1], 0xd30
	v_mov_b32_e32 v0, 0
	s_waitcnt lgkmcnt(0)
	s_add_i32 s0, s5, s16
	s_mul_i32 s0, s0, s6
	s_add_i32 s0, s0, s4
	s_ashr_i32 s1, s0, 31
	s_lshl_b64 s[0:1], s[0:1], 2
	s_add_u32 s0, s2, s0
	s_addc_u32 s1, s3, s1
	global_store_dword v0, v7, s[0:1]
	s_endpgm
	.section	.rodata,"a",@progbits
	.p2align	6, 0x0
	.amdhsa_kernel _ZN2at6native12_GLOBAL__N_125multi_tensor_apply_kernelINS1_18TensorListMetadataILi1EEENS0_13LpNormFunctorIN3c108BFloat16ELNS0_8NormTypeE2EfLi1ELi1ELi0EEEJPfiEEEvT_T0_DpT1_
		.amdhsa_group_segment_fixed_size 2048
		.amdhsa_private_segment_fixed_size 0
		.amdhsa_kernarg_size 3648
		.amdhsa_user_sgpr_count 2
		.amdhsa_user_sgpr_dispatch_ptr 0
		.amdhsa_user_sgpr_queue_ptr 0
		.amdhsa_user_sgpr_kernarg_segment_ptr 1
		.amdhsa_user_sgpr_dispatch_id 0
		.amdhsa_user_sgpr_kernarg_preload_length 0
		.amdhsa_user_sgpr_kernarg_preload_offset 0
		.amdhsa_user_sgpr_private_segment_size 0
		.amdhsa_uses_dynamic_stack 0
		.amdhsa_enable_private_segment 0
		.amdhsa_system_sgpr_workgroup_id_x 1
		.amdhsa_system_sgpr_workgroup_id_y 0
		.amdhsa_system_sgpr_workgroup_id_z 0
		.amdhsa_system_sgpr_workgroup_info 0
		.amdhsa_system_vgpr_workitem_id 0
		.amdhsa_next_free_vgpr 18
		.amdhsa_next_free_sgpr 20
		.amdhsa_accum_offset 20
		.amdhsa_reserve_vcc 1
		.amdhsa_float_round_mode_32 0
		.amdhsa_float_round_mode_16_64 0
		.amdhsa_float_denorm_mode_32 3
		.amdhsa_float_denorm_mode_16_64 3
		.amdhsa_dx10_clamp 1
		.amdhsa_ieee_mode 1
		.amdhsa_fp16_overflow 0
		.amdhsa_tg_split 0
		.amdhsa_exception_fp_ieee_invalid_op 0
		.amdhsa_exception_fp_denorm_src 0
		.amdhsa_exception_fp_ieee_div_zero 0
		.amdhsa_exception_fp_ieee_overflow 0
		.amdhsa_exception_fp_ieee_underflow 0
		.amdhsa_exception_fp_ieee_inexact 0
		.amdhsa_exception_int_div_zero 0
	.end_amdhsa_kernel
	.section	.text._ZN2at6native12_GLOBAL__N_125multi_tensor_apply_kernelINS1_18TensorListMetadataILi1EEENS0_13LpNormFunctorIN3c108BFloat16ELNS0_8NormTypeE2EfLi1ELi1ELi0EEEJPfiEEEvT_T0_DpT1_,"axG",@progbits,_ZN2at6native12_GLOBAL__N_125multi_tensor_apply_kernelINS1_18TensorListMetadataILi1EEENS0_13LpNormFunctorIN3c108BFloat16ELNS0_8NormTypeE2EfLi1ELi1ELi0EEEJPfiEEEvT_T0_DpT1_,comdat
.Lfunc_end126:
	.size	_ZN2at6native12_GLOBAL__N_125multi_tensor_apply_kernelINS1_18TensorListMetadataILi1EEENS0_13LpNormFunctorIN3c108BFloat16ELNS0_8NormTypeE2EfLi1ELi1ELi0EEEJPfiEEEvT_T0_DpT1_, .Lfunc_end126-_ZN2at6native12_GLOBAL__N_125multi_tensor_apply_kernelINS1_18TensorListMetadataILi1EEENS0_13LpNormFunctorIN3c108BFloat16ELNS0_8NormTypeE2EfLi1ELi1ELi0EEEJPfiEEEvT_T0_DpT1_
                                        ; -- End function
	.set _ZN2at6native12_GLOBAL__N_125multi_tensor_apply_kernelINS1_18TensorListMetadataILi1EEENS0_13LpNormFunctorIN3c108BFloat16ELNS0_8NormTypeE2EfLi1ELi1ELi0EEEJPfiEEEvT_T0_DpT1_.num_vgpr, 18
	.set _ZN2at6native12_GLOBAL__N_125multi_tensor_apply_kernelINS1_18TensorListMetadataILi1EEENS0_13LpNormFunctorIN3c108BFloat16ELNS0_8NormTypeE2EfLi1ELi1ELi0EEEJPfiEEEvT_T0_DpT1_.num_agpr, 0
	.set _ZN2at6native12_GLOBAL__N_125multi_tensor_apply_kernelINS1_18TensorListMetadataILi1EEENS0_13LpNormFunctorIN3c108BFloat16ELNS0_8NormTypeE2EfLi1ELi1ELi0EEEJPfiEEEvT_T0_DpT1_.numbered_sgpr, 20
	.set _ZN2at6native12_GLOBAL__N_125multi_tensor_apply_kernelINS1_18TensorListMetadataILi1EEENS0_13LpNormFunctorIN3c108BFloat16ELNS0_8NormTypeE2EfLi1ELi1ELi0EEEJPfiEEEvT_T0_DpT1_.num_named_barrier, 0
	.set _ZN2at6native12_GLOBAL__N_125multi_tensor_apply_kernelINS1_18TensorListMetadataILi1EEENS0_13LpNormFunctorIN3c108BFloat16ELNS0_8NormTypeE2EfLi1ELi1ELi0EEEJPfiEEEvT_T0_DpT1_.private_seg_size, 0
	.set _ZN2at6native12_GLOBAL__N_125multi_tensor_apply_kernelINS1_18TensorListMetadataILi1EEENS0_13LpNormFunctorIN3c108BFloat16ELNS0_8NormTypeE2EfLi1ELi1ELi0EEEJPfiEEEvT_T0_DpT1_.uses_vcc, 1
	.set _ZN2at6native12_GLOBAL__N_125multi_tensor_apply_kernelINS1_18TensorListMetadataILi1EEENS0_13LpNormFunctorIN3c108BFloat16ELNS0_8NormTypeE2EfLi1ELi1ELi0EEEJPfiEEEvT_T0_DpT1_.uses_flat_scratch, 0
	.set _ZN2at6native12_GLOBAL__N_125multi_tensor_apply_kernelINS1_18TensorListMetadataILi1EEENS0_13LpNormFunctorIN3c108BFloat16ELNS0_8NormTypeE2EfLi1ELi1ELi0EEEJPfiEEEvT_T0_DpT1_.has_dyn_sized_stack, 0
	.set _ZN2at6native12_GLOBAL__N_125multi_tensor_apply_kernelINS1_18TensorListMetadataILi1EEENS0_13LpNormFunctorIN3c108BFloat16ELNS0_8NormTypeE2EfLi1ELi1ELi0EEEJPfiEEEvT_T0_DpT1_.has_recursion, 0
	.set _ZN2at6native12_GLOBAL__N_125multi_tensor_apply_kernelINS1_18TensorListMetadataILi1EEENS0_13LpNormFunctorIN3c108BFloat16ELNS0_8NormTypeE2EfLi1ELi1ELi0EEEJPfiEEEvT_T0_DpT1_.has_indirect_call, 0
	.section	.AMDGPU.csdata,"",@progbits
; Kernel info:
; codeLenInByte = 1404
; TotalNumSgprs: 26
; NumVgprs: 18
; NumAgprs: 0
; TotalNumVgprs: 18
; ScratchSize: 0
; MemoryBound: 0
; FloatMode: 240
; IeeeMode: 1
; LDSByteSize: 2048 bytes/workgroup (compile time only)
; SGPRBlocks: 3
; VGPRBlocks: 2
; NumSGPRsForWavesPerEU: 26
; NumVGPRsForWavesPerEU: 18
; AccumOffset: 20
; Occupancy: 8
; WaveLimiterHint : 0
; COMPUTE_PGM_RSRC2:SCRATCH_EN: 0
; COMPUTE_PGM_RSRC2:USER_SGPR: 2
; COMPUTE_PGM_RSRC2:TRAP_HANDLER: 0
; COMPUTE_PGM_RSRC2:TGID_X_EN: 1
; COMPUTE_PGM_RSRC2:TGID_Y_EN: 0
; COMPUTE_PGM_RSRC2:TGID_Z_EN: 0
; COMPUTE_PGM_RSRC2:TIDIG_COMP_CNT: 0
; COMPUTE_PGM_RSRC3_GFX90A:ACCUM_OFFSET: 4
; COMPUTE_PGM_RSRC3_GFX90A:TG_SPLIT: 0
	.section	.text._ZN2at6native12_GLOBAL__N_125multi_tensor_apply_kernelINS1_18TensorListMetadataILi1EEENS0_13LpNormFunctorIN3c108BFloat16ELNS0_8NormTypeE3EfLi1ELi1ELi0EEEJPfiEEEvT_T0_DpT1_,"axG",@progbits,_ZN2at6native12_GLOBAL__N_125multi_tensor_apply_kernelINS1_18TensorListMetadataILi1EEENS0_13LpNormFunctorIN3c108BFloat16ELNS0_8NormTypeE3EfLi1ELi1ELi0EEEJPfiEEEvT_T0_DpT1_,comdat
	.globl	_ZN2at6native12_GLOBAL__N_125multi_tensor_apply_kernelINS1_18TensorListMetadataILi1EEENS0_13LpNormFunctorIN3c108BFloat16ELNS0_8NormTypeE3EfLi1ELi1ELi0EEEJPfiEEEvT_T0_DpT1_ ; -- Begin function _ZN2at6native12_GLOBAL__N_125multi_tensor_apply_kernelINS1_18TensorListMetadataILi1EEENS0_13LpNormFunctorIN3c108BFloat16ELNS0_8NormTypeE3EfLi1ELi1ELi0EEEJPfiEEEvT_T0_DpT1_
	.p2align	8
	.type	_ZN2at6native12_GLOBAL__N_125multi_tensor_apply_kernelINS1_18TensorListMetadataILi1EEENS0_13LpNormFunctorIN3c108BFloat16ELNS0_8NormTypeE3EfLi1ELi1ELi0EEEJPfiEEEvT_T0_DpT1_,@function
_ZN2at6native12_GLOBAL__N_125multi_tensor_apply_kernelINS1_18TensorListMetadataILi1EEENS0_13LpNormFunctorIN3c108BFloat16ELNS0_8NormTypeE3EfLi1ELi1ELi0EEEJPfiEEEvT_T0_DpT1_: ; @_ZN2at6native12_GLOBAL__N_125multi_tensor_apply_kernelINS1_18TensorListMetadataILi1EEENS0_13LpNormFunctorIN3c108BFloat16ELNS0_8NormTypeE3EfLi1ELi1ELi0EEEJPfiEEEvT_T0_DpT1_
; %bb.0:
	v_mov_b32_e32 v1, s2
	global_load_ubyte v1, v1, s[0:1] offset:1760
	s_add_u32 s3, s0, s2
	s_mul_hi_u32 s4, s2, 3
	s_mul_i32 s2, s2, 3
	s_addc_u32 s5, s1, 0
	s_add_u32 s2, s3, s2
	s_addc_u32 s3, s5, s4
	s_load_dword s10, s[2:3], 0x820
	s_mov_b32 s15, 0
	s_waitcnt lgkmcnt(0)
	s_ashr_i32 s11, s10, 31
	s_lshl_b64 s[8:9], s[10:11], 16
	s_waitcnt vmcnt(0)
	v_readfirstlane_b32 s2, v1
	s_and_b32 s22, s2, 0xff
	s_lshl_b32 s6, s22, 3
	s_load_dwordx2 s[2:3], s[0:1], s6 offset:0x370
	s_load_dwordx2 s[4:5], s[0:1], s6 offset:0x0
	s_lshl_b64 s[6:7], s[10:11], 17
	s_waitcnt lgkmcnt(0)
	s_add_u32 s12, s4, s6
	s_addc_u32 s13, s5, s7
	s_sub_u32 s8, s2, s8
	s_subb_u32 s9, s3, s9
	s_and_b32 s14, s2, 3
	s_and_b32 s2, s12, 7
	s_mov_b32 s3, s15
	s_or_b64 s[2:3], s[14:15], s[2:3]
	s_cmp_eq_u64 s[2:3], 0
	s_cbranch_scc1 .LBB127_12
; %bb.1:
	v_cmp_lt_i64_e64 s[2:3], s[8:9], 1
	s_and_b64 vcc, exec, s[2:3]
	s_cbranch_vccnz .LBB127_13
; %bb.2:
	s_load_dword s14, s[0:1], 0xd4c
	v_mov_b64_e32 v[2:3], 0x10000
	v_cmp_lt_i64_e32 vcc, s[8:9], v[2:3]
	s_and_b64 s[2:3], vcc, exec
	v_mov_b32_e32 v7, 0
	s_cselect_b32 s3, s9, 0
	s_cselect_b32 s2, s8, 0x10000
	s_waitcnt lgkmcnt(0)
	s_and_b32 s17, s14, 0xffff
	v_mov_b32_e32 v6, v7
	v_mad_u64_u32 v[12:13], s[14:15], s17, 3, v[0:1]
	v_mov_b32_e32 v8, v7
	v_mov_b32_e32 v9, v7
	v_mov_b64_e32 v[2:3], v[6:7]
	s_mov_b32 s11, 0x10000
	s_lshl_b32 s16, s17, 2
	v_lshl_add_u32 v10, s17, 1, v0
	v_add_u32_e32 v14, s17, v0
	s_mov_b64 s[14:15], 0
	v_mov_b64_e32 v[16:17], s[2:3]
	v_mov_b64_e32 v[4:5], v[8:9]
	s_branch .LBB127_4
.LBB127_3:                              ;   in Loop: Header=BB127_4 Depth=1
	s_or_b64 exec, exec, s[2:3]
	s_add_u32 s14, s14, s16
	s_addc_u32 s15, s15, 0
	v_cmp_lt_i64_e32 vcc, s[14:15], v[16:17]
	s_cbranch_vccz .LBB127_14
.LBB127_4:                              ; =>This Inner Loop Header: Depth=1
	v_add_u32_e32 v6, s14, v0
	v_cmp_gt_i64_e32 vcc, s[8:9], v[6:7]
	v_cmp_gt_u32_e64 s[2:3], s11, v6
	s_and_b64 s[18:19], s[2:3], vcc
	s_and_saveexec_b64 s[2:3], s[18:19]
	s_cbranch_execz .LBB127_6
; %bb.5:                                ;   in Loop: Header=BB127_4 Depth=1
	v_lshl_add_u64 v[8:9], v[6:7], 1, s[12:13]
	global_load_ushort v1, v[8:9], off
	s_waitcnt vmcnt(0)
	v_lshlrev_b32_e32 v1, 16, v1
	v_cmp_u_f32_e32 vcc, v1, v1
	v_cmp_lt_f32_e64 s[18:19], v2, |v1|
	s_or_b64 s[18:19], vcc, s[18:19]
	s_nop 0
	v_cndmask_b32_e64 v2, v2, |v1|, s[18:19]
.LBB127_6:                              ;   in Loop: Header=BB127_4 Depth=1
	s_or_b64 exec, exec, s[2:3]
	v_add_u32_e32 v6, s14, v14
	v_cmp_gt_i64_e32 vcc, s[8:9], v[6:7]
	v_cmp_gt_u32_e64 s[2:3], s11, v6
	s_and_b64 s[18:19], s[2:3], vcc
	s_and_saveexec_b64 s[2:3], s[18:19]
	s_cbranch_execz .LBB127_8
; %bb.7:                                ;   in Loop: Header=BB127_4 Depth=1
	v_lshl_add_u64 v[8:9], v[6:7], 1, s[12:13]
	global_load_ushort v1, v[8:9], off
	s_waitcnt vmcnt(0)
	v_lshlrev_b32_e32 v1, 16, v1
	v_cmp_u_f32_e32 vcc, v1, v1
	v_cmp_lt_f32_e64 s[18:19], v3, |v1|
	s_or_b64 s[18:19], vcc, s[18:19]
	s_nop 0
	v_cndmask_b32_e64 v3, v3, |v1|, s[18:19]
.LBB127_8:                              ;   in Loop: Header=BB127_4 Depth=1
	s_or_b64 exec, exec, s[2:3]
	v_add_u32_e32 v6, s14, v10
	v_cmp_gt_i64_e32 vcc, s[8:9], v[6:7]
	v_cmp_gt_u32_e64 s[2:3], s11, v6
	s_and_b64 s[18:19], s[2:3], vcc
	s_and_saveexec_b64 s[2:3], s[18:19]
	s_cbranch_execz .LBB127_10
; %bb.9:                                ;   in Loop: Header=BB127_4 Depth=1
	v_lshl_add_u64 v[8:9], v[6:7], 1, s[12:13]
	global_load_ushort v1, v[8:9], off
	s_waitcnt vmcnt(0)
	v_lshlrev_b32_e32 v1, 16, v1
	v_cmp_u_f32_e32 vcc, v1, v1
	v_cmp_lt_f32_e64 s[18:19], v4, |v1|
	s_or_b64 s[18:19], vcc, s[18:19]
	s_nop 0
	v_cndmask_b32_e64 v4, v4, |v1|, s[18:19]
.LBB127_10:                             ;   in Loop: Header=BB127_4 Depth=1
	s_or_b64 exec, exec, s[2:3]
	v_add_u32_e32 v6, s14, v12
	v_cmp_gt_i64_e32 vcc, s[8:9], v[6:7]
	v_cmp_gt_u32_e64 s[2:3], s11, v6
	s_and_b64 s[18:19], s[2:3], vcc
	s_and_saveexec_b64 s[2:3], s[18:19]
	s_cbranch_execz .LBB127_3
; %bb.11:                               ;   in Loop: Header=BB127_4 Depth=1
	v_lshl_add_u64 v[8:9], v[6:7], 1, s[12:13]
	global_load_ushort v1, v[8:9], off
	s_waitcnt vmcnt(0)
	v_lshlrev_b32_e32 v1, 16, v1
	v_cmp_u_f32_e32 vcc, v1, v1
	v_cmp_lt_f32_e64 s[18:19], v5, |v1|
	s_or_b64 s[18:19], vcc, s[18:19]
	s_nop 0
	v_cndmask_b32_e64 v5, v5, |v1|, s[18:19]
	s_branch .LBB127_3
.LBB127_12:
                                        ; implicit-def: $vgpr2_vgpr3_vgpr4_vgpr5
	s_branch .LBB127_15
.LBB127_13:
	v_mov_b32_e32 v2, 0
	v_mov_b32_e32 v3, v2
	;; [unrolled: 1-line block ×4, first 2 shown]
.LBB127_14:
	s_cbranch_execnz .LBB127_20
.LBB127_15:
	v_mov_b64_e32 v[4:5], 0x10000
	v_cmp_lt_i64_e32 vcc, s[8:9], v[4:5]
	s_and_b64 s[2:3], vcc, exec
	v_mov_b32_e32 v3, 0
	s_cselect_b32 s13, s9, 0
	s_cselect_b32 s12, s8, 0x10000
	v_lshlrev_b32_e32 v2, 2, v0
	v_cmp_gt_i64_e32 vcc, s[12:13], v[2:3]
	s_mov_b32 s17, 0
	v_mov_b32_e32 v2, v3
	v_mov_b32_e32 v4, v3
	;; [unrolled: 1-line block ×3, first 2 shown]
	s_and_saveexec_b64 s[14:15], vcc
	s_cbranch_execz .LBB127_19
; %bb.16:
	s_load_dword s2, s[0:1], 0xd4c
	v_mov_b32_e32 v1, v3
	v_lshlrev_b32_e32 v2, 3, v0
	s_mov_b32 s19, s17
	s_mov_b64 s[20:21], 0
	s_waitcnt lgkmcnt(0)
	s_and_b32 s16, s2, 0xffff
	s_add_u32 s2, s4, s6
	s_addc_u32 s3, s5, s7
	s_lshl_b32 s18, s16, 3
	v_lshl_add_u64 v[8:9], s[2:3], 0, v[2:3]
	v_mov_b64_e32 v[10:11], v[0:1]
	v_mov_b32_e32 v5, 0
	v_mov_b32_e32 v6, 0
	;; [unrolled: 1-line block ×3, first 2 shown]
.LBB127_17:                             ; =>This Inner Loop Header: Depth=1
	global_load_dwordx2 v[12:13], v[8:9], off
	v_lshl_add_u64 v[10:11], v[10:11], 0, s[16:17]
	v_lshlrev_b64 v[14:15], 2, v[10:11]
	v_cmp_le_i64_e32 vcc, s[12:13], v[14:15]
	v_lshl_add_u64 v[8:9], v[8:9], 0, s[18:19]
	s_waitcnt vmcnt(0)
	v_and_b32_e32 v1, 0xffff0000, v12
	v_lshlrev_b32_e32 v2, 16, v12
	v_alignbit_b32 v4, v13, v12, 16
	v_and_b32_e32 v12, 0xffff0000, v13
	v_cmp_u_f32_e64 s[2:3], v12, v12
	v_cmp_lt_f32_e64 s[24:25], v7, |v12|
	v_cmp_u_f32_e64 s[4:5], v1, v1
	v_cmp_lt_f32_e64 s[26:27], v5, |v1|
	s_or_b64 s[2:3], s[2:3], s[24:25]
	v_and_b32_e32 v4, 0xffff0000, v4
	v_cmp_u_f32_e64 s[6:7], v2, v2
	v_cmp_lt_f32_e64 s[28:29], v3, |v2|
	v_cndmask_b32_e64 v7, v7, |v12|, s[2:3]
	s_or_b64 s[2:3], s[4:5], s[26:27]
	v_cmp_u_f32_e64 s[8:9], v4, v4
	v_cmp_lt_f32_e64 s[30:31], v6, |v4|
	v_cndmask_b32_e64 v5, v5, |v1|, s[2:3]
	s_or_b64 s[2:3], s[6:7], s[28:29]
	v_cndmask_b32_e64 v3, v3, |v2|, s[2:3]
	s_or_b64 s[2:3], s[8:9], s[30:31]
	s_or_b64 s[20:21], vcc, s[20:21]
	v_cndmask_b32_e64 v6, v6, |v4|, s[2:3]
	s_andn2_b64 exec, exec, s[20:21]
	s_cbranch_execnz .LBB127_17
; %bb.18:
	s_or_b64 exec, exec, s[20:21]
	v_mov_b32_e32 v4, v3
	v_mov_b64_e32 v[2:3], v[4:5]
	v_mov_b64_e32 v[4:5], v[6:7]
.LBB127_19:
	s_or_b64 exec, exec, s[14:15]
.LBB127_20:
	v_cmp_nge_f32_e32 vcc, 0, v2
	v_and_b32_e32 v8, 63, v0
	s_nop 0
	v_cndmask_b32_e32 v1, 0, v2, vcc
	v_cmp_u_f32_e32 vcc, v3, v3
	v_cmp_lt_f32_e64 s[2:3], v1, v3
	s_or_b64 vcc, vcc, s[2:3]
	v_cndmask_b32_e32 v1, v1, v3, vcc
	v_cmp_u_f32_e32 vcc, v4, v4
	v_cmp_lt_f32_e64 s[2:3], v1, v4
	s_or_b64 vcc, vcc, s[2:3]
	;; [unrolled: 4-line block ×3, first 2 shown]
	v_cndmask_b32_e32 v2, v1, v5, vcc
	v_mbcnt_lo_u32_b32 v1, -1, 0
	v_mbcnt_hi_u32_b32 v6, -1, v1
	v_mov_b32_e32 v1, 0x80
	v_lshl_or_b32 v1, v6, 2, v1
	ds_bpermute_b32 v3, v1, v2
	v_and_b32_e32 v9, 63, v6
	s_barrier
	s_waitcnt lgkmcnt(0)
	v_cmp_u_f32_e32 vcc, v3, v3
	v_cmp_lt_f32_e64 s[2:3], v2, v3
	s_or_b64 vcc, vcc, s[2:3]
	v_cndmask_b32_e32 v3, v2, v3, vcc
	v_cmp_gt_u32_e32 vcc, 48, v9
	s_nop 1
	v_cndmask_b32_e64 v2, 0, 16, vcc
	v_add_lshl_u32 v2, v2, v6, 2
	ds_bpermute_b32 v4, v2, v3
	s_waitcnt lgkmcnt(0)
	v_cmp_u_f32_e32 vcc, v4, v4
	v_cmp_lt_f32_e64 s[2:3], v3, v4
	s_or_b64 vcc, vcc, s[2:3]
	v_cndmask_b32_e32 v4, v3, v4, vcc
	v_cmp_gt_u32_e32 vcc, 56, v9
	s_nop 1
	v_cndmask_b32_e64 v3, 0, 8, vcc
	v_add_lshl_u32 v3, v3, v6, 2
	ds_bpermute_b32 v5, v3, v4
	;; [unrolled: 10-line block ×4, first 2 shown]
	s_waitcnt lgkmcnt(0)
	v_cmp_u_f32_e32 vcc, v10, v10
	v_cmp_lt_f32_e64 s[2:3], v7, v10
	s_or_b64 vcc, vcc, s[2:3]
	v_cndmask_b32_e32 v7, v7, v10, vcc
	v_cmp_ne_u32_e32 vcc, 63, v9
	s_nop 1
	v_addc_co_u32_e32 v6, vcc, 0, v6, vcc
	v_lshlrev_b32_e32 v6, 2, v6
	ds_bpermute_b32 v9, v6, v7
	v_cmp_eq_u32_e32 vcc, 0, v8
	s_and_saveexec_b64 s[4:5], vcc
	s_cbranch_execz .LBB127_22
; %bb.21:
	s_waitcnt lgkmcnt(0)
	v_cmp_u_f32_e32 vcc, v9, v9
	v_cmp_lt_f32_e64 s[2:3], v7, v9
	s_or_b64 vcc, vcc, s[2:3]
	v_lshrrev_b32_e32 v10, 4, v0
	v_cndmask_b32_e32 v7, v7, v9, vcc
	ds_write_b32 v10, v7
.LBB127_22:
	s_or_b64 exec, exec, s[4:5]
	s_waitcnt lgkmcnt(0)
	s_barrier
	s_load_dword s2, s[0:1], 0xd4c
	v_mov_b32_e32 v7, 0xff7fffff
	s_waitcnt lgkmcnt(0)
	s_bfe_u32 s2, s2, 0xa0006
	v_cmp_gt_u32_e32 vcc, s2, v0
	s_and_saveexec_b64 s[2:3], vcc
	s_cbranch_execnz .LBB127_26
; %bb.23:
	s_or_b64 exec, exec, s[2:3]
	v_cmp_gt_u32_e32 vcc, 64, v0
	s_and_saveexec_b64 s[4:5], vcc
	s_cbranch_execnz .LBB127_27
.LBB127_24:
	s_or_b64 exec, exec, s[4:5]
	v_cmp_eq_u32_e32 vcc, 0, v0
	s_and_saveexec_b64 s[2:3], vcc
	s_cbranch_execnz .LBB127_28
.LBB127_25:
	s_endpgm
.LBB127_26:
	v_lshlrev_b32_e32 v7, 2, v8
	ds_read_b32 v7, v7
	s_or_b64 exec, exec, s[2:3]
	v_cmp_gt_u32_e32 vcc, 64, v0
	s_and_saveexec_b64 s[4:5], vcc
	s_cbranch_execz .LBB127_24
.LBB127_27:
	s_waitcnt lgkmcnt(0)
	ds_bpermute_b32 v1, v1, v7
	s_waitcnt lgkmcnt(0)
	v_cmp_u_f32_e32 vcc, v1, v1
	v_cmp_lt_f32_e64 s[2:3], v7, v1
	s_or_b64 vcc, vcc, s[2:3]
	v_cndmask_b32_e32 v1, v7, v1, vcc
	ds_bpermute_b32 v2, v2, v1
	s_waitcnt lgkmcnt(0)
	v_cmp_u_f32_e32 vcc, v2, v2
	v_cmp_lt_f32_e64 s[2:3], v1, v2
	s_or_b64 vcc, vcc, s[2:3]
	v_cndmask_b32_e32 v1, v1, v2, vcc
	;; [unrolled: 6-line block ×6, first 2 shown]
	s_or_b64 exec, exec, s[4:5]
	v_cmp_eq_u32_e32 vcc, 0, v0
	s_and_saveexec_b64 s[2:3], vcc
	s_cbranch_execz .LBB127_25
.LBB127_28:
	s_load_dword s4, s[0:1], 0xd20
	s_load_dword s5, s[0:1], 0xd38
	s_load_dwordx2 s[2:3], s[0:1], 0xd30
	v_mov_b32_e32 v0, 0
	s_waitcnt lgkmcnt(0)
	s_add_i32 s0, s4, s22
	s_mul_i32 s0, s0, s5
	s_add_i32 s0, s0, s10
	s_ashr_i32 s1, s0, 31
	s_lshl_b64 s[0:1], s[0:1], 2
	s_add_u32 s0, s2, s0
	s_addc_u32 s1, s3, s1
	global_store_dword v0, v7, s[0:1]
	s_endpgm
	.section	.rodata,"a",@progbits
	.p2align	6, 0x0
	.amdhsa_kernel _ZN2at6native12_GLOBAL__N_125multi_tensor_apply_kernelINS1_18TensorListMetadataILi1EEENS0_13LpNormFunctorIN3c108BFloat16ELNS0_8NormTypeE3EfLi1ELi1ELi0EEEJPfiEEEvT_T0_DpT1_
		.amdhsa_group_segment_fixed_size 2048
		.amdhsa_private_segment_fixed_size 0
		.amdhsa_kernarg_size 3648
		.amdhsa_user_sgpr_count 2
		.amdhsa_user_sgpr_dispatch_ptr 0
		.amdhsa_user_sgpr_queue_ptr 0
		.amdhsa_user_sgpr_kernarg_segment_ptr 1
		.amdhsa_user_sgpr_dispatch_id 0
		.amdhsa_user_sgpr_kernarg_preload_length 0
		.amdhsa_user_sgpr_kernarg_preload_offset 0
		.amdhsa_user_sgpr_private_segment_size 0
		.amdhsa_uses_dynamic_stack 0
		.amdhsa_enable_private_segment 0
		.amdhsa_system_sgpr_workgroup_id_x 1
		.amdhsa_system_sgpr_workgroup_id_y 0
		.amdhsa_system_sgpr_workgroup_id_z 0
		.amdhsa_system_sgpr_workgroup_info 0
		.amdhsa_system_vgpr_workitem_id 0
		.amdhsa_next_free_vgpr 18
		.amdhsa_next_free_sgpr 32
		.amdhsa_accum_offset 20
		.amdhsa_reserve_vcc 1
		.amdhsa_float_round_mode_32 0
		.amdhsa_float_round_mode_16_64 0
		.amdhsa_float_denorm_mode_32 3
		.amdhsa_float_denorm_mode_16_64 3
		.amdhsa_dx10_clamp 1
		.amdhsa_ieee_mode 1
		.amdhsa_fp16_overflow 0
		.amdhsa_tg_split 0
		.amdhsa_exception_fp_ieee_invalid_op 0
		.amdhsa_exception_fp_denorm_src 0
		.amdhsa_exception_fp_ieee_div_zero 0
		.amdhsa_exception_fp_ieee_overflow 0
		.amdhsa_exception_fp_ieee_underflow 0
		.amdhsa_exception_fp_ieee_inexact 0
		.amdhsa_exception_int_div_zero 0
	.end_amdhsa_kernel
	.section	.text._ZN2at6native12_GLOBAL__N_125multi_tensor_apply_kernelINS1_18TensorListMetadataILi1EEENS0_13LpNormFunctorIN3c108BFloat16ELNS0_8NormTypeE3EfLi1ELi1ELi0EEEJPfiEEEvT_T0_DpT1_,"axG",@progbits,_ZN2at6native12_GLOBAL__N_125multi_tensor_apply_kernelINS1_18TensorListMetadataILi1EEENS0_13LpNormFunctorIN3c108BFloat16ELNS0_8NormTypeE3EfLi1ELi1ELi0EEEJPfiEEEvT_T0_DpT1_,comdat
.Lfunc_end127:
	.size	_ZN2at6native12_GLOBAL__N_125multi_tensor_apply_kernelINS1_18TensorListMetadataILi1EEENS0_13LpNormFunctorIN3c108BFloat16ELNS0_8NormTypeE3EfLi1ELi1ELi0EEEJPfiEEEvT_T0_DpT1_, .Lfunc_end127-_ZN2at6native12_GLOBAL__N_125multi_tensor_apply_kernelINS1_18TensorListMetadataILi1EEENS0_13LpNormFunctorIN3c108BFloat16ELNS0_8NormTypeE3EfLi1ELi1ELi0EEEJPfiEEEvT_T0_DpT1_
                                        ; -- End function
	.set _ZN2at6native12_GLOBAL__N_125multi_tensor_apply_kernelINS1_18TensorListMetadataILi1EEENS0_13LpNormFunctorIN3c108BFloat16ELNS0_8NormTypeE3EfLi1ELi1ELi0EEEJPfiEEEvT_T0_DpT1_.num_vgpr, 18
	.set _ZN2at6native12_GLOBAL__N_125multi_tensor_apply_kernelINS1_18TensorListMetadataILi1EEENS0_13LpNormFunctorIN3c108BFloat16ELNS0_8NormTypeE3EfLi1ELi1ELi0EEEJPfiEEEvT_T0_DpT1_.num_agpr, 0
	.set _ZN2at6native12_GLOBAL__N_125multi_tensor_apply_kernelINS1_18TensorListMetadataILi1EEENS0_13LpNormFunctorIN3c108BFloat16ELNS0_8NormTypeE3EfLi1ELi1ELi0EEEJPfiEEEvT_T0_DpT1_.numbered_sgpr, 32
	.set _ZN2at6native12_GLOBAL__N_125multi_tensor_apply_kernelINS1_18TensorListMetadataILi1EEENS0_13LpNormFunctorIN3c108BFloat16ELNS0_8NormTypeE3EfLi1ELi1ELi0EEEJPfiEEEvT_T0_DpT1_.num_named_barrier, 0
	.set _ZN2at6native12_GLOBAL__N_125multi_tensor_apply_kernelINS1_18TensorListMetadataILi1EEENS0_13LpNormFunctorIN3c108BFloat16ELNS0_8NormTypeE3EfLi1ELi1ELi0EEEJPfiEEEvT_T0_DpT1_.private_seg_size, 0
	.set _ZN2at6native12_GLOBAL__N_125multi_tensor_apply_kernelINS1_18TensorListMetadataILi1EEENS0_13LpNormFunctorIN3c108BFloat16ELNS0_8NormTypeE3EfLi1ELi1ELi0EEEJPfiEEEvT_T0_DpT1_.uses_vcc, 1
	.set _ZN2at6native12_GLOBAL__N_125multi_tensor_apply_kernelINS1_18TensorListMetadataILi1EEENS0_13LpNormFunctorIN3c108BFloat16ELNS0_8NormTypeE3EfLi1ELi1ELi0EEEJPfiEEEvT_T0_DpT1_.uses_flat_scratch, 0
	.set _ZN2at6native12_GLOBAL__N_125multi_tensor_apply_kernelINS1_18TensorListMetadataILi1EEENS0_13LpNormFunctorIN3c108BFloat16ELNS0_8NormTypeE3EfLi1ELi1ELi0EEEJPfiEEEvT_T0_DpT1_.has_dyn_sized_stack, 0
	.set _ZN2at6native12_GLOBAL__N_125multi_tensor_apply_kernelINS1_18TensorListMetadataILi1EEENS0_13LpNormFunctorIN3c108BFloat16ELNS0_8NormTypeE3EfLi1ELi1ELi0EEEJPfiEEEvT_T0_DpT1_.has_recursion, 0
	.set _ZN2at6native12_GLOBAL__N_125multi_tensor_apply_kernelINS1_18TensorListMetadataILi1EEENS0_13LpNormFunctorIN3c108BFloat16ELNS0_8NormTypeE3EfLi1ELi1ELi0EEEJPfiEEEvT_T0_DpT1_.has_indirect_call, 0
	.section	.AMDGPU.csdata,"",@progbits
; Kernel info:
; codeLenInByte = 1856
; TotalNumSgprs: 38
; NumVgprs: 18
; NumAgprs: 0
; TotalNumVgprs: 18
; ScratchSize: 0
; MemoryBound: 0
; FloatMode: 240
; IeeeMode: 1
; LDSByteSize: 2048 bytes/workgroup (compile time only)
; SGPRBlocks: 4
; VGPRBlocks: 2
; NumSGPRsForWavesPerEU: 38
; NumVGPRsForWavesPerEU: 18
; AccumOffset: 20
; Occupancy: 8
; WaveLimiterHint : 0
; COMPUTE_PGM_RSRC2:SCRATCH_EN: 0
; COMPUTE_PGM_RSRC2:USER_SGPR: 2
; COMPUTE_PGM_RSRC2:TRAP_HANDLER: 0
; COMPUTE_PGM_RSRC2:TGID_X_EN: 1
; COMPUTE_PGM_RSRC2:TGID_Y_EN: 0
; COMPUTE_PGM_RSRC2:TGID_Z_EN: 0
; COMPUTE_PGM_RSRC2:TIDIG_COMP_CNT: 0
; COMPUTE_PGM_RSRC3_GFX90A:ACCUM_OFFSET: 4
; COMPUTE_PGM_RSRC3_GFX90A:TG_SPLIT: 0
	.section	.text._ZN2at6native14lpnorm_cleanupIN3c108BFloat16ELNS0_8NormTypeE0EfLb1EfEEvPKT3_NS0_19TensorListAddressesEi,"axG",@progbits,_ZN2at6native14lpnorm_cleanupIN3c108BFloat16ELNS0_8NormTypeE0EfLb1EfEEvPKT3_NS0_19TensorListAddressesEi,comdat
	.protected	_ZN2at6native14lpnorm_cleanupIN3c108BFloat16ELNS0_8NormTypeE0EfLb1EfEEvPKT3_NS0_19TensorListAddressesEi ; -- Begin function _ZN2at6native14lpnorm_cleanupIN3c108BFloat16ELNS0_8NormTypeE0EfLb1EfEEvPKT3_NS0_19TensorListAddressesEi
	.globl	_ZN2at6native14lpnorm_cleanupIN3c108BFloat16ELNS0_8NormTypeE0EfLb1EfEEvPKT3_NS0_19TensorListAddressesEi
	.p2align	8
	.type	_ZN2at6native14lpnorm_cleanupIN3c108BFloat16ELNS0_8NormTypeE0EfLb1EfEEvPKT3_NS0_19TensorListAddressesEi,@function
_ZN2at6native14lpnorm_cleanupIN3c108BFloat16ELNS0_8NormTypeE0EfLb1EfEEvPKT3_NS0_19TensorListAddressesEi: ; @_ZN2at6native14lpnorm_cleanupIN3c108BFloat16ELNS0_8NormTypeE0EfLb1EfEEvPKT3_NS0_19TensorListAddressesEi
; %bb.0:
	s_load_dword s6, s[0:1], 0xc88
	v_mov_b32_e32 v1, 0
	s_waitcnt lgkmcnt(0)
	v_cmp_gt_u32_e32 vcc, s6, v0
	s_and_saveexec_b64 s[4:5], vcc
	s_cbranch_execz .LBB128_4
; %bb.1:
	s_load_dwordx2 s[12:13], s[0:1], 0x0
	s_load_dword s3, s[0:1], 0xc9c
	s_mul_i32 s8, s6, s2
	s_mov_b32 s9, 0
	s_ashr_i32 s7, s6, 31
	s_lshl_b64 s[14:15], s[8:9], 2
	s_waitcnt lgkmcnt(0)
	s_and_b32 s10, s3, 0xffff
	v_mov_b32_e32 v1, 0
	s_add_u32 s12, s12, s14
	v_lshlrev_b32_e32 v2, 2, v0
	v_mov_b32_e32 v3, v1
	s_addc_u32 s13, s13, s15
	s_mov_b32 s11, s9
	v_lshl_add_u64 v[2:3], s[12:13], 0, v[2:3]
	s_lshl_b32 s8, s10, 2
	s_mov_b64 s[12:13], 0
	v_mov_b64_e32 v[4:5], v[0:1]
.LBB128_2:                              ; =>This Inner Loop Header: Depth=1
	global_load_dword v6, v[2:3], off
	v_lshl_add_u64 v[4:5], v[4:5], 0, s[10:11]
	v_cmp_le_u64_e32 vcc, s[6:7], v[4:5]
	v_lshl_add_u64 v[2:3], v[2:3], 0, s[8:9]
	s_or_b64 s[12:13], vcc, s[12:13]
	s_waitcnt vmcnt(0)
	v_add_f32_e32 v1, v1, v6
	s_andn2_b64 exec, exec, s[12:13]
	s_cbranch_execnz .LBB128_2
; %bb.3:
	s_or_b64 exec, exec, s[12:13]
.LBB128_4:
	s_or_b64 exec, exec, s[4:5]
	v_mbcnt_lo_u32_b32 v2, -1, 0
	v_mbcnt_hi_u32_b32 v6, -1, v2
	v_mov_b32_e32 v2, 0x80
	v_lshl_or_b32 v2, v6, 2, v2
	ds_bpermute_b32 v3, v2, v1
	v_and_b32_e32 v7, 63, v6
	v_cmp_gt_u32_e32 vcc, 48, v7
	s_waitcnt lgkmcnt(0)
	s_barrier
	v_cndmask_b32_e64 v4, 0, 16, vcc
	v_add_f32_e32 v5, v1, v3
	v_add_lshl_u32 v1, v4, v6, 2
	ds_bpermute_b32 v4, v1, v5
	v_cmp_gt_u32_e32 vcc, 56, v7
	s_waitcnt lgkmcnt(0)
	v_add_f32_e32 v5, v5, v4
	v_cndmask_b32_e64 v3, 0, 8, vcc
	v_add_lshl_u32 v3, v3, v6, 2
	ds_bpermute_b32 v8, v3, v5
	v_cmp_gt_u32_e32 vcc, 60, v7
	s_waitcnt lgkmcnt(0)
	v_add_f32_e32 v8, v5, v8
	v_cndmask_b32_e64 v4, 0, 4, vcc
	;; [unrolled: 6-line block ×3, first 2 shown]
	v_add_lshl_u32 v5, v5, v6, 2
	ds_bpermute_b32 v10, v5, v9
	v_cmp_ne_u32_e32 vcc, 63, v7
	v_and_b32_e32 v8, 63, v0
	s_waitcnt lgkmcnt(0)
	v_add_f32_e32 v7, v9, v10
	v_addc_co_u32_e32 v6, vcc, 0, v6, vcc
	v_lshlrev_b32_e32 v6, 2, v6
	ds_bpermute_b32 v9, v6, v7
	v_cmp_eq_u32_e32 vcc, 0, v8
	s_and_saveexec_b64 s[4:5], vcc
	s_cbranch_execz .LBB128_6
; %bb.5:
	s_waitcnt lgkmcnt(0)
	v_add_f32_e32 v7, v7, v9
	v_lshrrev_b32_e32 v9, 4, v0
	ds_write_b32 v9, v7
.LBB128_6:
	s_or_b64 exec, exec, s[4:5]
	s_waitcnt lgkmcnt(0)
	s_barrier
	s_load_dword s3, s[0:1], 0xc9c
	v_mov_b32_e32 v7, 0
	s_waitcnt lgkmcnt(0)
	s_bfe_u32 s3, s3, 0xa0006
	v_cmp_gt_u32_e32 vcc, s3, v0
	s_and_saveexec_b64 s[4:5], vcc
; %bb.7:
	v_lshlrev_b32_e32 v7, 2, v8
	ds_read_b32 v7, v7
; %bb.8:
	s_or_b64 exec, exec, s[4:5]
	v_cmp_gt_u32_e32 vcc, 64, v0
	s_and_saveexec_b64 s[4:5], vcc
	s_cbranch_execz .LBB128_10
; %bb.9:
	s_waitcnt lgkmcnt(0)
	ds_bpermute_b32 v2, v2, v7
	s_waitcnt lgkmcnt(0)
	v_add_f32_e32 v2, v7, v2
	ds_bpermute_b32 v1, v1, v2
	s_waitcnt lgkmcnt(0)
	v_add_f32_e32 v1, v2, v1
	;; [unrolled: 3-line block ×6, first 2 shown]
.LBB128_10:
	s_or_b64 exec, exec, s[4:5]
	s_mov_b32 s3, 0
	v_cmp_eq_u32_e32 vcc, 0, v0
	s_and_saveexec_b64 s[4:5], vcc
	s_cbranch_execz .LBB128_12
; %bb.11:
	s_lshl_b64 s[2:3], s[2:3], 3
	s_add_u32 s0, s0, s2
	s_addc_u32 s1, s1, s3
	s_load_dwordx2 s[0:1], s[0:1], 0x8
	v_mov_b32_e32 v0, 0
	s_waitcnt lgkmcnt(0)
	global_store_dword v0, v7, s[0:1]
.LBB128_12:
	s_endpgm
	.section	.rodata,"a",@progbits
	.p2align	6, 0x0
	.amdhsa_kernel _ZN2at6native14lpnorm_cleanupIN3c108BFloat16ELNS0_8NormTypeE0EfLb1EfEEvPKT3_NS0_19TensorListAddressesEi
		.amdhsa_group_segment_fixed_size 2048
		.amdhsa_private_segment_fixed_size 0
		.amdhsa_kernarg_size 3472
		.amdhsa_user_sgpr_count 2
		.amdhsa_user_sgpr_dispatch_ptr 0
		.amdhsa_user_sgpr_queue_ptr 0
		.amdhsa_user_sgpr_kernarg_segment_ptr 1
		.amdhsa_user_sgpr_dispatch_id 0
		.amdhsa_user_sgpr_kernarg_preload_length 0
		.amdhsa_user_sgpr_kernarg_preload_offset 0
		.amdhsa_user_sgpr_private_segment_size 0
		.amdhsa_uses_dynamic_stack 0
		.amdhsa_enable_private_segment 0
		.amdhsa_system_sgpr_workgroup_id_x 1
		.amdhsa_system_sgpr_workgroup_id_y 0
		.amdhsa_system_sgpr_workgroup_id_z 0
		.amdhsa_system_sgpr_workgroup_info 0
		.amdhsa_system_vgpr_workitem_id 0
		.amdhsa_next_free_vgpr 11
		.amdhsa_next_free_sgpr 16
		.amdhsa_accum_offset 12
		.amdhsa_reserve_vcc 1
		.amdhsa_float_round_mode_32 0
		.amdhsa_float_round_mode_16_64 0
		.amdhsa_float_denorm_mode_32 3
		.amdhsa_float_denorm_mode_16_64 3
		.amdhsa_dx10_clamp 1
		.amdhsa_ieee_mode 1
		.amdhsa_fp16_overflow 0
		.amdhsa_tg_split 0
		.amdhsa_exception_fp_ieee_invalid_op 0
		.amdhsa_exception_fp_denorm_src 0
		.amdhsa_exception_fp_ieee_div_zero 0
		.amdhsa_exception_fp_ieee_overflow 0
		.amdhsa_exception_fp_ieee_underflow 0
		.amdhsa_exception_fp_ieee_inexact 0
		.amdhsa_exception_int_div_zero 0
	.end_amdhsa_kernel
	.section	.text._ZN2at6native14lpnorm_cleanupIN3c108BFloat16ELNS0_8NormTypeE0EfLb1EfEEvPKT3_NS0_19TensorListAddressesEi,"axG",@progbits,_ZN2at6native14lpnorm_cleanupIN3c108BFloat16ELNS0_8NormTypeE0EfLb1EfEEvPKT3_NS0_19TensorListAddressesEi,comdat
.Lfunc_end128:
	.size	_ZN2at6native14lpnorm_cleanupIN3c108BFloat16ELNS0_8NormTypeE0EfLb1EfEEvPKT3_NS0_19TensorListAddressesEi, .Lfunc_end128-_ZN2at6native14lpnorm_cleanupIN3c108BFloat16ELNS0_8NormTypeE0EfLb1EfEEvPKT3_NS0_19TensorListAddressesEi
                                        ; -- End function
	.set _ZN2at6native14lpnorm_cleanupIN3c108BFloat16ELNS0_8NormTypeE0EfLb1EfEEvPKT3_NS0_19TensorListAddressesEi.num_vgpr, 11
	.set _ZN2at6native14lpnorm_cleanupIN3c108BFloat16ELNS0_8NormTypeE0EfLb1EfEEvPKT3_NS0_19TensorListAddressesEi.num_agpr, 0
	.set _ZN2at6native14lpnorm_cleanupIN3c108BFloat16ELNS0_8NormTypeE0EfLb1EfEEvPKT3_NS0_19TensorListAddressesEi.numbered_sgpr, 16
	.set _ZN2at6native14lpnorm_cleanupIN3c108BFloat16ELNS0_8NormTypeE0EfLb1EfEEvPKT3_NS0_19TensorListAddressesEi.num_named_barrier, 0
	.set _ZN2at6native14lpnorm_cleanupIN3c108BFloat16ELNS0_8NormTypeE0EfLb1EfEEvPKT3_NS0_19TensorListAddressesEi.private_seg_size, 0
	.set _ZN2at6native14lpnorm_cleanupIN3c108BFloat16ELNS0_8NormTypeE0EfLb1EfEEvPKT3_NS0_19TensorListAddressesEi.uses_vcc, 1
	.set _ZN2at6native14lpnorm_cleanupIN3c108BFloat16ELNS0_8NormTypeE0EfLb1EfEEvPKT3_NS0_19TensorListAddressesEi.uses_flat_scratch, 0
	.set _ZN2at6native14lpnorm_cleanupIN3c108BFloat16ELNS0_8NormTypeE0EfLb1EfEEvPKT3_NS0_19TensorListAddressesEi.has_dyn_sized_stack, 0
	.set _ZN2at6native14lpnorm_cleanupIN3c108BFloat16ELNS0_8NormTypeE0EfLb1EfEEvPKT3_NS0_19TensorListAddressesEi.has_recursion, 0
	.set _ZN2at6native14lpnorm_cleanupIN3c108BFloat16ELNS0_8NormTypeE0EfLb1EfEEvPKT3_NS0_19TensorListAddressesEi.has_indirect_call, 0
	.section	.AMDGPU.csdata,"",@progbits
; Kernel info:
; codeLenInByte = 660
; TotalNumSgprs: 22
; NumVgprs: 11
; NumAgprs: 0
; TotalNumVgprs: 11
; ScratchSize: 0
; MemoryBound: 0
; FloatMode: 240
; IeeeMode: 1
; LDSByteSize: 2048 bytes/workgroup (compile time only)
; SGPRBlocks: 2
; VGPRBlocks: 1
; NumSGPRsForWavesPerEU: 22
; NumVGPRsForWavesPerEU: 11
; AccumOffset: 12
; Occupancy: 8
; WaveLimiterHint : 0
; COMPUTE_PGM_RSRC2:SCRATCH_EN: 0
; COMPUTE_PGM_RSRC2:USER_SGPR: 2
; COMPUTE_PGM_RSRC2:TRAP_HANDLER: 0
; COMPUTE_PGM_RSRC2:TGID_X_EN: 1
; COMPUTE_PGM_RSRC2:TGID_Y_EN: 0
; COMPUTE_PGM_RSRC2:TGID_Z_EN: 0
; COMPUTE_PGM_RSRC2:TIDIG_COMP_CNT: 0
; COMPUTE_PGM_RSRC3_GFX90A:ACCUM_OFFSET: 2
; COMPUTE_PGM_RSRC3_GFX90A:TG_SPLIT: 0
	.section	.text._ZN2at6native14lpnorm_cleanupIN3c108BFloat16ELNS0_8NormTypeE1EfLb1EfEEvPKT3_NS0_19TensorListAddressesEi,"axG",@progbits,_ZN2at6native14lpnorm_cleanupIN3c108BFloat16ELNS0_8NormTypeE1EfLb1EfEEvPKT3_NS0_19TensorListAddressesEi,comdat
	.protected	_ZN2at6native14lpnorm_cleanupIN3c108BFloat16ELNS0_8NormTypeE1EfLb1EfEEvPKT3_NS0_19TensorListAddressesEi ; -- Begin function _ZN2at6native14lpnorm_cleanupIN3c108BFloat16ELNS0_8NormTypeE1EfLb1EfEEvPKT3_NS0_19TensorListAddressesEi
	.globl	_ZN2at6native14lpnorm_cleanupIN3c108BFloat16ELNS0_8NormTypeE1EfLb1EfEEvPKT3_NS0_19TensorListAddressesEi
	.p2align	8
	.type	_ZN2at6native14lpnorm_cleanupIN3c108BFloat16ELNS0_8NormTypeE1EfLb1EfEEvPKT3_NS0_19TensorListAddressesEi,@function
_ZN2at6native14lpnorm_cleanupIN3c108BFloat16ELNS0_8NormTypeE1EfLb1EfEEvPKT3_NS0_19TensorListAddressesEi: ; @_ZN2at6native14lpnorm_cleanupIN3c108BFloat16ELNS0_8NormTypeE1EfLb1EfEEvPKT3_NS0_19TensorListAddressesEi
; %bb.0:
	s_load_dword s6, s[0:1], 0xc88
	v_mov_b32_e32 v1, 0
	s_waitcnt lgkmcnt(0)
	v_cmp_gt_u32_e32 vcc, s6, v0
	s_and_saveexec_b64 s[4:5], vcc
	s_cbranch_execz .LBB129_4
; %bb.1:
	s_load_dwordx2 s[12:13], s[0:1], 0x0
	s_load_dword s3, s[0:1], 0xc9c
	s_mul_i32 s8, s6, s2
	s_mov_b32 s9, 0
	s_ashr_i32 s7, s6, 31
	s_lshl_b64 s[14:15], s[8:9], 2
	s_waitcnt lgkmcnt(0)
	s_and_b32 s10, s3, 0xffff
	v_mov_b32_e32 v1, 0
	s_add_u32 s12, s12, s14
	v_lshlrev_b32_e32 v2, 2, v0
	v_mov_b32_e32 v3, v1
	s_addc_u32 s13, s13, s15
	s_mov_b32 s11, s9
	v_lshl_add_u64 v[2:3], s[12:13], 0, v[2:3]
	s_lshl_b32 s8, s10, 2
	s_mov_b64 s[12:13], 0
	v_mov_b64_e32 v[4:5], v[0:1]
.LBB129_2:                              ; =>This Inner Loop Header: Depth=1
	global_load_dword v6, v[2:3], off
	v_lshl_add_u64 v[4:5], v[4:5], 0, s[10:11]
	v_cmp_le_u64_e32 vcc, s[6:7], v[4:5]
	v_lshl_add_u64 v[2:3], v[2:3], 0, s[8:9]
	s_or_b64 s[12:13], vcc, s[12:13]
	s_waitcnt vmcnt(0)
	v_add_f32_e32 v1, v1, v6
	s_andn2_b64 exec, exec, s[12:13]
	s_cbranch_execnz .LBB129_2
; %bb.3:
	s_or_b64 exec, exec, s[12:13]
.LBB129_4:
	s_or_b64 exec, exec, s[4:5]
	v_mbcnt_lo_u32_b32 v2, -1, 0
	v_mbcnt_hi_u32_b32 v6, -1, v2
	v_mov_b32_e32 v2, 0x80
	v_lshl_or_b32 v2, v6, 2, v2
	ds_bpermute_b32 v3, v2, v1
	v_and_b32_e32 v7, 63, v6
	v_cmp_gt_u32_e32 vcc, 48, v7
	s_waitcnt lgkmcnt(0)
	s_barrier
	v_cndmask_b32_e64 v4, 0, 16, vcc
	v_add_f32_e32 v5, v1, v3
	v_add_lshl_u32 v1, v4, v6, 2
	ds_bpermute_b32 v4, v1, v5
	v_cmp_gt_u32_e32 vcc, 56, v7
	s_waitcnt lgkmcnt(0)
	v_add_f32_e32 v5, v5, v4
	v_cndmask_b32_e64 v3, 0, 8, vcc
	v_add_lshl_u32 v3, v3, v6, 2
	ds_bpermute_b32 v8, v3, v5
	v_cmp_gt_u32_e32 vcc, 60, v7
	s_waitcnt lgkmcnt(0)
	v_add_f32_e32 v8, v5, v8
	v_cndmask_b32_e64 v4, 0, 4, vcc
	;; [unrolled: 6-line block ×3, first 2 shown]
	v_add_lshl_u32 v5, v5, v6, 2
	ds_bpermute_b32 v10, v5, v9
	v_cmp_ne_u32_e32 vcc, 63, v7
	v_and_b32_e32 v8, 63, v0
	s_waitcnt lgkmcnt(0)
	v_add_f32_e32 v7, v9, v10
	v_addc_co_u32_e32 v6, vcc, 0, v6, vcc
	v_lshlrev_b32_e32 v6, 2, v6
	ds_bpermute_b32 v9, v6, v7
	v_cmp_eq_u32_e32 vcc, 0, v8
	s_and_saveexec_b64 s[4:5], vcc
	s_cbranch_execz .LBB129_6
; %bb.5:
	s_waitcnt lgkmcnt(0)
	v_add_f32_e32 v7, v7, v9
	v_lshrrev_b32_e32 v9, 4, v0
	ds_write_b32 v9, v7
.LBB129_6:
	s_or_b64 exec, exec, s[4:5]
	s_waitcnt lgkmcnt(0)
	s_barrier
	s_load_dword s3, s[0:1], 0xc9c
	v_mov_b32_e32 v7, 0
	s_waitcnt lgkmcnt(0)
	s_bfe_u32 s3, s3, 0xa0006
	v_cmp_gt_u32_e32 vcc, s3, v0
	s_and_saveexec_b64 s[4:5], vcc
; %bb.7:
	v_lshlrev_b32_e32 v7, 2, v8
	ds_read_b32 v7, v7
; %bb.8:
	s_or_b64 exec, exec, s[4:5]
	v_cmp_gt_u32_e32 vcc, 64, v0
	s_and_saveexec_b64 s[4:5], vcc
	s_cbranch_execz .LBB129_10
; %bb.9:
	s_waitcnt lgkmcnt(0)
	ds_bpermute_b32 v2, v2, v7
	s_waitcnt lgkmcnt(0)
	v_add_f32_e32 v2, v7, v2
	ds_bpermute_b32 v1, v1, v2
	s_waitcnt lgkmcnt(0)
	v_add_f32_e32 v1, v2, v1
	;; [unrolled: 3-line block ×6, first 2 shown]
.LBB129_10:
	s_or_b64 exec, exec, s[4:5]
	s_mov_b32 s3, 0
	v_cmp_eq_u32_e32 vcc, 0, v0
	s_and_saveexec_b64 s[4:5], vcc
	s_cbranch_execz .LBB129_12
; %bb.11:
	s_lshl_b64 s[2:3], s[2:3], 3
	s_add_u32 s0, s0, s2
	s_addc_u32 s1, s1, s3
	s_load_dwordx2 s[0:1], s[0:1], 0x8
	v_mov_b32_e32 v0, 0
	s_waitcnt lgkmcnt(0)
	global_store_dword v0, v7, s[0:1]
.LBB129_12:
	s_endpgm
	.section	.rodata,"a",@progbits
	.p2align	6, 0x0
	.amdhsa_kernel _ZN2at6native14lpnorm_cleanupIN3c108BFloat16ELNS0_8NormTypeE1EfLb1EfEEvPKT3_NS0_19TensorListAddressesEi
		.amdhsa_group_segment_fixed_size 2048
		.amdhsa_private_segment_fixed_size 0
		.amdhsa_kernarg_size 3472
		.amdhsa_user_sgpr_count 2
		.amdhsa_user_sgpr_dispatch_ptr 0
		.amdhsa_user_sgpr_queue_ptr 0
		.amdhsa_user_sgpr_kernarg_segment_ptr 1
		.amdhsa_user_sgpr_dispatch_id 0
		.amdhsa_user_sgpr_kernarg_preload_length 0
		.amdhsa_user_sgpr_kernarg_preload_offset 0
		.amdhsa_user_sgpr_private_segment_size 0
		.amdhsa_uses_dynamic_stack 0
		.amdhsa_enable_private_segment 0
		.amdhsa_system_sgpr_workgroup_id_x 1
		.amdhsa_system_sgpr_workgroup_id_y 0
		.amdhsa_system_sgpr_workgroup_id_z 0
		.amdhsa_system_sgpr_workgroup_info 0
		.amdhsa_system_vgpr_workitem_id 0
		.amdhsa_next_free_vgpr 11
		.amdhsa_next_free_sgpr 16
		.amdhsa_accum_offset 12
		.amdhsa_reserve_vcc 1
		.amdhsa_float_round_mode_32 0
		.amdhsa_float_round_mode_16_64 0
		.amdhsa_float_denorm_mode_32 3
		.amdhsa_float_denorm_mode_16_64 3
		.amdhsa_dx10_clamp 1
		.amdhsa_ieee_mode 1
		.amdhsa_fp16_overflow 0
		.amdhsa_tg_split 0
		.amdhsa_exception_fp_ieee_invalid_op 0
		.amdhsa_exception_fp_denorm_src 0
		.amdhsa_exception_fp_ieee_div_zero 0
		.amdhsa_exception_fp_ieee_overflow 0
		.amdhsa_exception_fp_ieee_underflow 0
		.amdhsa_exception_fp_ieee_inexact 0
		.amdhsa_exception_int_div_zero 0
	.end_amdhsa_kernel
	.section	.text._ZN2at6native14lpnorm_cleanupIN3c108BFloat16ELNS0_8NormTypeE1EfLb1EfEEvPKT3_NS0_19TensorListAddressesEi,"axG",@progbits,_ZN2at6native14lpnorm_cleanupIN3c108BFloat16ELNS0_8NormTypeE1EfLb1EfEEvPKT3_NS0_19TensorListAddressesEi,comdat
.Lfunc_end129:
	.size	_ZN2at6native14lpnorm_cleanupIN3c108BFloat16ELNS0_8NormTypeE1EfLb1EfEEvPKT3_NS0_19TensorListAddressesEi, .Lfunc_end129-_ZN2at6native14lpnorm_cleanupIN3c108BFloat16ELNS0_8NormTypeE1EfLb1EfEEvPKT3_NS0_19TensorListAddressesEi
                                        ; -- End function
	.set _ZN2at6native14lpnorm_cleanupIN3c108BFloat16ELNS0_8NormTypeE1EfLb1EfEEvPKT3_NS0_19TensorListAddressesEi.num_vgpr, 11
	.set _ZN2at6native14lpnorm_cleanupIN3c108BFloat16ELNS0_8NormTypeE1EfLb1EfEEvPKT3_NS0_19TensorListAddressesEi.num_agpr, 0
	.set _ZN2at6native14lpnorm_cleanupIN3c108BFloat16ELNS0_8NormTypeE1EfLb1EfEEvPKT3_NS0_19TensorListAddressesEi.numbered_sgpr, 16
	.set _ZN2at6native14lpnorm_cleanupIN3c108BFloat16ELNS0_8NormTypeE1EfLb1EfEEvPKT3_NS0_19TensorListAddressesEi.num_named_barrier, 0
	.set _ZN2at6native14lpnorm_cleanupIN3c108BFloat16ELNS0_8NormTypeE1EfLb1EfEEvPKT3_NS0_19TensorListAddressesEi.private_seg_size, 0
	.set _ZN2at6native14lpnorm_cleanupIN3c108BFloat16ELNS0_8NormTypeE1EfLb1EfEEvPKT3_NS0_19TensorListAddressesEi.uses_vcc, 1
	.set _ZN2at6native14lpnorm_cleanupIN3c108BFloat16ELNS0_8NormTypeE1EfLb1EfEEvPKT3_NS0_19TensorListAddressesEi.uses_flat_scratch, 0
	.set _ZN2at6native14lpnorm_cleanupIN3c108BFloat16ELNS0_8NormTypeE1EfLb1EfEEvPKT3_NS0_19TensorListAddressesEi.has_dyn_sized_stack, 0
	.set _ZN2at6native14lpnorm_cleanupIN3c108BFloat16ELNS0_8NormTypeE1EfLb1EfEEvPKT3_NS0_19TensorListAddressesEi.has_recursion, 0
	.set _ZN2at6native14lpnorm_cleanupIN3c108BFloat16ELNS0_8NormTypeE1EfLb1EfEEvPKT3_NS0_19TensorListAddressesEi.has_indirect_call, 0
	.section	.AMDGPU.csdata,"",@progbits
; Kernel info:
; codeLenInByte = 660
; TotalNumSgprs: 22
; NumVgprs: 11
; NumAgprs: 0
; TotalNumVgprs: 11
; ScratchSize: 0
; MemoryBound: 0
; FloatMode: 240
; IeeeMode: 1
; LDSByteSize: 2048 bytes/workgroup (compile time only)
; SGPRBlocks: 2
; VGPRBlocks: 1
; NumSGPRsForWavesPerEU: 22
; NumVGPRsForWavesPerEU: 11
; AccumOffset: 12
; Occupancy: 8
; WaveLimiterHint : 0
; COMPUTE_PGM_RSRC2:SCRATCH_EN: 0
; COMPUTE_PGM_RSRC2:USER_SGPR: 2
; COMPUTE_PGM_RSRC2:TRAP_HANDLER: 0
; COMPUTE_PGM_RSRC2:TGID_X_EN: 1
; COMPUTE_PGM_RSRC2:TGID_Y_EN: 0
; COMPUTE_PGM_RSRC2:TGID_Z_EN: 0
; COMPUTE_PGM_RSRC2:TIDIG_COMP_CNT: 0
; COMPUTE_PGM_RSRC3_GFX90A:ACCUM_OFFSET: 2
; COMPUTE_PGM_RSRC3_GFX90A:TG_SPLIT: 0
	.section	.text._ZN2at6native14lpnorm_cleanupIN3c108BFloat16ELNS0_8NormTypeE2EfLb1EfEEvPKT3_NS0_19TensorListAddressesEi,"axG",@progbits,_ZN2at6native14lpnorm_cleanupIN3c108BFloat16ELNS0_8NormTypeE2EfLb1EfEEvPKT3_NS0_19TensorListAddressesEi,comdat
	.protected	_ZN2at6native14lpnorm_cleanupIN3c108BFloat16ELNS0_8NormTypeE2EfLb1EfEEvPKT3_NS0_19TensorListAddressesEi ; -- Begin function _ZN2at6native14lpnorm_cleanupIN3c108BFloat16ELNS0_8NormTypeE2EfLb1EfEEvPKT3_NS0_19TensorListAddressesEi
	.globl	_ZN2at6native14lpnorm_cleanupIN3c108BFloat16ELNS0_8NormTypeE2EfLb1EfEEvPKT3_NS0_19TensorListAddressesEi
	.p2align	8
	.type	_ZN2at6native14lpnorm_cleanupIN3c108BFloat16ELNS0_8NormTypeE2EfLb1EfEEvPKT3_NS0_19TensorListAddressesEi,@function
_ZN2at6native14lpnorm_cleanupIN3c108BFloat16ELNS0_8NormTypeE2EfLb1EfEEvPKT3_NS0_19TensorListAddressesEi: ; @_ZN2at6native14lpnorm_cleanupIN3c108BFloat16ELNS0_8NormTypeE2EfLb1EfEEvPKT3_NS0_19TensorListAddressesEi
; %bb.0:
	s_load_dword s6, s[0:1], 0xc88
	v_mov_b32_e32 v1, 0
	s_waitcnt lgkmcnt(0)
	v_cmp_gt_u32_e32 vcc, s6, v0
	s_and_saveexec_b64 s[4:5], vcc
	s_cbranch_execz .LBB130_4
; %bb.1:
	s_load_dwordx2 s[12:13], s[0:1], 0x0
	s_load_dword s3, s[0:1], 0xc9c
	s_mul_i32 s8, s6, s2
	s_mov_b32 s9, 0
	s_ashr_i32 s7, s6, 31
	s_lshl_b64 s[14:15], s[8:9], 2
	s_waitcnt lgkmcnt(0)
	s_and_b32 s10, s3, 0xffff
	v_mov_b32_e32 v1, 0
	s_add_u32 s12, s12, s14
	v_lshlrev_b32_e32 v2, 2, v0
	v_mov_b32_e32 v3, v1
	s_addc_u32 s13, s13, s15
	s_mov_b32 s11, s9
	v_lshl_add_u64 v[2:3], s[12:13], 0, v[2:3]
	s_lshl_b32 s8, s10, 2
	s_mov_b64 s[12:13], 0
	v_mov_b64_e32 v[4:5], v[0:1]
.LBB130_2:                              ; =>This Inner Loop Header: Depth=1
	global_load_dword v6, v[2:3], off
	v_lshl_add_u64 v[4:5], v[4:5], 0, s[10:11]
	v_cmp_le_u64_e32 vcc, s[6:7], v[4:5]
	v_lshl_add_u64 v[2:3], v[2:3], 0, s[8:9]
	s_or_b64 s[12:13], vcc, s[12:13]
	s_waitcnt vmcnt(0)
	v_add_f32_e32 v1, v1, v6
	s_andn2_b64 exec, exec, s[12:13]
	s_cbranch_execnz .LBB130_2
; %bb.3:
	s_or_b64 exec, exec, s[12:13]
.LBB130_4:
	s_or_b64 exec, exec, s[4:5]
	v_mbcnt_lo_u32_b32 v2, -1, 0
	v_mbcnt_hi_u32_b32 v6, -1, v2
	v_mov_b32_e32 v2, 0x80
	v_lshl_or_b32 v2, v6, 2, v2
	ds_bpermute_b32 v3, v2, v1
	v_and_b32_e32 v7, 63, v6
	v_cmp_gt_u32_e32 vcc, 48, v7
	s_waitcnt lgkmcnt(0)
	s_barrier
	v_cndmask_b32_e64 v4, 0, 16, vcc
	v_add_f32_e32 v5, v1, v3
	v_add_lshl_u32 v1, v4, v6, 2
	ds_bpermute_b32 v4, v1, v5
	v_cmp_gt_u32_e32 vcc, 56, v7
	s_waitcnt lgkmcnt(0)
	v_add_f32_e32 v5, v5, v4
	v_cndmask_b32_e64 v3, 0, 8, vcc
	v_add_lshl_u32 v3, v3, v6, 2
	ds_bpermute_b32 v8, v3, v5
	v_cmp_gt_u32_e32 vcc, 60, v7
	s_waitcnt lgkmcnt(0)
	v_add_f32_e32 v8, v5, v8
	v_cndmask_b32_e64 v4, 0, 4, vcc
	;; [unrolled: 6-line block ×3, first 2 shown]
	v_add_lshl_u32 v5, v5, v6, 2
	ds_bpermute_b32 v10, v5, v9
	v_cmp_ne_u32_e32 vcc, 63, v7
	v_and_b32_e32 v8, 63, v0
	s_waitcnt lgkmcnt(0)
	v_add_f32_e32 v7, v9, v10
	v_addc_co_u32_e32 v6, vcc, 0, v6, vcc
	v_lshlrev_b32_e32 v6, 2, v6
	ds_bpermute_b32 v9, v6, v7
	v_cmp_eq_u32_e32 vcc, 0, v8
	s_and_saveexec_b64 s[4:5], vcc
	s_cbranch_execz .LBB130_6
; %bb.5:
	s_waitcnt lgkmcnt(0)
	v_add_f32_e32 v7, v7, v9
	v_lshrrev_b32_e32 v9, 4, v0
	ds_write_b32 v9, v7
.LBB130_6:
	s_or_b64 exec, exec, s[4:5]
	s_waitcnt lgkmcnt(0)
	s_barrier
	s_load_dword s3, s[0:1], 0xc9c
	v_mov_b32_e32 v7, 0
	s_waitcnt lgkmcnt(0)
	s_bfe_u32 s3, s3, 0xa0006
	v_cmp_gt_u32_e32 vcc, s3, v0
	s_and_saveexec_b64 s[4:5], vcc
; %bb.7:
	v_lshlrev_b32_e32 v7, 2, v8
	ds_read_b32 v7, v7
; %bb.8:
	s_or_b64 exec, exec, s[4:5]
	v_cmp_gt_u32_e32 vcc, 64, v0
	s_and_saveexec_b64 s[4:5], vcc
	s_cbranch_execz .LBB130_10
; %bb.9:
	s_waitcnt lgkmcnt(0)
	ds_bpermute_b32 v2, v2, v7
	s_waitcnt lgkmcnt(0)
	v_add_f32_e32 v2, v7, v2
	ds_bpermute_b32 v1, v1, v2
	s_waitcnt lgkmcnt(0)
	v_add_f32_e32 v1, v2, v1
	;; [unrolled: 3-line block ×6, first 2 shown]
.LBB130_10:
	s_or_b64 exec, exec, s[4:5]
	s_mov_b32 s3, 0
	v_cmp_eq_u32_e32 vcc, 0, v0
	s_and_saveexec_b64 s[4:5], vcc
	s_cbranch_execz .LBB130_12
; %bb.11:
	s_mov_b32 s4, 0xf800000
	s_waitcnt lgkmcnt(0)
	v_mul_f32_e32 v0, 0x4f800000, v7
	v_cmp_gt_f32_e32 vcc, s4, v7
	s_lshl_b64 s[2:3], s[2:3], 3
	s_add_u32 s2, s0, s2
	v_cndmask_b32_e32 v0, v7, v0, vcc
	v_sqrt_f32_e32 v1, v0
	s_addc_u32 s3, s1, s3
	v_add_u32_e32 v2, -1, v1
	v_fma_f32 v3, -v2, v1, v0
	v_cmp_ge_f32_e64 s[0:1], 0, v3
	v_add_u32_e32 v3, 1, v1
	s_nop 0
	v_cndmask_b32_e64 v2, v1, v2, s[0:1]
	v_fma_f32 v1, -v3, v1, v0
	v_cmp_lt_f32_e64 s[0:1], 0, v1
	s_nop 1
	v_cndmask_b32_e64 v1, v2, v3, s[0:1]
	s_load_dwordx2 s[0:1], s[2:3], 0x8
	v_mul_f32_e32 v2, 0x37800000, v1
	v_cndmask_b32_e32 v1, v1, v2, vcc
	v_mov_b32_e32 v2, 0x260
	v_cmp_class_f32_e32 vcc, v0, v2
	s_nop 1
	v_cndmask_b32_e32 v0, v1, v0, vcc
	v_mov_b32_e32 v1, 0
	s_waitcnt lgkmcnt(0)
	global_store_dword v1, v0, s[0:1]
.LBB130_12:
	s_endpgm
	.section	.rodata,"a",@progbits
	.p2align	6, 0x0
	.amdhsa_kernel _ZN2at6native14lpnorm_cleanupIN3c108BFloat16ELNS0_8NormTypeE2EfLb1EfEEvPKT3_NS0_19TensorListAddressesEi
		.amdhsa_group_segment_fixed_size 2048
		.amdhsa_private_segment_fixed_size 0
		.amdhsa_kernarg_size 3472
		.amdhsa_user_sgpr_count 2
		.amdhsa_user_sgpr_dispatch_ptr 0
		.amdhsa_user_sgpr_queue_ptr 0
		.amdhsa_user_sgpr_kernarg_segment_ptr 1
		.amdhsa_user_sgpr_dispatch_id 0
		.amdhsa_user_sgpr_kernarg_preload_length 0
		.amdhsa_user_sgpr_kernarg_preload_offset 0
		.amdhsa_user_sgpr_private_segment_size 0
		.amdhsa_uses_dynamic_stack 0
		.amdhsa_enable_private_segment 0
		.amdhsa_system_sgpr_workgroup_id_x 1
		.amdhsa_system_sgpr_workgroup_id_y 0
		.amdhsa_system_sgpr_workgroup_id_z 0
		.amdhsa_system_sgpr_workgroup_info 0
		.amdhsa_system_vgpr_workitem_id 0
		.amdhsa_next_free_vgpr 11
		.amdhsa_next_free_sgpr 16
		.amdhsa_accum_offset 12
		.amdhsa_reserve_vcc 1
		.amdhsa_float_round_mode_32 0
		.amdhsa_float_round_mode_16_64 0
		.amdhsa_float_denorm_mode_32 3
		.amdhsa_float_denorm_mode_16_64 3
		.amdhsa_dx10_clamp 1
		.amdhsa_ieee_mode 1
		.amdhsa_fp16_overflow 0
		.amdhsa_tg_split 0
		.amdhsa_exception_fp_ieee_invalid_op 0
		.amdhsa_exception_fp_denorm_src 0
		.amdhsa_exception_fp_ieee_div_zero 0
		.amdhsa_exception_fp_ieee_overflow 0
		.amdhsa_exception_fp_ieee_underflow 0
		.amdhsa_exception_fp_ieee_inexact 0
		.amdhsa_exception_int_div_zero 0
	.end_amdhsa_kernel
	.section	.text._ZN2at6native14lpnorm_cleanupIN3c108BFloat16ELNS0_8NormTypeE2EfLb1EfEEvPKT3_NS0_19TensorListAddressesEi,"axG",@progbits,_ZN2at6native14lpnorm_cleanupIN3c108BFloat16ELNS0_8NormTypeE2EfLb1EfEEvPKT3_NS0_19TensorListAddressesEi,comdat
.Lfunc_end130:
	.size	_ZN2at6native14lpnorm_cleanupIN3c108BFloat16ELNS0_8NormTypeE2EfLb1EfEEvPKT3_NS0_19TensorListAddressesEi, .Lfunc_end130-_ZN2at6native14lpnorm_cleanupIN3c108BFloat16ELNS0_8NormTypeE2EfLb1EfEEvPKT3_NS0_19TensorListAddressesEi
                                        ; -- End function
	.set _ZN2at6native14lpnorm_cleanupIN3c108BFloat16ELNS0_8NormTypeE2EfLb1EfEEvPKT3_NS0_19TensorListAddressesEi.num_vgpr, 11
	.set _ZN2at6native14lpnorm_cleanupIN3c108BFloat16ELNS0_8NormTypeE2EfLb1EfEEvPKT3_NS0_19TensorListAddressesEi.num_agpr, 0
	.set _ZN2at6native14lpnorm_cleanupIN3c108BFloat16ELNS0_8NormTypeE2EfLb1EfEEvPKT3_NS0_19TensorListAddressesEi.numbered_sgpr, 16
	.set _ZN2at6native14lpnorm_cleanupIN3c108BFloat16ELNS0_8NormTypeE2EfLb1EfEEvPKT3_NS0_19TensorListAddressesEi.num_named_barrier, 0
	.set _ZN2at6native14lpnorm_cleanupIN3c108BFloat16ELNS0_8NormTypeE2EfLb1EfEEvPKT3_NS0_19TensorListAddressesEi.private_seg_size, 0
	.set _ZN2at6native14lpnorm_cleanupIN3c108BFloat16ELNS0_8NormTypeE2EfLb1EfEEvPKT3_NS0_19TensorListAddressesEi.uses_vcc, 1
	.set _ZN2at6native14lpnorm_cleanupIN3c108BFloat16ELNS0_8NormTypeE2EfLb1EfEEvPKT3_NS0_19TensorListAddressesEi.uses_flat_scratch, 0
	.set _ZN2at6native14lpnorm_cleanupIN3c108BFloat16ELNS0_8NormTypeE2EfLb1EfEEvPKT3_NS0_19TensorListAddressesEi.has_dyn_sized_stack, 0
	.set _ZN2at6native14lpnorm_cleanupIN3c108BFloat16ELNS0_8NormTypeE2EfLb1EfEEvPKT3_NS0_19TensorListAddressesEi.has_recursion, 0
	.set _ZN2at6native14lpnorm_cleanupIN3c108BFloat16ELNS0_8NormTypeE2EfLb1EfEEvPKT3_NS0_19TensorListAddressesEi.has_indirect_call, 0
	.section	.AMDGPU.csdata,"",@progbits
; Kernel info:
; codeLenInByte = 788
; TotalNumSgprs: 22
; NumVgprs: 11
; NumAgprs: 0
; TotalNumVgprs: 11
; ScratchSize: 0
; MemoryBound: 0
; FloatMode: 240
; IeeeMode: 1
; LDSByteSize: 2048 bytes/workgroup (compile time only)
; SGPRBlocks: 2
; VGPRBlocks: 1
; NumSGPRsForWavesPerEU: 22
; NumVGPRsForWavesPerEU: 11
; AccumOffset: 12
; Occupancy: 8
; WaveLimiterHint : 0
; COMPUTE_PGM_RSRC2:SCRATCH_EN: 0
; COMPUTE_PGM_RSRC2:USER_SGPR: 2
; COMPUTE_PGM_RSRC2:TRAP_HANDLER: 0
; COMPUTE_PGM_RSRC2:TGID_X_EN: 1
; COMPUTE_PGM_RSRC2:TGID_Y_EN: 0
; COMPUTE_PGM_RSRC2:TGID_Z_EN: 0
; COMPUTE_PGM_RSRC2:TIDIG_COMP_CNT: 0
; COMPUTE_PGM_RSRC3_GFX90A:ACCUM_OFFSET: 2
; COMPUTE_PGM_RSRC3_GFX90A:TG_SPLIT: 0
	.section	.text._ZN2at6native14lpnorm_cleanupIN3c108BFloat16ELNS0_8NormTypeE3EfLb1EfEEvPKT3_NS0_19TensorListAddressesEi,"axG",@progbits,_ZN2at6native14lpnorm_cleanupIN3c108BFloat16ELNS0_8NormTypeE3EfLb1EfEEvPKT3_NS0_19TensorListAddressesEi,comdat
	.protected	_ZN2at6native14lpnorm_cleanupIN3c108BFloat16ELNS0_8NormTypeE3EfLb1EfEEvPKT3_NS0_19TensorListAddressesEi ; -- Begin function _ZN2at6native14lpnorm_cleanupIN3c108BFloat16ELNS0_8NormTypeE3EfLb1EfEEvPKT3_NS0_19TensorListAddressesEi
	.globl	_ZN2at6native14lpnorm_cleanupIN3c108BFloat16ELNS0_8NormTypeE3EfLb1EfEEvPKT3_NS0_19TensorListAddressesEi
	.p2align	8
	.type	_ZN2at6native14lpnorm_cleanupIN3c108BFloat16ELNS0_8NormTypeE3EfLb1EfEEvPKT3_NS0_19TensorListAddressesEi,@function
_ZN2at6native14lpnorm_cleanupIN3c108BFloat16ELNS0_8NormTypeE3EfLb1EfEEvPKT3_NS0_19TensorListAddressesEi: ; @_ZN2at6native14lpnorm_cleanupIN3c108BFloat16ELNS0_8NormTypeE3EfLb1EfEEvPKT3_NS0_19TensorListAddressesEi
; %bb.0:
	s_load_dword s10, s[0:1], 0xc88
	v_mov_b32_e32 v1, 0
	s_waitcnt lgkmcnt(0)
	v_cmp_gt_u32_e32 vcc, s10, v0
	s_and_saveexec_b64 s[8:9], vcc
	s_cbranch_execz .LBB131_4
; %bb.1:
	s_load_dwordx2 s[4:5], s[0:1], 0x0
	s_load_dword s3, s[0:1], 0xc9c
	s_mul_i32 s12, s10, s2
	s_mov_b32 s13, 0
	s_ashr_i32 s11, s10, 31
	s_lshl_b64 s[6:7], s[12:13], 2
	s_waitcnt lgkmcnt(0)
	s_and_b32 s14, s3, 0xffff
	v_mov_b32_e32 v1, 0
	s_add_u32 s4, s4, s6
	v_lshlrev_b32_e32 v2, 2, v0
	v_mov_b32_e32 v3, v1
	s_addc_u32 s5, s5, s7
	s_mov_b32 s15, s13
	v_lshl_add_u64 v[2:3], s[4:5], 0, v[2:3]
	s_lshl_b32 s12, s14, 2
	s_mov_b64 s[16:17], 0
	v_mov_b64_e32 v[4:5], v[0:1]
.LBB131_2:                              ; =>This Inner Loop Header: Depth=1
	global_load_dword v6, v[2:3], off
	v_lshl_add_u64 v[4:5], v[4:5], 0, s[14:15]
	v_cmp_le_u64_e32 vcc, s[10:11], v[4:5]
	v_lshl_add_u64 v[2:3], v[2:3], 0, s[12:13]
	s_waitcnt vmcnt(0)
	v_cmp_u_f32_e64 s[4:5], v6, v6
	v_cmp_lt_f32_e64 s[6:7], v1, v6
	s_or_b64 s[4:5], s[4:5], s[6:7]
	s_or_b64 s[16:17], vcc, s[16:17]
	v_cndmask_b32_e64 v1, v1, v6, s[4:5]
	s_andn2_b64 exec, exec, s[16:17]
	s_cbranch_execnz .LBB131_2
; %bb.3:
	s_or_b64 exec, exec, s[16:17]
.LBB131_4:
	s_or_b64 exec, exec, s[8:9]
	v_mbcnt_lo_u32_b32 v2, -1, 0
	v_mbcnt_hi_u32_b32 v6, -1, v2
	v_mov_b32_e32 v2, 0x80
	v_lshl_or_b32 v2, v6, 2, v2
	ds_bpermute_b32 v3, v2, v1
	v_and_b32_e32 v9, 63, v6
	v_and_b32_e32 v8, 63, v0
	s_waitcnt lgkmcnt(0)
	s_barrier
	v_cmp_u_f32_e32 vcc, v3, v3
	v_cmp_lt_f32_e64 s[4:5], v1, v3
	s_or_b64 vcc, vcc, s[4:5]
	v_cndmask_b32_e32 v3, v1, v3, vcc
	v_cmp_gt_u32_e32 vcc, 48, v9
	s_nop 1
	v_cndmask_b32_e64 v1, 0, 16, vcc
	v_add_lshl_u32 v1, v1, v6, 2
	ds_bpermute_b32 v4, v1, v3
	s_waitcnt lgkmcnt(0)
	v_cmp_u_f32_e32 vcc, v4, v4
	v_cmp_lt_f32_e64 s[4:5], v3, v4
	s_or_b64 vcc, vcc, s[4:5]
	v_cndmask_b32_e32 v4, v3, v4, vcc
	v_cmp_gt_u32_e32 vcc, 56, v9
	s_nop 1
	v_cndmask_b32_e64 v3, 0, 8, vcc
	v_add_lshl_u32 v3, v3, v6, 2
	ds_bpermute_b32 v5, v3, v4
	s_waitcnt lgkmcnt(0)
	;; [unrolled: 10-line block ×4, first 2 shown]
	v_cmp_u_f32_e32 vcc, v10, v10
	v_cmp_lt_f32_e64 s[4:5], v7, v10
	s_or_b64 vcc, vcc, s[4:5]
	v_cndmask_b32_e32 v7, v7, v10, vcc
	v_cmp_ne_u32_e32 vcc, 63, v9
	s_nop 1
	v_addc_co_u32_e32 v6, vcc, 0, v6, vcc
	v_lshlrev_b32_e32 v6, 2, v6
	ds_bpermute_b32 v9, v6, v7
	v_cmp_eq_u32_e32 vcc, 0, v8
	s_and_saveexec_b64 s[6:7], vcc
	s_cbranch_execz .LBB131_6
; %bb.5:
	s_waitcnt lgkmcnt(0)
	v_cmp_u_f32_e32 vcc, v9, v9
	v_cmp_lt_f32_e64 s[4:5], v7, v9
	s_or_b64 vcc, vcc, s[4:5]
	v_cndmask_b32_e32 v7, v7, v9, vcc
	v_lshrrev_b32_e32 v9, 4, v0
	ds_write_b32 v9, v7
.LBB131_6:
	s_or_b64 exec, exec, s[6:7]
	s_waitcnt lgkmcnt(0)
	s_barrier
	s_load_dword s3, s[0:1], 0xc9c
	v_mov_b32_e32 v7, 0xff7fffff
	s_waitcnt lgkmcnt(0)
	s_bfe_u32 s3, s3, 0xa0006
	v_cmp_gt_u32_e32 vcc, s3, v0
	s_and_saveexec_b64 s[4:5], vcc
; %bb.7:
	v_lshlrev_b32_e32 v7, 2, v8
	ds_read_b32 v7, v7
; %bb.8:
	s_or_b64 exec, exec, s[4:5]
	v_cmp_gt_u32_e32 vcc, 64, v0
	s_and_saveexec_b64 s[6:7], vcc
	s_cbranch_execz .LBB131_10
; %bb.9:
	s_waitcnt lgkmcnt(0)
	ds_bpermute_b32 v2, v2, v7
	s_waitcnt lgkmcnt(0)
	v_cmp_u_f32_e32 vcc, v2, v2
	v_cmp_lt_f32_e64 s[4:5], v7, v2
	s_or_b64 vcc, vcc, s[4:5]
	v_cndmask_b32_e32 v2, v7, v2, vcc
	ds_bpermute_b32 v1, v1, v2
	s_waitcnt lgkmcnt(0)
	v_cmp_u_f32_e32 vcc, v1, v1
	v_cmp_lt_f32_e64 s[4:5], v2, v1
	s_or_b64 vcc, vcc, s[4:5]
	v_cndmask_b32_e32 v1, v2, v1, vcc
	;; [unrolled: 6-line block ×6, first 2 shown]
.LBB131_10:
	s_or_b64 exec, exec, s[6:7]
	s_mov_b32 s3, 0
	v_cmp_eq_u32_e32 vcc, 0, v0
	s_and_saveexec_b64 s[4:5], vcc
	s_cbranch_execz .LBB131_12
; %bb.11:
	s_lshl_b64 s[2:3], s[2:3], 3
	s_add_u32 s0, s0, s2
	s_addc_u32 s1, s1, s3
	s_load_dwordx2 s[0:1], s[0:1], 0x8
	v_mov_b32_e32 v0, 0
	s_waitcnt lgkmcnt(0)
	global_store_dword v0, v7, s[0:1]
.LBB131_12:
	s_endpgm
	.section	.rodata,"a",@progbits
	.p2align	6, 0x0
	.amdhsa_kernel _ZN2at6native14lpnorm_cleanupIN3c108BFloat16ELNS0_8NormTypeE3EfLb1EfEEvPKT3_NS0_19TensorListAddressesEi
		.amdhsa_group_segment_fixed_size 2048
		.amdhsa_private_segment_fixed_size 0
		.amdhsa_kernarg_size 3472
		.amdhsa_user_sgpr_count 2
		.amdhsa_user_sgpr_dispatch_ptr 0
		.amdhsa_user_sgpr_queue_ptr 0
		.amdhsa_user_sgpr_kernarg_segment_ptr 1
		.amdhsa_user_sgpr_dispatch_id 0
		.amdhsa_user_sgpr_kernarg_preload_length 0
		.amdhsa_user_sgpr_kernarg_preload_offset 0
		.amdhsa_user_sgpr_private_segment_size 0
		.amdhsa_uses_dynamic_stack 0
		.amdhsa_enable_private_segment 0
		.amdhsa_system_sgpr_workgroup_id_x 1
		.amdhsa_system_sgpr_workgroup_id_y 0
		.amdhsa_system_sgpr_workgroup_id_z 0
		.amdhsa_system_sgpr_workgroup_info 0
		.amdhsa_system_vgpr_workitem_id 0
		.amdhsa_next_free_vgpr 11
		.amdhsa_next_free_sgpr 18
		.amdhsa_accum_offset 12
		.amdhsa_reserve_vcc 1
		.amdhsa_float_round_mode_32 0
		.amdhsa_float_round_mode_16_64 0
		.amdhsa_float_denorm_mode_32 3
		.amdhsa_float_denorm_mode_16_64 3
		.amdhsa_dx10_clamp 1
		.amdhsa_ieee_mode 1
		.amdhsa_fp16_overflow 0
		.amdhsa_tg_split 0
		.amdhsa_exception_fp_ieee_invalid_op 0
		.amdhsa_exception_fp_denorm_src 0
		.amdhsa_exception_fp_ieee_div_zero 0
		.amdhsa_exception_fp_ieee_overflow 0
		.amdhsa_exception_fp_ieee_underflow 0
		.amdhsa_exception_fp_ieee_inexact 0
		.amdhsa_exception_int_div_zero 0
	.end_amdhsa_kernel
	.section	.text._ZN2at6native14lpnorm_cleanupIN3c108BFloat16ELNS0_8NormTypeE3EfLb1EfEEvPKT3_NS0_19TensorListAddressesEi,"axG",@progbits,_ZN2at6native14lpnorm_cleanupIN3c108BFloat16ELNS0_8NormTypeE3EfLb1EfEEvPKT3_NS0_19TensorListAddressesEi,comdat
.Lfunc_end131:
	.size	_ZN2at6native14lpnorm_cleanupIN3c108BFloat16ELNS0_8NormTypeE3EfLb1EfEEvPKT3_NS0_19TensorListAddressesEi, .Lfunc_end131-_ZN2at6native14lpnorm_cleanupIN3c108BFloat16ELNS0_8NormTypeE3EfLb1EfEEvPKT3_NS0_19TensorListAddressesEi
                                        ; -- End function
	.set _ZN2at6native14lpnorm_cleanupIN3c108BFloat16ELNS0_8NormTypeE3EfLb1EfEEvPKT3_NS0_19TensorListAddressesEi.num_vgpr, 11
	.set _ZN2at6native14lpnorm_cleanupIN3c108BFloat16ELNS0_8NormTypeE3EfLb1EfEEvPKT3_NS0_19TensorListAddressesEi.num_agpr, 0
	.set _ZN2at6native14lpnorm_cleanupIN3c108BFloat16ELNS0_8NormTypeE3EfLb1EfEEvPKT3_NS0_19TensorListAddressesEi.numbered_sgpr, 18
	.set _ZN2at6native14lpnorm_cleanupIN3c108BFloat16ELNS0_8NormTypeE3EfLb1EfEEvPKT3_NS0_19TensorListAddressesEi.num_named_barrier, 0
	.set _ZN2at6native14lpnorm_cleanupIN3c108BFloat16ELNS0_8NormTypeE3EfLb1EfEEvPKT3_NS0_19TensorListAddressesEi.private_seg_size, 0
	.set _ZN2at6native14lpnorm_cleanupIN3c108BFloat16ELNS0_8NormTypeE3EfLb1EfEEvPKT3_NS0_19TensorListAddressesEi.uses_vcc, 1
	.set _ZN2at6native14lpnorm_cleanupIN3c108BFloat16ELNS0_8NormTypeE3EfLb1EfEEvPKT3_NS0_19TensorListAddressesEi.uses_flat_scratch, 0
	.set _ZN2at6native14lpnorm_cleanupIN3c108BFloat16ELNS0_8NormTypeE3EfLb1EfEEvPKT3_NS0_19TensorListAddressesEi.has_dyn_sized_stack, 0
	.set _ZN2at6native14lpnorm_cleanupIN3c108BFloat16ELNS0_8NormTypeE3EfLb1EfEEvPKT3_NS0_19TensorListAddressesEi.has_recursion, 0
	.set _ZN2at6native14lpnorm_cleanupIN3c108BFloat16ELNS0_8NormTypeE3EfLb1EfEEvPKT3_NS0_19TensorListAddressesEi.has_indirect_call, 0
	.section	.AMDGPU.csdata,"",@progbits
; Kernel info:
; codeLenInByte = 900
; TotalNumSgprs: 24
; NumVgprs: 11
; NumAgprs: 0
; TotalNumVgprs: 11
; ScratchSize: 0
; MemoryBound: 0
; FloatMode: 240
; IeeeMode: 1
; LDSByteSize: 2048 bytes/workgroup (compile time only)
; SGPRBlocks: 2
; VGPRBlocks: 1
; NumSGPRsForWavesPerEU: 24
; NumVGPRsForWavesPerEU: 11
; AccumOffset: 12
; Occupancy: 8
; WaveLimiterHint : 0
; COMPUTE_PGM_RSRC2:SCRATCH_EN: 0
; COMPUTE_PGM_RSRC2:USER_SGPR: 2
; COMPUTE_PGM_RSRC2:TRAP_HANDLER: 0
; COMPUTE_PGM_RSRC2:TGID_X_EN: 1
; COMPUTE_PGM_RSRC2:TGID_Y_EN: 0
; COMPUTE_PGM_RSRC2:TGID_Z_EN: 0
; COMPUTE_PGM_RSRC2:TIDIG_COMP_CNT: 0
; COMPUTE_PGM_RSRC3_GFX90A:ACCUM_OFFSET: 2
; COMPUTE_PGM_RSRC3_GFX90A:TG_SPLIT: 0
	.section	.text._ZN2at6native12_GLOBAL__N_125multi_tensor_apply_kernelINS1_18TensorListMetadataILi1EEENS0_13LpNormFunctorIN3c108BFloat16ELNS0_8NormTypeE0ENS6_4HalfELi1ELi1ELi0EEEJPfiEEEvT_T0_DpT1_,"axG",@progbits,_ZN2at6native12_GLOBAL__N_125multi_tensor_apply_kernelINS1_18TensorListMetadataILi1EEENS0_13LpNormFunctorIN3c108BFloat16ELNS0_8NormTypeE0ENS6_4HalfELi1ELi1ELi0EEEJPfiEEEvT_T0_DpT1_,comdat
	.globl	_ZN2at6native12_GLOBAL__N_125multi_tensor_apply_kernelINS1_18TensorListMetadataILi1EEENS0_13LpNormFunctorIN3c108BFloat16ELNS0_8NormTypeE0ENS6_4HalfELi1ELi1ELi0EEEJPfiEEEvT_T0_DpT1_ ; -- Begin function _ZN2at6native12_GLOBAL__N_125multi_tensor_apply_kernelINS1_18TensorListMetadataILi1EEENS0_13LpNormFunctorIN3c108BFloat16ELNS0_8NormTypeE0ENS6_4HalfELi1ELi1ELi0EEEJPfiEEEvT_T0_DpT1_
	.p2align	8
	.type	_ZN2at6native12_GLOBAL__N_125multi_tensor_apply_kernelINS1_18TensorListMetadataILi1EEENS0_13LpNormFunctorIN3c108BFloat16ELNS0_8NormTypeE0ENS6_4HalfELi1ELi1ELi0EEEJPfiEEEvT_T0_DpT1_,@function
_ZN2at6native12_GLOBAL__N_125multi_tensor_apply_kernelINS1_18TensorListMetadataILi1EEENS0_13LpNormFunctorIN3c108BFloat16ELNS0_8NormTypeE0ENS6_4HalfELi1ELi1ELi0EEEJPfiEEEvT_T0_DpT1_: ; @_ZN2at6native12_GLOBAL__N_125multi_tensor_apply_kernelINS1_18TensorListMetadataILi1EEENS0_13LpNormFunctorIN3c108BFloat16ELNS0_8NormTypeE0ENS6_4HalfELi1ELi1ELi0EEEJPfiEEEvT_T0_DpT1_
; %bb.0:
	v_mov_b32_e32 v1, s2
	global_load_ubyte v1, v1, s[0:1] offset:1760
	s_add_u32 s3, s0, s2
	s_mul_hi_u32 s4, s2, 3
	s_mul_i32 s2, s2, 3
	s_addc_u32 s5, s1, 0
	s_add_u32 s2, s3, s2
	s_addc_u32 s3, s5, s4
	s_load_dword s4, s[2:3], 0x820
	s_mov_b32 s15, 0
	s_waitcnt vmcnt(0)
	v_readfirstlane_b32 s2, v1
	s_and_b32 s16, s2, 0xff
	s_lshl_b32 s5, s16, 3
	s_load_dwordx2 s[2:3], s[0:1], s5 offset:0x370
	s_load_dwordx2 s[6:7], s[0:1], s5 offset:0x0
	s_waitcnt lgkmcnt(0)
	s_ashr_i32 s5, s4, 31
	s_lshl_b64 s[10:11], s[4:5], 16
	s_lshl_b64 s[8:9], s[4:5], 17
	s_add_u32 s12, s6, s8
	s_addc_u32 s13, s7, s9
	s_sub_u32 s10, s2, s10
	s_subb_u32 s11, s3, s11
	s_and_b32 s14, s2, 3
	s_and_b32 s2, s12, 7
	s_mov_b32 s3, s15
	s_or_b64 s[2:3], s[14:15], s[2:3]
	s_cmp_eq_u64 s[2:3], 0
	s_cbranch_scc1 .LBB132_12
; %bb.1:
	v_cmp_lt_i64_e64 s[2:3], s[10:11], 1
	s_and_b64 vcc, exec, s[2:3]
	s_cbranch_vccnz .LBB132_13
; %bb.2:
	s_load_dword s14, s[0:1], 0xd4c
	v_mov_b64_e32 v[2:3], 0x10000
	v_cmp_lt_i64_e32 vcc, s[10:11], v[2:3]
	s_and_b64 s[2:3], vcc, exec
	v_mov_b32_e32 v7, 0
	s_cselect_b32 s3, s11, 0
	s_cselect_b32 s2, s10, 0x10000
	s_waitcnt lgkmcnt(0)
	s_and_b32 s18, s14, 0xffff
	v_mov_b32_e32 v6, v7
	v_mad_u64_u32 v[12:13], s[14:15], s18, 3, v[0:1]
	v_mov_b32_e32 v8, v7
	v_mov_b32_e32 v9, v7
	v_mov_b64_e32 v[2:3], v[6:7]
	s_mov_b32 s5, 0x10000
	s_lshl_b32 s17, s18, 2
	v_lshl_add_u32 v10, s18, 1, v0
	v_add_u32_e32 v14, s18, v0
	s_mov_b64 s[14:15], 0
	v_mov_b64_e32 v[16:17], s[2:3]
	v_mov_b64_e32 v[4:5], v[8:9]
	s_branch .LBB132_4
.LBB132_3:                              ;   in Loop: Header=BB132_4 Depth=1
	s_or_b64 exec, exec, s[2:3]
	s_add_u32 s14, s14, s17
	s_addc_u32 s15, s15, 0
	v_cmp_lt_i64_e32 vcc, s[14:15], v[16:17]
	s_cbranch_vccz .LBB132_14
.LBB132_4:                              ; =>This Inner Loop Header: Depth=1
	v_add_u32_e32 v6, s14, v0
	v_cmp_gt_i64_e32 vcc, s[10:11], v[6:7]
	v_cmp_gt_u32_e64 s[2:3], s5, v6
	s_and_b64 s[18:19], s[2:3], vcc
	s_and_saveexec_b64 s[2:3], s[18:19]
	s_cbranch_execz .LBB132_6
; %bb.5:                                ;   in Loop: Header=BB132_4 Depth=1
	v_lshl_add_u64 v[8:9], v[6:7], 1, s[12:13]
	global_load_ushort v1, v[8:9], off
	s_waitcnt vmcnt(0)
	v_and_b32_e32 v1, 0x7fff, v1
	v_cmp_eq_u16_e32 vcc, 0, v1
	s_nop 1
	v_cndmask_b32_e64 v1, 1.0, 0, vcc
	v_add_f32_e32 v2, v2, v1
.LBB132_6:                              ;   in Loop: Header=BB132_4 Depth=1
	s_or_b64 exec, exec, s[2:3]
	v_add_u32_e32 v6, s14, v14
	v_cmp_gt_i64_e32 vcc, s[10:11], v[6:7]
	v_cmp_gt_u32_e64 s[2:3], s5, v6
	s_and_b64 s[18:19], s[2:3], vcc
	s_and_saveexec_b64 s[2:3], s[18:19]
	s_cbranch_execz .LBB132_8
; %bb.7:                                ;   in Loop: Header=BB132_4 Depth=1
	v_lshl_add_u64 v[8:9], v[6:7], 1, s[12:13]
	global_load_ushort v1, v[8:9], off
	s_waitcnt vmcnt(0)
	v_and_b32_e32 v1, 0x7fff, v1
	v_cmp_eq_u16_e32 vcc, 0, v1
	s_nop 1
	v_cndmask_b32_e64 v1, 1.0, 0, vcc
	v_add_f32_e32 v3, v3, v1
.LBB132_8:                              ;   in Loop: Header=BB132_4 Depth=1
	s_or_b64 exec, exec, s[2:3]
	v_add_u32_e32 v6, s14, v10
	v_cmp_gt_i64_e32 vcc, s[10:11], v[6:7]
	v_cmp_gt_u32_e64 s[2:3], s5, v6
	s_and_b64 s[18:19], s[2:3], vcc
	s_and_saveexec_b64 s[2:3], s[18:19]
	s_cbranch_execz .LBB132_10
; %bb.9:                                ;   in Loop: Header=BB132_4 Depth=1
	v_lshl_add_u64 v[8:9], v[6:7], 1, s[12:13]
	global_load_ushort v1, v[8:9], off
	s_waitcnt vmcnt(0)
	v_and_b32_e32 v1, 0x7fff, v1
	v_cmp_eq_u16_e32 vcc, 0, v1
	s_nop 1
	v_cndmask_b32_e64 v1, 1.0, 0, vcc
	v_add_f32_e32 v4, v4, v1
.LBB132_10:                             ;   in Loop: Header=BB132_4 Depth=1
	s_or_b64 exec, exec, s[2:3]
	v_add_u32_e32 v6, s14, v12
	v_cmp_gt_i64_e32 vcc, s[10:11], v[6:7]
	v_cmp_gt_u32_e64 s[2:3], s5, v6
	s_and_b64 s[18:19], s[2:3], vcc
	s_and_saveexec_b64 s[2:3], s[18:19]
	s_cbranch_execz .LBB132_3
; %bb.11:                               ;   in Loop: Header=BB132_4 Depth=1
	v_lshl_add_u64 v[8:9], v[6:7], 1, s[12:13]
	global_load_ushort v1, v[8:9], off
	s_waitcnt vmcnt(0)
	v_and_b32_e32 v1, 0x7fff, v1
	v_cmp_eq_u16_e32 vcc, 0, v1
	s_nop 1
	v_cndmask_b32_e64 v1, 1.0, 0, vcc
	v_add_f32_e32 v5, v5, v1
	s_branch .LBB132_3
.LBB132_12:
                                        ; implicit-def: $vgpr2_vgpr3_vgpr4_vgpr5
	s_branch .LBB132_15
.LBB132_13:
	v_mov_b32_e32 v2, 0
	v_mov_b32_e32 v3, v2
	;; [unrolled: 1-line block ×4, first 2 shown]
.LBB132_14:
	s_cbranch_execnz .LBB132_20
.LBB132_15:
	v_mov_b64_e32 v[4:5], 0x10000
	v_cmp_lt_i64_e32 vcc, s[10:11], v[4:5]
	s_and_b64 s[2:3], vcc, exec
	v_mov_b32_e32 v3, 0
	s_cselect_b32 s3, s11, 0
	s_cselect_b32 s2, s10, 0x10000
	v_lshlrev_b32_e32 v2, 2, v0
	v_cmp_gt_i64_e32 vcc, s[2:3], v[2:3]
	s_mov_b32 s13, 0
	v_mov_b32_e32 v2, v3
	v_mov_b32_e32 v4, v3
	;; [unrolled: 1-line block ×3, first 2 shown]
	s_and_saveexec_b64 s[10:11], vcc
	s_cbranch_execz .LBB132_19
; %bb.16:
	s_load_dword s5, s[0:1], 0xd4c
	v_mov_b32_e32 v1, v3
	v_lshlrev_b32_e32 v2, 3, v0
	s_mov_b32 s15, s13
	v_mov_b64_e32 v[10:11], v[0:1]
	s_waitcnt lgkmcnt(0)
	s_and_b32 s12, s5, 0xffff
	s_add_u32 s6, s6, s8
	s_addc_u32 s7, s7, s9
	s_lshl_b32 s14, s12, 3
	v_lshl_add_u64 v[8:9], s[6:7], 0, v[2:3]
	s_mov_b64 s[6:7], 0
	v_mov_b32_e32 v4, 0
	v_mov_b32_e32 v5, 0
	;; [unrolled: 1-line block ×4, first 2 shown]
.LBB132_17:                             ; =>This Inner Loop Header: Depth=1
	global_load_dwordx2 v[12:13], v[8:9], off
	v_lshl_add_u64 v[10:11], v[10:11], 0, s[12:13]
	v_lshlrev_b64 v[18:19], 2, v[10:11]
	v_cmp_le_i64_e32 vcc, s[2:3], v[18:19]
	v_mov_b32_e32 v14, v3
	s_or_b64 s[6:7], vcc, s[6:7]
	v_mov_b32_e32 v16, v3
	v_lshl_add_u64 v[8:9], v[8:9], 0, s[14:15]
	s_waitcnt vmcnt(0)
	v_and_b32_e32 v2, 0x7fff, v12
	v_and_b32_e32 v15, 0x7fff, v13
	v_cmp_eq_u64_e32 vcc, 0, v[2:3]
	v_and_b32_e32 v17, 0x7fff0000, v13
	v_and_b32_e32 v2, 0x7fff0000, v12
	v_cndmask_b32_e64 v1, 1.0, 0, vcc
	v_cmp_eq_u64_e32 vcc, 0, v[14:15]
	v_add_f32_e32 v4, v4, v1
	s_nop 0
	v_cndmask_b32_e64 v12, 1.0, 0, vcc
	v_cmp_eq_u64_e32 vcc, 0, v[16:17]
	v_add_f32_e32 v6, v6, v12
	s_nop 0
	;; [unrolled: 4-line block ×3, first 2 shown]
	v_cndmask_b32_e64 v1, 1.0, 0, vcc
	v_add_f32_e32 v5, v5, v1
	s_andn2_b64 exec, exec, s[6:7]
	s_cbranch_execnz .LBB132_17
; %bb.18:
	s_or_b64 exec, exec, s[6:7]
	v_mov_b64_e32 v[2:3], v[4:5]
	v_mov_b64_e32 v[4:5], v[6:7]
.LBB132_19:
	s_or_b64 exec, exec, s[10:11]
.LBB132_20:
	v_add_f32_e32 v1, 0, v2
	v_add_f32_e32 v1, v3, v1
	;; [unrolled: 1-line block ×4, first 2 shown]
	v_mbcnt_lo_u32_b32 v1, -1, 0
	v_mbcnt_hi_u32_b32 v6, -1, v1
	v_mov_b32_e32 v1, 0x80
	v_lshl_or_b32 v1, v6, 2, v1
	ds_bpermute_b32 v3, v1, v2
	v_and_b32_e32 v9, 63, v6
	v_cmp_gt_u32_e32 vcc, 48, v9
	s_waitcnt lgkmcnt(0)
	s_barrier
	v_add_f32_e32 v3, v2, v3
	v_cndmask_b32_e64 v2, 0, 16, vcc
	v_add_lshl_u32 v2, v2, v6, 2
	ds_bpermute_b32 v4, v2, v3
	v_cmp_gt_u32_e32 vcc, 56, v9
	s_waitcnt lgkmcnt(0)
	v_add_f32_e32 v4, v3, v4
	v_cndmask_b32_e64 v3, 0, 8, vcc
	v_add_lshl_u32 v3, v3, v6, 2
	ds_bpermute_b32 v5, v3, v4
	v_cmp_gt_u32_e32 vcc, 60, v9
	s_waitcnt lgkmcnt(0)
	;; [unrolled: 6-line block ×3, first 2 shown]
	v_add_f32_e32 v7, v5, v7
	v_cndmask_b32_e64 v8, 0, 2, vcc
	v_add_lshl_u32 v5, v8, v6, 2
	ds_bpermute_b32 v10, v5, v7
	v_cmp_ne_u32_e32 vcc, 63, v9
	v_and_b32_e32 v8, 63, v0
	s_waitcnt lgkmcnt(0)
	v_add_f32_e32 v7, v7, v10
	v_addc_co_u32_e32 v6, vcc, 0, v6, vcc
	v_lshlrev_b32_e32 v6, 2, v6
	ds_bpermute_b32 v9, v6, v7
	v_cmp_eq_u32_e32 vcc, 0, v8
	s_and_saveexec_b64 s[2:3], vcc
	s_cbranch_execz .LBB132_22
; %bb.21:
	v_lshrrev_b32_e32 v10, 4, v0
	s_waitcnt lgkmcnt(0)
	v_add_f32_e32 v7, v7, v9
	ds_write_b32 v10, v7
.LBB132_22:
	s_or_b64 exec, exec, s[2:3]
	s_waitcnt lgkmcnt(0)
	s_barrier
	s_load_dword s2, s[0:1], 0xd4c
	v_mov_b32_e32 v7, 0
	s_waitcnt lgkmcnt(0)
	s_bfe_u32 s2, s2, 0xa0006
	v_cmp_gt_u32_e32 vcc, s2, v0
	s_and_saveexec_b64 s[2:3], vcc
	s_cbranch_execnz .LBB132_26
; %bb.23:
	s_or_b64 exec, exec, s[2:3]
	v_cmp_gt_u32_e32 vcc, 64, v0
	s_and_saveexec_b64 s[2:3], vcc
	s_cbranch_execnz .LBB132_27
.LBB132_24:
	s_or_b64 exec, exec, s[2:3]
	v_cmp_eq_u32_e32 vcc, 0, v0
	s_and_saveexec_b64 s[2:3], vcc
	s_cbranch_execnz .LBB132_28
.LBB132_25:
	s_endpgm
.LBB132_26:
	v_lshlrev_b32_e32 v7, 2, v8
	ds_read_b32 v7, v7
	s_or_b64 exec, exec, s[2:3]
	v_cmp_gt_u32_e32 vcc, 64, v0
	s_and_saveexec_b64 s[2:3], vcc
	s_cbranch_execz .LBB132_24
.LBB132_27:
	s_waitcnt lgkmcnt(0)
	ds_bpermute_b32 v1, v1, v7
	s_waitcnt lgkmcnt(0)
	v_add_f32_e32 v1, v7, v1
	ds_bpermute_b32 v2, v2, v1
	s_waitcnt lgkmcnt(0)
	v_add_f32_e32 v1, v1, v2
	;; [unrolled: 3-line block ×6, first 2 shown]
	s_or_b64 exec, exec, s[2:3]
	v_cmp_eq_u32_e32 vcc, 0, v0
	s_and_saveexec_b64 s[2:3], vcc
	s_cbranch_execz .LBB132_25
.LBB132_28:
	s_load_dword s5, s[0:1], 0xd20
	s_load_dword s6, s[0:1], 0xd38
	s_load_dwordx2 s[2:3], s[0:1], 0xd30
	v_mov_b32_e32 v0, 0
	s_waitcnt lgkmcnt(0)
	s_add_i32 s0, s5, s16
	s_mul_i32 s0, s0, s6
	s_add_i32 s0, s0, s4
	s_ashr_i32 s1, s0, 31
	s_lshl_b64 s[0:1], s[0:1], 2
	s_add_u32 s0, s2, s0
	s_addc_u32 s1, s3, s1
	global_store_dword v0, v7, s[0:1]
	s_endpgm
	.section	.rodata,"a",@progbits
	.p2align	6, 0x0
	.amdhsa_kernel _ZN2at6native12_GLOBAL__N_125multi_tensor_apply_kernelINS1_18TensorListMetadataILi1EEENS0_13LpNormFunctorIN3c108BFloat16ELNS0_8NormTypeE0ENS6_4HalfELi1ELi1ELi0EEEJPfiEEEvT_T0_DpT1_
		.amdhsa_group_segment_fixed_size 2048
		.amdhsa_private_segment_fixed_size 0
		.amdhsa_kernarg_size 3648
		.amdhsa_user_sgpr_count 2
		.amdhsa_user_sgpr_dispatch_ptr 0
		.amdhsa_user_sgpr_queue_ptr 0
		.amdhsa_user_sgpr_kernarg_segment_ptr 1
		.amdhsa_user_sgpr_dispatch_id 0
		.amdhsa_user_sgpr_kernarg_preload_length 0
		.amdhsa_user_sgpr_kernarg_preload_offset 0
		.amdhsa_user_sgpr_private_segment_size 0
		.amdhsa_uses_dynamic_stack 0
		.amdhsa_enable_private_segment 0
		.amdhsa_system_sgpr_workgroup_id_x 1
		.amdhsa_system_sgpr_workgroup_id_y 0
		.amdhsa_system_sgpr_workgroup_id_z 0
		.amdhsa_system_sgpr_workgroup_info 0
		.amdhsa_system_vgpr_workitem_id 0
		.amdhsa_next_free_vgpr 20
		.amdhsa_next_free_sgpr 20
		.amdhsa_accum_offset 20
		.amdhsa_reserve_vcc 1
		.amdhsa_float_round_mode_32 0
		.amdhsa_float_round_mode_16_64 0
		.amdhsa_float_denorm_mode_32 3
		.amdhsa_float_denorm_mode_16_64 3
		.amdhsa_dx10_clamp 1
		.amdhsa_ieee_mode 1
		.amdhsa_fp16_overflow 0
		.amdhsa_tg_split 0
		.amdhsa_exception_fp_ieee_invalid_op 0
		.amdhsa_exception_fp_denorm_src 0
		.amdhsa_exception_fp_ieee_div_zero 0
		.amdhsa_exception_fp_ieee_overflow 0
		.amdhsa_exception_fp_ieee_underflow 0
		.amdhsa_exception_fp_ieee_inexact 0
		.amdhsa_exception_int_div_zero 0
	.end_amdhsa_kernel
	.section	.text._ZN2at6native12_GLOBAL__N_125multi_tensor_apply_kernelINS1_18TensorListMetadataILi1EEENS0_13LpNormFunctorIN3c108BFloat16ELNS0_8NormTypeE0ENS6_4HalfELi1ELi1ELi0EEEJPfiEEEvT_T0_DpT1_,"axG",@progbits,_ZN2at6native12_GLOBAL__N_125multi_tensor_apply_kernelINS1_18TensorListMetadataILi1EEENS0_13LpNormFunctorIN3c108BFloat16ELNS0_8NormTypeE0ENS6_4HalfELi1ELi1ELi0EEEJPfiEEEvT_T0_DpT1_,comdat
.Lfunc_end132:
	.size	_ZN2at6native12_GLOBAL__N_125multi_tensor_apply_kernelINS1_18TensorListMetadataILi1EEENS0_13LpNormFunctorIN3c108BFloat16ELNS0_8NormTypeE0ENS6_4HalfELi1ELi1ELi0EEEJPfiEEEvT_T0_DpT1_, .Lfunc_end132-_ZN2at6native12_GLOBAL__N_125multi_tensor_apply_kernelINS1_18TensorListMetadataILi1EEENS0_13LpNormFunctorIN3c108BFloat16ELNS0_8NormTypeE0ENS6_4HalfELi1ELi1ELi0EEEJPfiEEEvT_T0_DpT1_
                                        ; -- End function
	.set _ZN2at6native12_GLOBAL__N_125multi_tensor_apply_kernelINS1_18TensorListMetadataILi1EEENS0_13LpNormFunctorIN3c108BFloat16ELNS0_8NormTypeE0ENS6_4HalfELi1ELi1ELi0EEEJPfiEEEvT_T0_DpT1_.num_vgpr, 20
	.set _ZN2at6native12_GLOBAL__N_125multi_tensor_apply_kernelINS1_18TensorListMetadataILi1EEENS0_13LpNormFunctorIN3c108BFloat16ELNS0_8NormTypeE0ENS6_4HalfELi1ELi1ELi0EEEJPfiEEEvT_T0_DpT1_.num_agpr, 0
	.set _ZN2at6native12_GLOBAL__N_125multi_tensor_apply_kernelINS1_18TensorListMetadataILi1EEENS0_13LpNormFunctorIN3c108BFloat16ELNS0_8NormTypeE0ENS6_4HalfELi1ELi1ELi0EEEJPfiEEEvT_T0_DpT1_.numbered_sgpr, 20
	.set _ZN2at6native12_GLOBAL__N_125multi_tensor_apply_kernelINS1_18TensorListMetadataILi1EEENS0_13LpNormFunctorIN3c108BFloat16ELNS0_8NormTypeE0ENS6_4HalfELi1ELi1ELi0EEEJPfiEEEvT_T0_DpT1_.num_named_barrier, 0
	.set _ZN2at6native12_GLOBAL__N_125multi_tensor_apply_kernelINS1_18TensorListMetadataILi1EEENS0_13LpNormFunctorIN3c108BFloat16ELNS0_8NormTypeE0ENS6_4HalfELi1ELi1ELi0EEEJPfiEEEvT_T0_DpT1_.private_seg_size, 0
	.set _ZN2at6native12_GLOBAL__N_125multi_tensor_apply_kernelINS1_18TensorListMetadataILi1EEENS0_13LpNormFunctorIN3c108BFloat16ELNS0_8NormTypeE0ENS6_4HalfELi1ELi1ELi0EEEJPfiEEEvT_T0_DpT1_.uses_vcc, 1
	.set _ZN2at6native12_GLOBAL__N_125multi_tensor_apply_kernelINS1_18TensorListMetadataILi1EEENS0_13LpNormFunctorIN3c108BFloat16ELNS0_8NormTypeE0ENS6_4HalfELi1ELi1ELi0EEEJPfiEEEvT_T0_DpT1_.uses_flat_scratch, 0
	.set _ZN2at6native12_GLOBAL__N_125multi_tensor_apply_kernelINS1_18TensorListMetadataILi1EEENS0_13LpNormFunctorIN3c108BFloat16ELNS0_8NormTypeE0ENS6_4HalfELi1ELi1ELi0EEEJPfiEEEvT_T0_DpT1_.has_dyn_sized_stack, 0
	.set _ZN2at6native12_GLOBAL__N_125multi_tensor_apply_kernelINS1_18TensorListMetadataILi1EEENS0_13LpNormFunctorIN3c108BFloat16ELNS0_8NormTypeE0ENS6_4HalfELi1ELi1ELi0EEEJPfiEEEvT_T0_DpT1_.has_recursion, 0
	.set _ZN2at6native12_GLOBAL__N_125multi_tensor_apply_kernelINS1_18TensorListMetadataILi1EEENS0_13LpNormFunctorIN3c108BFloat16ELNS0_8NormTypeE0ENS6_4HalfELi1ELi1ELi0EEEJPfiEEEvT_T0_DpT1_.has_indirect_call, 0
	.section	.AMDGPU.csdata,"",@progbits
; Kernel info:
; codeLenInByte = 1532
; TotalNumSgprs: 26
; NumVgprs: 20
; NumAgprs: 0
; TotalNumVgprs: 20
; ScratchSize: 0
; MemoryBound: 0
; FloatMode: 240
; IeeeMode: 1
; LDSByteSize: 2048 bytes/workgroup (compile time only)
; SGPRBlocks: 3
; VGPRBlocks: 2
; NumSGPRsForWavesPerEU: 26
; NumVGPRsForWavesPerEU: 20
; AccumOffset: 20
; Occupancy: 8
; WaveLimiterHint : 0
; COMPUTE_PGM_RSRC2:SCRATCH_EN: 0
; COMPUTE_PGM_RSRC2:USER_SGPR: 2
; COMPUTE_PGM_RSRC2:TRAP_HANDLER: 0
; COMPUTE_PGM_RSRC2:TGID_X_EN: 1
; COMPUTE_PGM_RSRC2:TGID_Y_EN: 0
; COMPUTE_PGM_RSRC2:TGID_Z_EN: 0
; COMPUTE_PGM_RSRC2:TIDIG_COMP_CNT: 0
; COMPUTE_PGM_RSRC3_GFX90A:ACCUM_OFFSET: 4
; COMPUTE_PGM_RSRC3_GFX90A:TG_SPLIT: 0
	.section	.text._ZN2at6native12_GLOBAL__N_125multi_tensor_apply_kernelINS1_18TensorListMetadataILi1EEENS0_13LpNormFunctorIN3c108BFloat16ELNS0_8NormTypeE1ENS6_4HalfELi1ELi1ELi0EEEJPfiEEEvT_T0_DpT1_,"axG",@progbits,_ZN2at6native12_GLOBAL__N_125multi_tensor_apply_kernelINS1_18TensorListMetadataILi1EEENS0_13LpNormFunctorIN3c108BFloat16ELNS0_8NormTypeE1ENS6_4HalfELi1ELi1ELi0EEEJPfiEEEvT_T0_DpT1_,comdat
	.globl	_ZN2at6native12_GLOBAL__N_125multi_tensor_apply_kernelINS1_18TensorListMetadataILi1EEENS0_13LpNormFunctorIN3c108BFloat16ELNS0_8NormTypeE1ENS6_4HalfELi1ELi1ELi0EEEJPfiEEEvT_T0_DpT1_ ; -- Begin function _ZN2at6native12_GLOBAL__N_125multi_tensor_apply_kernelINS1_18TensorListMetadataILi1EEENS0_13LpNormFunctorIN3c108BFloat16ELNS0_8NormTypeE1ENS6_4HalfELi1ELi1ELi0EEEJPfiEEEvT_T0_DpT1_
	.p2align	8
	.type	_ZN2at6native12_GLOBAL__N_125multi_tensor_apply_kernelINS1_18TensorListMetadataILi1EEENS0_13LpNormFunctorIN3c108BFloat16ELNS0_8NormTypeE1ENS6_4HalfELi1ELi1ELi0EEEJPfiEEEvT_T0_DpT1_,@function
_ZN2at6native12_GLOBAL__N_125multi_tensor_apply_kernelINS1_18TensorListMetadataILi1EEENS0_13LpNormFunctorIN3c108BFloat16ELNS0_8NormTypeE1ENS6_4HalfELi1ELi1ELi0EEEJPfiEEEvT_T0_DpT1_: ; @_ZN2at6native12_GLOBAL__N_125multi_tensor_apply_kernelINS1_18TensorListMetadataILi1EEENS0_13LpNormFunctorIN3c108BFloat16ELNS0_8NormTypeE1ENS6_4HalfELi1ELi1ELi0EEEJPfiEEEvT_T0_DpT1_
; %bb.0:
	v_mov_b32_e32 v1, s2
	global_load_ubyte v1, v1, s[0:1] offset:1760
	s_add_u32 s3, s0, s2
	s_mul_hi_u32 s4, s2, 3
	s_mul_i32 s2, s2, 3
	s_addc_u32 s5, s1, 0
	s_add_u32 s2, s3, s2
	s_addc_u32 s3, s5, s4
	s_load_dword s4, s[2:3], 0x820
	s_mov_b32 s15, 0
	s_waitcnt vmcnt(0)
	v_readfirstlane_b32 s2, v1
	s_and_b32 s16, s2, 0xff
	s_lshl_b32 s5, s16, 3
	s_load_dwordx2 s[2:3], s[0:1], s5 offset:0x370
	s_load_dwordx2 s[6:7], s[0:1], s5 offset:0x0
	s_waitcnt lgkmcnt(0)
	s_ashr_i32 s5, s4, 31
	s_lshl_b64 s[10:11], s[4:5], 16
	s_lshl_b64 s[8:9], s[4:5], 17
	s_add_u32 s12, s6, s8
	s_addc_u32 s13, s7, s9
	s_sub_u32 s10, s2, s10
	s_subb_u32 s11, s3, s11
	s_and_b32 s14, s2, 3
	s_and_b32 s2, s12, 7
	s_mov_b32 s3, s15
	s_or_b64 s[2:3], s[14:15], s[2:3]
	s_cmp_eq_u64 s[2:3], 0
	s_cbranch_scc1 .LBB133_12
; %bb.1:
	v_cmp_lt_i64_e64 s[2:3], s[10:11], 1
	s_and_b64 vcc, exec, s[2:3]
	s_cbranch_vccnz .LBB133_13
; %bb.2:
	s_load_dword s14, s[0:1], 0xd4c
	v_mov_b64_e32 v[2:3], 0x10000
	v_cmp_lt_i64_e32 vcc, s[10:11], v[2:3]
	s_and_b64 s[2:3], vcc, exec
	v_mov_b32_e32 v7, 0
	s_cselect_b32 s3, s11, 0
	s_cselect_b32 s2, s10, 0x10000
	s_waitcnt lgkmcnt(0)
	s_and_b32 s18, s14, 0xffff
	v_mov_b32_e32 v6, v7
	v_mad_u64_u32 v[12:13], s[14:15], s18, 3, v[0:1]
	v_mov_b32_e32 v8, v7
	v_mov_b32_e32 v9, v7
	v_mov_b64_e32 v[2:3], v[6:7]
	s_mov_b32 s5, 0x10000
	s_lshl_b32 s17, s18, 2
	v_lshl_add_u32 v10, s18, 1, v0
	v_add_u32_e32 v14, s18, v0
	s_mov_b64 s[14:15], 0
	v_mov_b64_e32 v[16:17], s[2:3]
	v_mov_b64_e32 v[4:5], v[8:9]
	s_branch .LBB133_4
.LBB133_3:                              ;   in Loop: Header=BB133_4 Depth=1
	s_or_b64 exec, exec, s[2:3]
	s_add_u32 s14, s14, s17
	s_addc_u32 s15, s15, 0
	v_cmp_lt_i64_e32 vcc, s[14:15], v[16:17]
	s_cbranch_vccz .LBB133_14
.LBB133_4:                              ; =>This Inner Loop Header: Depth=1
	v_add_u32_e32 v6, s14, v0
	v_cmp_gt_i64_e32 vcc, s[10:11], v[6:7]
	v_cmp_gt_u32_e64 s[2:3], s5, v6
	s_and_b64 s[18:19], s[2:3], vcc
	s_and_saveexec_b64 s[2:3], s[18:19]
	s_cbranch_execz .LBB133_6
; %bb.5:                                ;   in Loop: Header=BB133_4 Depth=1
	v_lshl_add_u64 v[8:9], v[6:7], 1, s[12:13]
	global_load_ushort v1, v[8:9], off
	s_waitcnt vmcnt(0)
	v_lshlrev_b32_e32 v1, 16, v1
	v_add_f32_e64 v2, v2, |v1|
.LBB133_6:                              ;   in Loop: Header=BB133_4 Depth=1
	s_or_b64 exec, exec, s[2:3]
	v_add_u32_e32 v6, s14, v14
	v_cmp_gt_i64_e32 vcc, s[10:11], v[6:7]
	v_cmp_gt_u32_e64 s[2:3], s5, v6
	s_and_b64 s[18:19], s[2:3], vcc
	s_and_saveexec_b64 s[2:3], s[18:19]
	s_cbranch_execz .LBB133_8
; %bb.7:                                ;   in Loop: Header=BB133_4 Depth=1
	v_lshl_add_u64 v[8:9], v[6:7], 1, s[12:13]
	global_load_ushort v1, v[8:9], off
	s_waitcnt vmcnt(0)
	v_lshlrev_b32_e32 v1, 16, v1
	v_add_f32_e64 v3, v3, |v1|
.LBB133_8:                              ;   in Loop: Header=BB133_4 Depth=1
	s_or_b64 exec, exec, s[2:3]
	v_add_u32_e32 v6, s14, v10
	v_cmp_gt_i64_e32 vcc, s[10:11], v[6:7]
	v_cmp_gt_u32_e64 s[2:3], s5, v6
	s_and_b64 s[18:19], s[2:3], vcc
	s_and_saveexec_b64 s[2:3], s[18:19]
	s_cbranch_execz .LBB133_10
; %bb.9:                                ;   in Loop: Header=BB133_4 Depth=1
	v_lshl_add_u64 v[8:9], v[6:7], 1, s[12:13]
	global_load_ushort v1, v[8:9], off
	s_waitcnt vmcnt(0)
	v_lshlrev_b32_e32 v1, 16, v1
	v_add_f32_e64 v4, v4, |v1|
.LBB133_10:                             ;   in Loop: Header=BB133_4 Depth=1
	s_or_b64 exec, exec, s[2:3]
	v_add_u32_e32 v6, s14, v12
	v_cmp_gt_i64_e32 vcc, s[10:11], v[6:7]
	v_cmp_gt_u32_e64 s[2:3], s5, v6
	s_and_b64 s[18:19], s[2:3], vcc
	s_and_saveexec_b64 s[2:3], s[18:19]
	s_cbranch_execz .LBB133_3
; %bb.11:                               ;   in Loop: Header=BB133_4 Depth=1
	v_lshl_add_u64 v[8:9], v[6:7], 1, s[12:13]
	global_load_ushort v1, v[8:9], off
	s_waitcnt vmcnt(0)
	v_lshlrev_b32_e32 v1, 16, v1
	v_add_f32_e64 v5, v5, |v1|
	s_branch .LBB133_3
.LBB133_12:
                                        ; implicit-def: $vgpr2_vgpr3_vgpr4_vgpr5
	s_branch .LBB133_15
.LBB133_13:
	v_mov_b32_e32 v2, 0
	v_mov_b32_e32 v3, v2
	;; [unrolled: 1-line block ×4, first 2 shown]
.LBB133_14:
	s_cbranch_execnz .LBB133_20
.LBB133_15:
	v_mov_b64_e32 v[4:5], 0x10000
	v_cmp_lt_i64_e32 vcc, s[10:11], v[4:5]
	v_mov_b32_e32 v2, 0
	s_and_b64 s[2:3], vcc, exec
	s_cselect_b32 s3, s11, 0
	s_cselect_b32 s2, s10, 0x10000
	v_lshlrev_b32_e32 v4, 2, v0
	v_mov_b32_e32 v5, v2
	v_cmp_gt_i64_e32 vcc, s[2:3], v[4:5]
	s_mov_b32 s13, 0
	v_mov_b32_e32 v3, v2
	v_mov_b32_e32 v4, v2
	s_and_saveexec_b64 s[10:11], vcc
	s_cbranch_execz .LBB133_19
; %bb.16:
	s_load_dword s5, s[0:1], 0xd4c
	v_mov_b32_e32 v1, v2
	v_lshlrev_b32_e32 v4, 3, v0
	v_mov_b32_e32 v5, v2
	v_mov_b64_e32 v[8:9], v[0:1]
	s_waitcnt lgkmcnt(0)
	s_and_b32 s12, s5, 0xffff
	s_add_u32 s8, s6, s8
	s_addc_u32 s9, s7, s9
	s_lshl_b32 s6, s12, 3
	v_lshl_add_u64 v[6:7], s[8:9], 0, v[4:5]
	s_mov_b32 s7, s13
	s_mov_b64 s[8:9], 0
	v_mov_b32_e32 v3, v2
	v_mov_b32_e32 v4, v2
.LBB133_17:                             ; =>This Inner Loop Header: Depth=1
	global_load_dwordx2 v[10:11], v[6:7], off
	v_lshl_add_u64 v[8:9], v[8:9], 0, s[12:13]
	v_lshlrev_b64 v[12:13], 2, v[8:9]
	v_cmp_le_i64_e32 vcc, s[2:3], v[12:13]
	v_lshl_add_u64 v[6:7], v[6:7], 0, s[6:7]
	s_or_b64 s[8:9], vcc, s[8:9]
	s_waitcnt vmcnt(0)
	v_and_b32_e32 v1, 0xffff0000, v10
	v_lshlrev_b32_e32 v12, 16, v10
	v_alignbit_b32 v10, v11, v10, 16
	v_and_b32_e32 v11, 0xffff0000, v11
	v_and_b32_e32 v10, 0xffff0000, v10
	;; [unrolled: 1-line block ×6, first 2 shown]
	v_pk_add_f32 v[2:3], v[2:3], v[12:13]
	v_pk_add_f32 v[4:5], v[4:5], v[10:11]
	s_andn2_b64 exec, exec, s[8:9]
	s_cbranch_execnz .LBB133_17
; %bb.18:
	s_or_b64 exec, exec, s[8:9]
.LBB133_19:
	s_or_b64 exec, exec, s[10:11]
.LBB133_20:
	v_add_f32_e32 v1, 0, v2
	v_add_f32_e32 v1, v3, v1
	;; [unrolled: 1-line block ×4, first 2 shown]
	v_mbcnt_lo_u32_b32 v1, -1, 0
	v_mbcnt_hi_u32_b32 v6, -1, v1
	v_mov_b32_e32 v1, 0x80
	v_lshl_or_b32 v1, v6, 2, v1
	ds_bpermute_b32 v3, v1, v2
	v_and_b32_e32 v9, 63, v6
	v_cmp_gt_u32_e32 vcc, 48, v9
	s_waitcnt lgkmcnt(0)
	s_barrier
	v_add_f32_e32 v3, v2, v3
	v_cndmask_b32_e64 v2, 0, 16, vcc
	v_add_lshl_u32 v2, v2, v6, 2
	ds_bpermute_b32 v4, v2, v3
	v_cmp_gt_u32_e32 vcc, 56, v9
	s_waitcnt lgkmcnt(0)
	v_add_f32_e32 v4, v3, v4
	v_cndmask_b32_e64 v3, 0, 8, vcc
	v_add_lshl_u32 v3, v3, v6, 2
	ds_bpermute_b32 v5, v3, v4
	v_cmp_gt_u32_e32 vcc, 60, v9
	s_waitcnt lgkmcnt(0)
	;; [unrolled: 6-line block ×3, first 2 shown]
	v_add_f32_e32 v7, v5, v7
	v_cndmask_b32_e64 v8, 0, 2, vcc
	v_add_lshl_u32 v5, v8, v6, 2
	ds_bpermute_b32 v10, v5, v7
	v_cmp_ne_u32_e32 vcc, 63, v9
	v_and_b32_e32 v8, 63, v0
	s_waitcnt lgkmcnt(0)
	v_add_f32_e32 v7, v7, v10
	v_addc_co_u32_e32 v6, vcc, 0, v6, vcc
	v_lshlrev_b32_e32 v6, 2, v6
	ds_bpermute_b32 v9, v6, v7
	v_cmp_eq_u32_e32 vcc, 0, v8
	s_and_saveexec_b64 s[2:3], vcc
	s_cbranch_execz .LBB133_22
; %bb.21:
	v_lshrrev_b32_e32 v10, 4, v0
	s_waitcnt lgkmcnt(0)
	v_add_f32_e32 v7, v7, v9
	ds_write_b32 v10, v7
.LBB133_22:
	s_or_b64 exec, exec, s[2:3]
	s_waitcnt lgkmcnt(0)
	s_barrier
	s_load_dword s2, s[0:1], 0xd4c
	v_mov_b32_e32 v7, 0
	s_waitcnt lgkmcnt(0)
	s_bfe_u32 s2, s2, 0xa0006
	v_cmp_gt_u32_e32 vcc, s2, v0
	s_and_saveexec_b64 s[2:3], vcc
	s_cbranch_execnz .LBB133_26
; %bb.23:
	s_or_b64 exec, exec, s[2:3]
	v_cmp_gt_u32_e32 vcc, 64, v0
	s_and_saveexec_b64 s[2:3], vcc
	s_cbranch_execnz .LBB133_27
.LBB133_24:
	s_or_b64 exec, exec, s[2:3]
	v_cmp_eq_u32_e32 vcc, 0, v0
	s_and_saveexec_b64 s[2:3], vcc
	s_cbranch_execnz .LBB133_28
.LBB133_25:
	s_endpgm
.LBB133_26:
	v_lshlrev_b32_e32 v7, 2, v8
	ds_read_b32 v7, v7
	s_or_b64 exec, exec, s[2:3]
	v_cmp_gt_u32_e32 vcc, 64, v0
	s_and_saveexec_b64 s[2:3], vcc
	s_cbranch_execz .LBB133_24
.LBB133_27:
	s_waitcnt lgkmcnt(0)
	ds_bpermute_b32 v1, v1, v7
	s_waitcnt lgkmcnt(0)
	v_add_f32_e32 v1, v7, v1
	ds_bpermute_b32 v2, v2, v1
	s_waitcnt lgkmcnt(0)
	v_add_f32_e32 v1, v1, v2
	;; [unrolled: 3-line block ×6, first 2 shown]
	s_or_b64 exec, exec, s[2:3]
	v_cmp_eq_u32_e32 vcc, 0, v0
	s_and_saveexec_b64 s[2:3], vcc
	s_cbranch_execz .LBB133_25
.LBB133_28:
	s_load_dword s5, s[0:1], 0xd20
	s_load_dword s6, s[0:1], 0xd38
	s_load_dwordx2 s[2:3], s[0:1], 0xd30
	v_mov_b32_e32 v0, 0
	s_waitcnt lgkmcnt(0)
	s_add_i32 s0, s5, s16
	s_mul_i32 s0, s0, s6
	s_add_i32 s0, s0, s4
	s_ashr_i32 s1, s0, 31
	s_lshl_b64 s[0:1], s[0:1], 2
	s_add_u32 s0, s2, s0
	s_addc_u32 s1, s3, s1
	global_store_dword v0, v7, s[0:1]
	s_endpgm
	.section	.rodata,"a",@progbits
	.p2align	6, 0x0
	.amdhsa_kernel _ZN2at6native12_GLOBAL__N_125multi_tensor_apply_kernelINS1_18TensorListMetadataILi1EEENS0_13LpNormFunctorIN3c108BFloat16ELNS0_8NormTypeE1ENS6_4HalfELi1ELi1ELi0EEEJPfiEEEvT_T0_DpT1_
		.amdhsa_group_segment_fixed_size 2048
		.amdhsa_private_segment_fixed_size 0
		.amdhsa_kernarg_size 3648
		.amdhsa_user_sgpr_count 2
		.amdhsa_user_sgpr_dispatch_ptr 0
		.amdhsa_user_sgpr_queue_ptr 0
		.amdhsa_user_sgpr_kernarg_segment_ptr 1
		.amdhsa_user_sgpr_dispatch_id 0
		.amdhsa_user_sgpr_kernarg_preload_length 0
		.amdhsa_user_sgpr_kernarg_preload_offset 0
		.amdhsa_user_sgpr_private_segment_size 0
		.amdhsa_uses_dynamic_stack 0
		.amdhsa_enable_private_segment 0
		.amdhsa_system_sgpr_workgroup_id_x 1
		.amdhsa_system_sgpr_workgroup_id_y 0
		.amdhsa_system_sgpr_workgroup_id_z 0
		.amdhsa_system_sgpr_workgroup_info 0
		.amdhsa_system_vgpr_workitem_id 0
		.amdhsa_next_free_vgpr 18
		.amdhsa_next_free_sgpr 20
		.amdhsa_accum_offset 20
		.amdhsa_reserve_vcc 1
		.amdhsa_float_round_mode_32 0
		.amdhsa_float_round_mode_16_64 0
		.amdhsa_float_denorm_mode_32 3
		.amdhsa_float_denorm_mode_16_64 3
		.amdhsa_dx10_clamp 1
		.amdhsa_ieee_mode 1
		.amdhsa_fp16_overflow 0
		.amdhsa_tg_split 0
		.amdhsa_exception_fp_ieee_invalid_op 0
		.amdhsa_exception_fp_denorm_src 0
		.amdhsa_exception_fp_ieee_div_zero 0
		.amdhsa_exception_fp_ieee_overflow 0
		.amdhsa_exception_fp_ieee_underflow 0
		.amdhsa_exception_fp_ieee_inexact 0
		.amdhsa_exception_int_div_zero 0
	.end_amdhsa_kernel
	.section	.text._ZN2at6native12_GLOBAL__N_125multi_tensor_apply_kernelINS1_18TensorListMetadataILi1EEENS0_13LpNormFunctorIN3c108BFloat16ELNS0_8NormTypeE1ENS6_4HalfELi1ELi1ELi0EEEJPfiEEEvT_T0_DpT1_,"axG",@progbits,_ZN2at6native12_GLOBAL__N_125multi_tensor_apply_kernelINS1_18TensorListMetadataILi1EEENS0_13LpNormFunctorIN3c108BFloat16ELNS0_8NormTypeE1ENS6_4HalfELi1ELi1ELi0EEEJPfiEEEvT_T0_DpT1_,comdat
.Lfunc_end133:
	.size	_ZN2at6native12_GLOBAL__N_125multi_tensor_apply_kernelINS1_18TensorListMetadataILi1EEENS0_13LpNormFunctorIN3c108BFloat16ELNS0_8NormTypeE1ENS6_4HalfELi1ELi1ELi0EEEJPfiEEEvT_T0_DpT1_, .Lfunc_end133-_ZN2at6native12_GLOBAL__N_125multi_tensor_apply_kernelINS1_18TensorListMetadataILi1EEENS0_13LpNormFunctorIN3c108BFloat16ELNS0_8NormTypeE1ENS6_4HalfELi1ELi1ELi0EEEJPfiEEEvT_T0_DpT1_
                                        ; -- End function
	.set _ZN2at6native12_GLOBAL__N_125multi_tensor_apply_kernelINS1_18TensorListMetadataILi1EEENS0_13LpNormFunctorIN3c108BFloat16ELNS0_8NormTypeE1ENS6_4HalfELi1ELi1ELi0EEEJPfiEEEvT_T0_DpT1_.num_vgpr, 18
	.set _ZN2at6native12_GLOBAL__N_125multi_tensor_apply_kernelINS1_18TensorListMetadataILi1EEENS0_13LpNormFunctorIN3c108BFloat16ELNS0_8NormTypeE1ENS6_4HalfELi1ELi1ELi0EEEJPfiEEEvT_T0_DpT1_.num_agpr, 0
	.set _ZN2at6native12_GLOBAL__N_125multi_tensor_apply_kernelINS1_18TensorListMetadataILi1EEENS0_13LpNormFunctorIN3c108BFloat16ELNS0_8NormTypeE1ENS6_4HalfELi1ELi1ELi0EEEJPfiEEEvT_T0_DpT1_.numbered_sgpr, 20
	.set _ZN2at6native12_GLOBAL__N_125multi_tensor_apply_kernelINS1_18TensorListMetadataILi1EEENS0_13LpNormFunctorIN3c108BFloat16ELNS0_8NormTypeE1ENS6_4HalfELi1ELi1ELi0EEEJPfiEEEvT_T0_DpT1_.num_named_barrier, 0
	.set _ZN2at6native12_GLOBAL__N_125multi_tensor_apply_kernelINS1_18TensorListMetadataILi1EEENS0_13LpNormFunctorIN3c108BFloat16ELNS0_8NormTypeE1ENS6_4HalfELi1ELi1ELi0EEEJPfiEEEvT_T0_DpT1_.private_seg_size, 0
	.set _ZN2at6native12_GLOBAL__N_125multi_tensor_apply_kernelINS1_18TensorListMetadataILi1EEENS0_13LpNormFunctorIN3c108BFloat16ELNS0_8NormTypeE1ENS6_4HalfELi1ELi1ELi0EEEJPfiEEEvT_T0_DpT1_.uses_vcc, 1
	.set _ZN2at6native12_GLOBAL__N_125multi_tensor_apply_kernelINS1_18TensorListMetadataILi1EEENS0_13LpNormFunctorIN3c108BFloat16ELNS0_8NormTypeE1ENS6_4HalfELi1ELi1ELi0EEEJPfiEEEvT_T0_DpT1_.uses_flat_scratch, 0
	.set _ZN2at6native12_GLOBAL__N_125multi_tensor_apply_kernelINS1_18TensorListMetadataILi1EEENS0_13LpNormFunctorIN3c108BFloat16ELNS0_8NormTypeE1ENS6_4HalfELi1ELi1ELi0EEEJPfiEEEvT_T0_DpT1_.has_dyn_sized_stack, 0
	.set _ZN2at6native12_GLOBAL__N_125multi_tensor_apply_kernelINS1_18TensorListMetadataILi1EEENS0_13LpNormFunctorIN3c108BFloat16ELNS0_8NormTypeE1ENS6_4HalfELi1ELi1ELi0EEEJPfiEEEvT_T0_DpT1_.has_recursion, 0
	.set _ZN2at6native12_GLOBAL__N_125multi_tensor_apply_kernelINS1_18TensorListMetadataILi1EEENS0_13LpNormFunctorIN3c108BFloat16ELNS0_8NormTypeE1ENS6_4HalfELi1ELi1ELi0EEEJPfiEEEvT_T0_DpT1_.has_indirect_call, 0
	.section	.AMDGPU.csdata,"",@progbits
; Kernel info:
; codeLenInByte = 1424
; TotalNumSgprs: 26
; NumVgprs: 18
; NumAgprs: 0
; TotalNumVgprs: 18
; ScratchSize: 0
; MemoryBound: 0
; FloatMode: 240
; IeeeMode: 1
; LDSByteSize: 2048 bytes/workgroup (compile time only)
; SGPRBlocks: 3
; VGPRBlocks: 2
; NumSGPRsForWavesPerEU: 26
; NumVGPRsForWavesPerEU: 18
; AccumOffset: 20
; Occupancy: 8
; WaveLimiterHint : 0
; COMPUTE_PGM_RSRC2:SCRATCH_EN: 0
; COMPUTE_PGM_RSRC2:USER_SGPR: 2
; COMPUTE_PGM_RSRC2:TRAP_HANDLER: 0
; COMPUTE_PGM_RSRC2:TGID_X_EN: 1
; COMPUTE_PGM_RSRC2:TGID_Y_EN: 0
; COMPUTE_PGM_RSRC2:TGID_Z_EN: 0
; COMPUTE_PGM_RSRC2:TIDIG_COMP_CNT: 0
; COMPUTE_PGM_RSRC3_GFX90A:ACCUM_OFFSET: 4
; COMPUTE_PGM_RSRC3_GFX90A:TG_SPLIT: 0
	.section	.text._ZN2at6native12_GLOBAL__N_125multi_tensor_apply_kernelINS1_18TensorListMetadataILi1EEENS0_13LpNormFunctorIN3c108BFloat16ELNS0_8NormTypeE2ENS6_4HalfELi1ELi1ELi0EEEJPfiEEEvT_T0_DpT1_,"axG",@progbits,_ZN2at6native12_GLOBAL__N_125multi_tensor_apply_kernelINS1_18TensorListMetadataILi1EEENS0_13LpNormFunctorIN3c108BFloat16ELNS0_8NormTypeE2ENS6_4HalfELi1ELi1ELi0EEEJPfiEEEvT_T0_DpT1_,comdat
	.globl	_ZN2at6native12_GLOBAL__N_125multi_tensor_apply_kernelINS1_18TensorListMetadataILi1EEENS0_13LpNormFunctorIN3c108BFloat16ELNS0_8NormTypeE2ENS6_4HalfELi1ELi1ELi0EEEJPfiEEEvT_T0_DpT1_ ; -- Begin function _ZN2at6native12_GLOBAL__N_125multi_tensor_apply_kernelINS1_18TensorListMetadataILi1EEENS0_13LpNormFunctorIN3c108BFloat16ELNS0_8NormTypeE2ENS6_4HalfELi1ELi1ELi0EEEJPfiEEEvT_T0_DpT1_
	.p2align	8
	.type	_ZN2at6native12_GLOBAL__N_125multi_tensor_apply_kernelINS1_18TensorListMetadataILi1EEENS0_13LpNormFunctorIN3c108BFloat16ELNS0_8NormTypeE2ENS6_4HalfELi1ELi1ELi0EEEJPfiEEEvT_T0_DpT1_,@function
_ZN2at6native12_GLOBAL__N_125multi_tensor_apply_kernelINS1_18TensorListMetadataILi1EEENS0_13LpNormFunctorIN3c108BFloat16ELNS0_8NormTypeE2ENS6_4HalfELi1ELi1ELi0EEEJPfiEEEvT_T0_DpT1_: ; @_ZN2at6native12_GLOBAL__N_125multi_tensor_apply_kernelINS1_18TensorListMetadataILi1EEENS0_13LpNormFunctorIN3c108BFloat16ELNS0_8NormTypeE2ENS6_4HalfELi1ELi1ELi0EEEJPfiEEEvT_T0_DpT1_
; %bb.0:
	v_mov_b32_e32 v1, s2
	global_load_ubyte v1, v1, s[0:1] offset:1760
	s_add_u32 s3, s0, s2
	s_mul_hi_u32 s4, s2, 3
	s_mul_i32 s2, s2, 3
	s_addc_u32 s5, s1, 0
	s_add_u32 s2, s3, s2
	s_addc_u32 s3, s5, s4
	s_load_dword s4, s[2:3], 0x820
	s_mov_b32 s15, 0
	s_waitcnt vmcnt(0)
	v_readfirstlane_b32 s2, v1
	s_and_b32 s16, s2, 0xff
	s_lshl_b32 s5, s16, 3
	s_load_dwordx2 s[2:3], s[0:1], s5 offset:0x370
	s_load_dwordx2 s[6:7], s[0:1], s5 offset:0x0
	s_waitcnt lgkmcnt(0)
	s_ashr_i32 s5, s4, 31
	s_lshl_b64 s[10:11], s[4:5], 16
	s_lshl_b64 s[8:9], s[4:5], 17
	s_add_u32 s12, s6, s8
	s_addc_u32 s13, s7, s9
	s_sub_u32 s10, s2, s10
	s_subb_u32 s11, s3, s11
	s_and_b32 s14, s2, 3
	s_and_b32 s2, s12, 7
	s_mov_b32 s3, s15
	s_or_b64 s[2:3], s[14:15], s[2:3]
	s_cmp_eq_u64 s[2:3], 0
	s_cbranch_scc1 .LBB134_12
; %bb.1:
	v_cmp_lt_i64_e64 s[2:3], s[10:11], 1
	s_and_b64 vcc, exec, s[2:3]
	s_cbranch_vccnz .LBB134_13
; %bb.2:
	s_load_dword s14, s[0:1], 0xd4c
	v_mov_b64_e32 v[2:3], 0x10000
	v_cmp_lt_i64_e32 vcc, s[10:11], v[2:3]
	s_and_b64 s[2:3], vcc, exec
	v_mov_b32_e32 v7, 0
	s_cselect_b32 s3, s11, 0
	s_cselect_b32 s2, s10, 0x10000
	s_waitcnt lgkmcnt(0)
	s_and_b32 s18, s14, 0xffff
	v_mov_b32_e32 v6, v7
	v_mad_u64_u32 v[12:13], s[14:15], s18, 3, v[0:1]
	v_mov_b32_e32 v8, v7
	v_mov_b32_e32 v9, v7
	v_mov_b64_e32 v[2:3], v[6:7]
	s_mov_b32 s5, 0x10000
	s_lshl_b32 s17, s18, 2
	v_lshl_add_u32 v10, s18, 1, v0
	v_add_u32_e32 v14, s18, v0
	s_mov_b64 s[14:15], 0
	v_mov_b64_e32 v[16:17], s[2:3]
	v_mov_b64_e32 v[4:5], v[8:9]
	s_branch .LBB134_4
.LBB134_3:                              ;   in Loop: Header=BB134_4 Depth=1
	s_or_b64 exec, exec, s[2:3]
	s_add_u32 s14, s14, s17
	s_addc_u32 s15, s15, 0
	v_cmp_lt_i64_e32 vcc, s[14:15], v[16:17]
	s_cbranch_vccz .LBB134_14
.LBB134_4:                              ; =>This Inner Loop Header: Depth=1
	v_add_u32_e32 v6, s14, v0
	v_cmp_gt_i64_e32 vcc, s[10:11], v[6:7]
	v_cmp_gt_u32_e64 s[2:3], s5, v6
	s_and_b64 s[18:19], s[2:3], vcc
	s_and_saveexec_b64 s[2:3], s[18:19]
	s_cbranch_execz .LBB134_6
; %bb.5:                                ;   in Loop: Header=BB134_4 Depth=1
	v_lshl_add_u64 v[8:9], v[6:7], 1, s[12:13]
	global_load_ushort v1, v[8:9], off
	s_waitcnt vmcnt(0)
	v_lshlrev_b32_e32 v1, 16, v1
	v_fma_f32 v2, v1, v1, v2
.LBB134_6:                              ;   in Loop: Header=BB134_4 Depth=1
	s_or_b64 exec, exec, s[2:3]
	v_add_u32_e32 v6, s14, v14
	v_cmp_gt_i64_e32 vcc, s[10:11], v[6:7]
	v_cmp_gt_u32_e64 s[2:3], s5, v6
	s_and_b64 s[18:19], s[2:3], vcc
	s_and_saveexec_b64 s[2:3], s[18:19]
	s_cbranch_execz .LBB134_8
; %bb.7:                                ;   in Loop: Header=BB134_4 Depth=1
	v_lshl_add_u64 v[8:9], v[6:7], 1, s[12:13]
	global_load_ushort v1, v[8:9], off
	s_waitcnt vmcnt(0)
	v_lshlrev_b32_e32 v1, 16, v1
	v_fma_f32 v3, v1, v1, v3
.LBB134_8:                              ;   in Loop: Header=BB134_4 Depth=1
	s_or_b64 exec, exec, s[2:3]
	v_add_u32_e32 v6, s14, v10
	v_cmp_gt_i64_e32 vcc, s[10:11], v[6:7]
	v_cmp_gt_u32_e64 s[2:3], s5, v6
	s_and_b64 s[18:19], s[2:3], vcc
	s_and_saveexec_b64 s[2:3], s[18:19]
	s_cbranch_execz .LBB134_10
; %bb.9:                                ;   in Loop: Header=BB134_4 Depth=1
	v_lshl_add_u64 v[8:9], v[6:7], 1, s[12:13]
	global_load_ushort v1, v[8:9], off
	s_waitcnt vmcnt(0)
	v_lshlrev_b32_e32 v1, 16, v1
	v_fma_f32 v4, v1, v1, v4
.LBB134_10:                             ;   in Loop: Header=BB134_4 Depth=1
	s_or_b64 exec, exec, s[2:3]
	v_add_u32_e32 v6, s14, v12
	v_cmp_gt_i64_e32 vcc, s[10:11], v[6:7]
	v_cmp_gt_u32_e64 s[2:3], s5, v6
	s_and_b64 s[18:19], s[2:3], vcc
	s_and_saveexec_b64 s[2:3], s[18:19]
	s_cbranch_execz .LBB134_3
; %bb.11:                               ;   in Loop: Header=BB134_4 Depth=1
	v_lshl_add_u64 v[8:9], v[6:7], 1, s[12:13]
	global_load_ushort v1, v[8:9], off
	s_waitcnt vmcnt(0)
	v_lshlrev_b32_e32 v1, 16, v1
	v_fma_f32 v5, v1, v1, v5
	s_branch .LBB134_3
.LBB134_12:
                                        ; implicit-def: $vgpr2_vgpr3_vgpr4_vgpr5
	s_branch .LBB134_15
.LBB134_13:
	v_mov_b32_e32 v2, 0
	v_mov_b32_e32 v3, v2
	;; [unrolled: 1-line block ×4, first 2 shown]
.LBB134_14:
	s_cbranch_execnz .LBB134_20
.LBB134_15:
	v_mov_b64_e32 v[4:5], 0x10000
	v_cmp_lt_i64_e32 vcc, s[10:11], v[4:5]
	s_and_b64 s[2:3], vcc, exec
	v_mov_b32_e32 v3, 0
	s_cselect_b32 s3, s11, 0
	s_cselect_b32 s2, s10, 0x10000
	v_lshlrev_b32_e32 v2, 2, v0
	v_cmp_gt_i64_e32 vcc, s[2:3], v[2:3]
	s_mov_b32 s13, 0
	v_mov_b32_e32 v2, v3
	v_mov_b32_e32 v4, v3
	;; [unrolled: 1-line block ×3, first 2 shown]
	s_and_saveexec_b64 s[10:11], vcc
	s_cbranch_execz .LBB134_19
; %bb.16:
	s_load_dword s5, s[0:1], 0xd4c
	v_mov_b32_e32 v1, v3
	v_lshlrev_b32_e32 v2, 3, v0
	s_mov_b32 s15, s13
	v_mov_b64_e32 v[10:11], v[0:1]
	s_waitcnt lgkmcnt(0)
	s_and_b32 s12, s5, 0xffff
	s_add_u32 s6, s6, s8
	s_addc_u32 s7, s7, s9
	s_lshl_b32 s14, s12, 3
	v_lshl_add_u64 v[8:9], s[6:7], 0, v[2:3]
	s_mov_b64 s[6:7], 0
	v_mov_b32_e32 v5, 0
	v_mov_b32_e32 v6, 0
	v_mov_b32_e32 v7, 0
.LBB134_17:                             ; =>This Inner Loop Header: Depth=1
	global_load_dwordx2 v[12:13], v[8:9], off
	v_lshl_add_u64 v[10:11], v[10:11], 0, s[12:13]
	v_lshlrev_b64 v[14:15], 2, v[10:11]
	v_cmp_le_i64_e32 vcc, s[2:3], v[14:15]
	v_lshl_add_u64 v[8:9], v[8:9], 0, s[14:15]
	s_or_b64 s[6:7], vcc, s[6:7]
	s_waitcnt vmcnt(0)
	v_and_b32_e32 v1, 0xffff0000, v12
	v_alignbit_b32 v4, v13, v12, 16
	v_lshlrev_b32_e32 v2, 16, v12
	v_and_b32_e32 v12, 0xffff0000, v13
	v_fmac_f32_e32 v5, v1, v1
	v_and_b32_e32 v1, 0xffff0000, v4
	v_fmac_f32_e32 v3, v2, v2
	v_fmac_f32_e32 v7, v12, v12
	v_fmac_f32_e32 v6, v1, v1
	s_andn2_b64 exec, exec, s[6:7]
	s_cbranch_execnz .LBB134_17
; %bb.18:
	s_or_b64 exec, exec, s[6:7]
	v_mov_b32_e32 v4, v3
	v_mov_b64_e32 v[2:3], v[4:5]
	v_mov_b64_e32 v[4:5], v[6:7]
.LBB134_19:
	s_or_b64 exec, exec, s[10:11]
.LBB134_20:
	v_add_f32_e32 v1, 0, v2
	v_add_f32_e32 v1, v3, v1
	;; [unrolled: 1-line block ×4, first 2 shown]
	v_mbcnt_lo_u32_b32 v1, -1, 0
	v_mbcnt_hi_u32_b32 v6, -1, v1
	v_mov_b32_e32 v1, 0x80
	v_lshl_or_b32 v1, v6, 2, v1
	ds_bpermute_b32 v3, v1, v2
	v_and_b32_e32 v9, 63, v6
	v_cmp_gt_u32_e32 vcc, 48, v9
	s_waitcnt lgkmcnt(0)
	s_barrier
	v_add_f32_e32 v3, v2, v3
	v_cndmask_b32_e64 v2, 0, 16, vcc
	v_add_lshl_u32 v2, v2, v6, 2
	ds_bpermute_b32 v4, v2, v3
	v_cmp_gt_u32_e32 vcc, 56, v9
	s_waitcnt lgkmcnt(0)
	v_add_f32_e32 v4, v3, v4
	v_cndmask_b32_e64 v3, 0, 8, vcc
	v_add_lshl_u32 v3, v3, v6, 2
	ds_bpermute_b32 v5, v3, v4
	v_cmp_gt_u32_e32 vcc, 60, v9
	s_waitcnt lgkmcnt(0)
	;; [unrolled: 6-line block ×3, first 2 shown]
	v_add_f32_e32 v7, v5, v7
	v_cndmask_b32_e64 v8, 0, 2, vcc
	v_add_lshl_u32 v5, v8, v6, 2
	ds_bpermute_b32 v10, v5, v7
	v_cmp_ne_u32_e32 vcc, 63, v9
	v_and_b32_e32 v8, 63, v0
	s_waitcnt lgkmcnt(0)
	v_add_f32_e32 v7, v7, v10
	v_addc_co_u32_e32 v6, vcc, 0, v6, vcc
	v_lshlrev_b32_e32 v6, 2, v6
	ds_bpermute_b32 v9, v6, v7
	v_cmp_eq_u32_e32 vcc, 0, v8
	s_and_saveexec_b64 s[2:3], vcc
	s_cbranch_execz .LBB134_22
; %bb.21:
	v_lshrrev_b32_e32 v10, 4, v0
	s_waitcnt lgkmcnt(0)
	v_add_f32_e32 v7, v7, v9
	ds_write_b32 v10, v7
.LBB134_22:
	s_or_b64 exec, exec, s[2:3]
	s_waitcnt lgkmcnt(0)
	s_barrier
	s_load_dword s2, s[0:1], 0xd4c
	v_mov_b32_e32 v7, 0
	s_waitcnt lgkmcnt(0)
	s_bfe_u32 s2, s2, 0xa0006
	v_cmp_gt_u32_e32 vcc, s2, v0
	s_and_saveexec_b64 s[2:3], vcc
	s_cbranch_execnz .LBB134_26
; %bb.23:
	s_or_b64 exec, exec, s[2:3]
	v_cmp_gt_u32_e32 vcc, 64, v0
	s_and_saveexec_b64 s[2:3], vcc
	s_cbranch_execnz .LBB134_27
.LBB134_24:
	s_or_b64 exec, exec, s[2:3]
	v_cmp_eq_u32_e32 vcc, 0, v0
	s_and_saveexec_b64 s[2:3], vcc
	s_cbranch_execnz .LBB134_28
.LBB134_25:
	s_endpgm
.LBB134_26:
	v_lshlrev_b32_e32 v7, 2, v8
	ds_read_b32 v7, v7
	s_or_b64 exec, exec, s[2:3]
	v_cmp_gt_u32_e32 vcc, 64, v0
	s_and_saveexec_b64 s[2:3], vcc
	s_cbranch_execz .LBB134_24
.LBB134_27:
	s_waitcnt lgkmcnt(0)
	ds_bpermute_b32 v1, v1, v7
	s_waitcnt lgkmcnt(0)
	v_add_f32_e32 v1, v7, v1
	ds_bpermute_b32 v2, v2, v1
	s_waitcnt lgkmcnt(0)
	v_add_f32_e32 v1, v1, v2
	;; [unrolled: 3-line block ×6, first 2 shown]
	s_or_b64 exec, exec, s[2:3]
	v_cmp_eq_u32_e32 vcc, 0, v0
	s_and_saveexec_b64 s[2:3], vcc
	s_cbranch_execz .LBB134_25
.LBB134_28:
	s_load_dword s5, s[0:1], 0xd20
	s_load_dword s6, s[0:1], 0xd38
	s_load_dwordx2 s[2:3], s[0:1], 0xd30
	v_mov_b32_e32 v0, 0
	s_waitcnt lgkmcnt(0)
	s_add_i32 s0, s5, s16
	s_mul_i32 s0, s0, s6
	s_add_i32 s0, s0, s4
	s_ashr_i32 s1, s0, 31
	s_lshl_b64 s[0:1], s[0:1], 2
	s_add_u32 s0, s2, s0
	s_addc_u32 s1, s3, s1
	global_store_dword v0, v7, s[0:1]
	s_endpgm
	.section	.rodata,"a",@progbits
	.p2align	6, 0x0
	.amdhsa_kernel _ZN2at6native12_GLOBAL__N_125multi_tensor_apply_kernelINS1_18TensorListMetadataILi1EEENS0_13LpNormFunctorIN3c108BFloat16ELNS0_8NormTypeE2ENS6_4HalfELi1ELi1ELi0EEEJPfiEEEvT_T0_DpT1_
		.amdhsa_group_segment_fixed_size 2048
		.amdhsa_private_segment_fixed_size 0
		.amdhsa_kernarg_size 3648
		.amdhsa_user_sgpr_count 2
		.amdhsa_user_sgpr_dispatch_ptr 0
		.amdhsa_user_sgpr_queue_ptr 0
		.amdhsa_user_sgpr_kernarg_segment_ptr 1
		.amdhsa_user_sgpr_dispatch_id 0
		.amdhsa_user_sgpr_kernarg_preload_length 0
		.amdhsa_user_sgpr_kernarg_preload_offset 0
		.amdhsa_user_sgpr_private_segment_size 0
		.amdhsa_uses_dynamic_stack 0
		.amdhsa_enable_private_segment 0
		.amdhsa_system_sgpr_workgroup_id_x 1
		.amdhsa_system_sgpr_workgroup_id_y 0
		.amdhsa_system_sgpr_workgroup_id_z 0
		.amdhsa_system_sgpr_workgroup_info 0
		.amdhsa_system_vgpr_workitem_id 0
		.amdhsa_next_free_vgpr 18
		.amdhsa_next_free_sgpr 20
		.amdhsa_accum_offset 20
		.amdhsa_reserve_vcc 1
		.amdhsa_float_round_mode_32 0
		.amdhsa_float_round_mode_16_64 0
		.amdhsa_float_denorm_mode_32 3
		.amdhsa_float_denorm_mode_16_64 3
		.amdhsa_dx10_clamp 1
		.amdhsa_ieee_mode 1
		.amdhsa_fp16_overflow 0
		.amdhsa_tg_split 0
		.amdhsa_exception_fp_ieee_invalid_op 0
		.amdhsa_exception_fp_denorm_src 0
		.amdhsa_exception_fp_ieee_div_zero 0
		.amdhsa_exception_fp_ieee_overflow 0
		.amdhsa_exception_fp_ieee_underflow 0
		.amdhsa_exception_fp_ieee_inexact 0
		.amdhsa_exception_int_div_zero 0
	.end_amdhsa_kernel
	.section	.text._ZN2at6native12_GLOBAL__N_125multi_tensor_apply_kernelINS1_18TensorListMetadataILi1EEENS0_13LpNormFunctorIN3c108BFloat16ELNS0_8NormTypeE2ENS6_4HalfELi1ELi1ELi0EEEJPfiEEEvT_T0_DpT1_,"axG",@progbits,_ZN2at6native12_GLOBAL__N_125multi_tensor_apply_kernelINS1_18TensorListMetadataILi1EEENS0_13LpNormFunctorIN3c108BFloat16ELNS0_8NormTypeE2ENS6_4HalfELi1ELi1ELi0EEEJPfiEEEvT_T0_DpT1_,comdat
.Lfunc_end134:
	.size	_ZN2at6native12_GLOBAL__N_125multi_tensor_apply_kernelINS1_18TensorListMetadataILi1EEENS0_13LpNormFunctorIN3c108BFloat16ELNS0_8NormTypeE2ENS6_4HalfELi1ELi1ELi0EEEJPfiEEEvT_T0_DpT1_, .Lfunc_end134-_ZN2at6native12_GLOBAL__N_125multi_tensor_apply_kernelINS1_18TensorListMetadataILi1EEENS0_13LpNormFunctorIN3c108BFloat16ELNS0_8NormTypeE2ENS6_4HalfELi1ELi1ELi0EEEJPfiEEEvT_T0_DpT1_
                                        ; -- End function
	.set _ZN2at6native12_GLOBAL__N_125multi_tensor_apply_kernelINS1_18TensorListMetadataILi1EEENS0_13LpNormFunctorIN3c108BFloat16ELNS0_8NormTypeE2ENS6_4HalfELi1ELi1ELi0EEEJPfiEEEvT_T0_DpT1_.num_vgpr, 18
	.set _ZN2at6native12_GLOBAL__N_125multi_tensor_apply_kernelINS1_18TensorListMetadataILi1EEENS0_13LpNormFunctorIN3c108BFloat16ELNS0_8NormTypeE2ENS6_4HalfELi1ELi1ELi0EEEJPfiEEEvT_T0_DpT1_.num_agpr, 0
	.set _ZN2at6native12_GLOBAL__N_125multi_tensor_apply_kernelINS1_18TensorListMetadataILi1EEENS0_13LpNormFunctorIN3c108BFloat16ELNS0_8NormTypeE2ENS6_4HalfELi1ELi1ELi0EEEJPfiEEEvT_T0_DpT1_.numbered_sgpr, 20
	.set _ZN2at6native12_GLOBAL__N_125multi_tensor_apply_kernelINS1_18TensorListMetadataILi1EEENS0_13LpNormFunctorIN3c108BFloat16ELNS0_8NormTypeE2ENS6_4HalfELi1ELi1ELi0EEEJPfiEEEvT_T0_DpT1_.num_named_barrier, 0
	.set _ZN2at6native12_GLOBAL__N_125multi_tensor_apply_kernelINS1_18TensorListMetadataILi1EEENS0_13LpNormFunctorIN3c108BFloat16ELNS0_8NormTypeE2ENS6_4HalfELi1ELi1ELi0EEEJPfiEEEvT_T0_DpT1_.private_seg_size, 0
	.set _ZN2at6native12_GLOBAL__N_125multi_tensor_apply_kernelINS1_18TensorListMetadataILi1EEENS0_13LpNormFunctorIN3c108BFloat16ELNS0_8NormTypeE2ENS6_4HalfELi1ELi1ELi0EEEJPfiEEEvT_T0_DpT1_.uses_vcc, 1
	.set _ZN2at6native12_GLOBAL__N_125multi_tensor_apply_kernelINS1_18TensorListMetadataILi1EEENS0_13LpNormFunctorIN3c108BFloat16ELNS0_8NormTypeE2ENS6_4HalfELi1ELi1ELi0EEEJPfiEEEvT_T0_DpT1_.uses_flat_scratch, 0
	.set _ZN2at6native12_GLOBAL__N_125multi_tensor_apply_kernelINS1_18TensorListMetadataILi1EEENS0_13LpNormFunctorIN3c108BFloat16ELNS0_8NormTypeE2ENS6_4HalfELi1ELi1ELi0EEEJPfiEEEvT_T0_DpT1_.has_dyn_sized_stack, 0
	.set _ZN2at6native12_GLOBAL__N_125multi_tensor_apply_kernelINS1_18TensorListMetadataILi1EEENS0_13LpNormFunctorIN3c108BFloat16ELNS0_8NormTypeE2ENS6_4HalfELi1ELi1ELi0EEEJPfiEEEvT_T0_DpT1_.has_recursion, 0
	.set _ZN2at6native12_GLOBAL__N_125multi_tensor_apply_kernelINS1_18TensorListMetadataILi1EEENS0_13LpNormFunctorIN3c108BFloat16ELNS0_8NormTypeE2ENS6_4HalfELi1ELi1ELi0EEEJPfiEEEvT_T0_DpT1_.has_indirect_call, 0
	.section	.AMDGPU.csdata,"",@progbits
; Kernel info:
; codeLenInByte = 1404
; TotalNumSgprs: 26
; NumVgprs: 18
; NumAgprs: 0
; TotalNumVgprs: 18
; ScratchSize: 0
; MemoryBound: 0
; FloatMode: 240
; IeeeMode: 1
; LDSByteSize: 2048 bytes/workgroup (compile time only)
; SGPRBlocks: 3
; VGPRBlocks: 2
; NumSGPRsForWavesPerEU: 26
; NumVGPRsForWavesPerEU: 18
; AccumOffset: 20
; Occupancy: 8
; WaveLimiterHint : 0
; COMPUTE_PGM_RSRC2:SCRATCH_EN: 0
; COMPUTE_PGM_RSRC2:USER_SGPR: 2
; COMPUTE_PGM_RSRC2:TRAP_HANDLER: 0
; COMPUTE_PGM_RSRC2:TGID_X_EN: 1
; COMPUTE_PGM_RSRC2:TGID_Y_EN: 0
; COMPUTE_PGM_RSRC2:TGID_Z_EN: 0
; COMPUTE_PGM_RSRC2:TIDIG_COMP_CNT: 0
; COMPUTE_PGM_RSRC3_GFX90A:ACCUM_OFFSET: 4
; COMPUTE_PGM_RSRC3_GFX90A:TG_SPLIT: 0
	.section	.text._ZN2at6native12_GLOBAL__N_125multi_tensor_apply_kernelINS1_18TensorListMetadataILi1EEENS0_13LpNormFunctorIN3c108BFloat16ELNS0_8NormTypeE3ENS6_4HalfELi1ELi1ELi0EEEJPfiEEEvT_T0_DpT1_,"axG",@progbits,_ZN2at6native12_GLOBAL__N_125multi_tensor_apply_kernelINS1_18TensorListMetadataILi1EEENS0_13LpNormFunctorIN3c108BFloat16ELNS0_8NormTypeE3ENS6_4HalfELi1ELi1ELi0EEEJPfiEEEvT_T0_DpT1_,comdat
	.globl	_ZN2at6native12_GLOBAL__N_125multi_tensor_apply_kernelINS1_18TensorListMetadataILi1EEENS0_13LpNormFunctorIN3c108BFloat16ELNS0_8NormTypeE3ENS6_4HalfELi1ELi1ELi0EEEJPfiEEEvT_T0_DpT1_ ; -- Begin function _ZN2at6native12_GLOBAL__N_125multi_tensor_apply_kernelINS1_18TensorListMetadataILi1EEENS0_13LpNormFunctorIN3c108BFloat16ELNS0_8NormTypeE3ENS6_4HalfELi1ELi1ELi0EEEJPfiEEEvT_T0_DpT1_
	.p2align	8
	.type	_ZN2at6native12_GLOBAL__N_125multi_tensor_apply_kernelINS1_18TensorListMetadataILi1EEENS0_13LpNormFunctorIN3c108BFloat16ELNS0_8NormTypeE3ENS6_4HalfELi1ELi1ELi0EEEJPfiEEEvT_T0_DpT1_,@function
_ZN2at6native12_GLOBAL__N_125multi_tensor_apply_kernelINS1_18TensorListMetadataILi1EEENS0_13LpNormFunctorIN3c108BFloat16ELNS0_8NormTypeE3ENS6_4HalfELi1ELi1ELi0EEEJPfiEEEvT_T0_DpT1_: ; @_ZN2at6native12_GLOBAL__N_125multi_tensor_apply_kernelINS1_18TensorListMetadataILi1EEENS0_13LpNormFunctorIN3c108BFloat16ELNS0_8NormTypeE3ENS6_4HalfELi1ELi1ELi0EEEJPfiEEEvT_T0_DpT1_
; %bb.0:
	v_mov_b32_e32 v1, s2
	global_load_ubyte v1, v1, s[0:1] offset:1760
	s_add_u32 s3, s0, s2
	s_mul_hi_u32 s4, s2, 3
	s_mul_i32 s2, s2, 3
	s_addc_u32 s5, s1, 0
	s_add_u32 s2, s3, s2
	s_addc_u32 s3, s5, s4
	s_load_dword s10, s[2:3], 0x820
	s_mov_b32 s15, 0
	s_waitcnt lgkmcnt(0)
	s_ashr_i32 s11, s10, 31
	s_lshl_b64 s[8:9], s[10:11], 16
	s_waitcnt vmcnt(0)
	v_readfirstlane_b32 s2, v1
	s_and_b32 s22, s2, 0xff
	s_lshl_b32 s6, s22, 3
	s_load_dwordx2 s[2:3], s[0:1], s6 offset:0x370
	s_load_dwordx2 s[4:5], s[0:1], s6 offset:0x0
	s_lshl_b64 s[6:7], s[10:11], 17
	s_waitcnt lgkmcnt(0)
	s_add_u32 s12, s4, s6
	s_addc_u32 s13, s5, s7
	s_sub_u32 s8, s2, s8
	s_subb_u32 s9, s3, s9
	s_and_b32 s14, s2, 3
	s_and_b32 s2, s12, 7
	s_mov_b32 s3, s15
	s_or_b64 s[2:3], s[14:15], s[2:3]
	s_cmp_eq_u64 s[2:3], 0
	s_cbranch_scc1 .LBB135_12
; %bb.1:
	v_cmp_lt_i64_e64 s[2:3], s[8:9], 1
	s_and_b64 vcc, exec, s[2:3]
	s_cbranch_vccnz .LBB135_13
; %bb.2:
	s_load_dword s14, s[0:1], 0xd4c
	v_mov_b64_e32 v[2:3], 0x10000
	v_cmp_lt_i64_e32 vcc, s[8:9], v[2:3]
	s_and_b64 s[2:3], vcc, exec
	v_mov_b32_e32 v7, 0
	s_cselect_b32 s3, s9, 0
	s_cselect_b32 s2, s8, 0x10000
	s_waitcnt lgkmcnt(0)
	s_and_b32 s17, s14, 0xffff
	v_mov_b32_e32 v6, v7
	v_mad_u64_u32 v[12:13], s[14:15], s17, 3, v[0:1]
	v_mov_b32_e32 v8, v7
	v_mov_b32_e32 v9, v7
	v_mov_b64_e32 v[2:3], v[6:7]
	s_mov_b32 s11, 0x10000
	s_lshl_b32 s16, s17, 2
	v_lshl_add_u32 v10, s17, 1, v0
	v_add_u32_e32 v14, s17, v0
	s_mov_b64 s[14:15], 0
	v_mov_b64_e32 v[16:17], s[2:3]
	v_mov_b64_e32 v[4:5], v[8:9]
	s_branch .LBB135_4
.LBB135_3:                              ;   in Loop: Header=BB135_4 Depth=1
	s_or_b64 exec, exec, s[2:3]
	s_add_u32 s14, s14, s16
	s_addc_u32 s15, s15, 0
	v_cmp_lt_i64_e32 vcc, s[14:15], v[16:17]
	s_cbranch_vccz .LBB135_14
.LBB135_4:                              ; =>This Inner Loop Header: Depth=1
	v_add_u32_e32 v6, s14, v0
	v_cmp_gt_i64_e32 vcc, s[8:9], v[6:7]
	v_cmp_gt_u32_e64 s[2:3], s11, v6
	s_and_b64 s[18:19], s[2:3], vcc
	s_and_saveexec_b64 s[2:3], s[18:19]
	s_cbranch_execz .LBB135_6
; %bb.5:                                ;   in Loop: Header=BB135_4 Depth=1
	v_lshl_add_u64 v[8:9], v[6:7], 1, s[12:13]
	global_load_ushort v1, v[8:9], off
	s_waitcnt vmcnt(0)
	v_lshlrev_b32_e32 v1, 16, v1
	v_cmp_u_f32_e32 vcc, v1, v1
	v_cmp_lt_f32_e64 s[18:19], v2, |v1|
	s_or_b64 s[18:19], vcc, s[18:19]
	s_nop 0
	v_cndmask_b32_e64 v2, v2, |v1|, s[18:19]
.LBB135_6:                              ;   in Loop: Header=BB135_4 Depth=1
	s_or_b64 exec, exec, s[2:3]
	v_add_u32_e32 v6, s14, v14
	v_cmp_gt_i64_e32 vcc, s[8:9], v[6:7]
	v_cmp_gt_u32_e64 s[2:3], s11, v6
	s_and_b64 s[18:19], s[2:3], vcc
	s_and_saveexec_b64 s[2:3], s[18:19]
	s_cbranch_execz .LBB135_8
; %bb.7:                                ;   in Loop: Header=BB135_4 Depth=1
	v_lshl_add_u64 v[8:9], v[6:7], 1, s[12:13]
	global_load_ushort v1, v[8:9], off
	s_waitcnt vmcnt(0)
	v_lshlrev_b32_e32 v1, 16, v1
	v_cmp_u_f32_e32 vcc, v1, v1
	v_cmp_lt_f32_e64 s[18:19], v3, |v1|
	s_or_b64 s[18:19], vcc, s[18:19]
	s_nop 0
	v_cndmask_b32_e64 v3, v3, |v1|, s[18:19]
.LBB135_8:                              ;   in Loop: Header=BB135_4 Depth=1
	s_or_b64 exec, exec, s[2:3]
	v_add_u32_e32 v6, s14, v10
	v_cmp_gt_i64_e32 vcc, s[8:9], v[6:7]
	v_cmp_gt_u32_e64 s[2:3], s11, v6
	s_and_b64 s[18:19], s[2:3], vcc
	s_and_saveexec_b64 s[2:3], s[18:19]
	s_cbranch_execz .LBB135_10
; %bb.9:                                ;   in Loop: Header=BB135_4 Depth=1
	v_lshl_add_u64 v[8:9], v[6:7], 1, s[12:13]
	global_load_ushort v1, v[8:9], off
	s_waitcnt vmcnt(0)
	v_lshlrev_b32_e32 v1, 16, v1
	v_cmp_u_f32_e32 vcc, v1, v1
	v_cmp_lt_f32_e64 s[18:19], v4, |v1|
	s_or_b64 s[18:19], vcc, s[18:19]
	s_nop 0
	v_cndmask_b32_e64 v4, v4, |v1|, s[18:19]
.LBB135_10:                             ;   in Loop: Header=BB135_4 Depth=1
	s_or_b64 exec, exec, s[2:3]
	v_add_u32_e32 v6, s14, v12
	v_cmp_gt_i64_e32 vcc, s[8:9], v[6:7]
	v_cmp_gt_u32_e64 s[2:3], s11, v6
	s_and_b64 s[18:19], s[2:3], vcc
	s_and_saveexec_b64 s[2:3], s[18:19]
	s_cbranch_execz .LBB135_3
; %bb.11:                               ;   in Loop: Header=BB135_4 Depth=1
	v_lshl_add_u64 v[8:9], v[6:7], 1, s[12:13]
	global_load_ushort v1, v[8:9], off
	s_waitcnt vmcnt(0)
	v_lshlrev_b32_e32 v1, 16, v1
	v_cmp_u_f32_e32 vcc, v1, v1
	v_cmp_lt_f32_e64 s[18:19], v5, |v1|
	s_or_b64 s[18:19], vcc, s[18:19]
	s_nop 0
	v_cndmask_b32_e64 v5, v5, |v1|, s[18:19]
	s_branch .LBB135_3
.LBB135_12:
                                        ; implicit-def: $vgpr2_vgpr3_vgpr4_vgpr5
	s_branch .LBB135_15
.LBB135_13:
	v_mov_b32_e32 v2, 0
	v_mov_b32_e32 v3, v2
	;; [unrolled: 1-line block ×4, first 2 shown]
.LBB135_14:
	s_cbranch_execnz .LBB135_20
.LBB135_15:
	v_mov_b64_e32 v[4:5], 0x10000
	v_cmp_lt_i64_e32 vcc, s[8:9], v[4:5]
	s_and_b64 s[2:3], vcc, exec
	v_mov_b32_e32 v3, 0
	s_cselect_b32 s13, s9, 0
	s_cselect_b32 s12, s8, 0x10000
	v_lshlrev_b32_e32 v2, 2, v0
	v_cmp_gt_i64_e32 vcc, s[12:13], v[2:3]
	s_mov_b32 s17, 0
	v_mov_b32_e32 v2, v3
	v_mov_b32_e32 v4, v3
	;; [unrolled: 1-line block ×3, first 2 shown]
	s_and_saveexec_b64 s[14:15], vcc
	s_cbranch_execz .LBB135_19
; %bb.16:
	s_load_dword s2, s[0:1], 0xd4c
	v_mov_b32_e32 v1, v3
	v_lshlrev_b32_e32 v2, 3, v0
	s_mov_b32 s19, s17
	s_mov_b64 s[20:21], 0
	s_waitcnt lgkmcnt(0)
	s_and_b32 s16, s2, 0xffff
	s_add_u32 s2, s4, s6
	s_addc_u32 s3, s5, s7
	s_lshl_b32 s18, s16, 3
	v_lshl_add_u64 v[8:9], s[2:3], 0, v[2:3]
	v_mov_b64_e32 v[10:11], v[0:1]
	v_mov_b32_e32 v5, 0
	v_mov_b32_e32 v6, 0
	;; [unrolled: 1-line block ×3, first 2 shown]
.LBB135_17:                             ; =>This Inner Loop Header: Depth=1
	global_load_dwordx2 v[12:13], v[8:9], off
	v_lshl_add_u64 v[10:11], v[10:11], 0, s[16:17]
	v_lshlrev_b64 v[14:15], 2, v[10:11]
	v_cmp_le_i64_e32 vcc, s[12:13], v[14:15]
	v_lshl_add_u64 v[8:9], v[8:9], 0, s[18:19]
	s_waitcnt vmcnt(0)
	v_and_b32_e32 v1, 0xffff0000, v12
	v_lshlrev_b32_e32 v2, 16, v12
	v_alignbit_b32 v4, v13, v12, 16
	v_and_b32_e32 v12, 0xffff0000, v13
	v_cmp_u_f32_e64 s[2:3], v12, v12
	v_cmp_lt_f32_e64 s[24:25], v7, |v12|
	v_cmp_u_f32_e64 s[4:5], v1, v1
	v_cmp_lt_f32_e64 s[26:27], v5, |v1|
	s_or_b64 s[2:3], s[2:3], s[24:25]
	v_and_b32_e32 v4, 0xffff0000, v4
	v_cmp_u_f32_e64 s[6:7], v2, v2
	v_cmp_lt_f32_e64 s[28:29], v3, |v2|
	v_cndmask_b32_e64 v7, v7, |v12|, s[2:3]
	s_or_b64 s[2:3], s[4:5], s[26:27]
	v_cmp_u_f32_e64 s[8:9], v4, v4
	v_cmp_lt_f32_e64 s[30:31], v6, |v4|
	v_cndmask_b32_e64 v5, v5, |v1|, s[2:3]
	s_or_b64 s[2:3], s[6:7], s[28:29]
	v_cndmask_b32_e64 v3, v3, |v2|, s[2:3]
	s_or_b64 s[2:3], s[8:9], s[30:31]
	s_or_b64 s[20:21], vcc, s[20:21]
	v_cndmask_b32_e64 v6, v6, |v4|, s[2:3]
	s_andn2_b64 exec, exec, s[20:21]
	s_cbranch_execnz .LBB135_17
; %bb.18:
	s_or_b64 exec, exec, s[20:21]
	v_mov_b32_e32 v4, v3
	v_mov_b64_e32 v[2:3], v[4:5]
	v_mov_b64_e32 v[4:5], v[6:7]
.LBB135_19:
	s_or_b64 exec, exec, s[14:15]
.LBB135_20:
	v_cmp_nge_f32_e32 vcc, 0, v2
	v_and_b32_e32 v8, 63, v0
	s_nop 0
	v_cndmask_b32_e32 v1, 0, v2, vcc
	v_cmp_u_f32_e32 vcc, v3, v3
	v_cmp_lt_f32_e64 s[2:3], v1, v3
	s_or_b64 vcc, vcc, s[2:3]
	v_cndmask_b32_e32 v1, v1, v3, vcc
	v_cmp_u_f32_e32 vcc, v4, v4
	v_cmp_lt_f32_e64 s[2:3], v1, v4
	s_or_b64 vcc, vcc, s[2:3]
	;; [unrolled: 4-line block ×3, first 2 shown]
	v_cndmask_b32_e32 v2, v1, v5, vcc
	v_mbcnt_lo_u32_b32 v1, -1, 0
	v_mbcnt_hi_u32_b32 v6, -1, v1
	v_mov_b32_e32 v1, 0x80
	v_lshl_or_b32 v1, v6, 2, v1
	ds_bpermute_b32 v3, v1, v2
	v_and_b32_e32 v9, 63, v6
	s_barrier
	s_waitcnt lgkmcnt(0)
	v_cmp_u_f32_e32 vcc, v3, v3
	v_cmp_lt_f32_e64 s[2:3], v2, v3
	s_or_b64 vcc, vcc, s[2:3]
	v_cndmask_b32_e32 v3, v2, v3, vcc
	v_cmp_gt_u32_e32 vcc, 48, v9
	s_nop 1
	v_cndmask_b32_e64 v2, 0, 16, vcc
	v_add_lshl_u32 v2, v2, v6, 2
	ds_bpermute_b32 v4, v2, v3
	s_waitcnt lgkmcnt(0)
	v_cmp_u_f32_e32 vcc, v4, v4
	v_cmp_lt_f32_e64 s[2:3], v3, v4
	s_or_b64 vcc, vcc, s[2:3]
	v_cndmask_b32_e32 v4, v3, v4, vcc
	v_cmp_gt_u32_e32 vcc, 56, v9
	s_nop 1
	v_cndmask_b32_e64 v3, 0, 8, vcc
	v_add_lshl_u32 v3, v3, v6, 2
	ds_bpermute_b32 v5, v3, v4
	;; [unrolled: 10-line block ×4, first 2 shown]
	s_waitcnt lgkmcnt(0)
	v_cmp_u_f32_e32 vcc, v10, v10
	v_cmp_lt_f32_e64 s[2:3], v7, v10
	s_or_b64 vcc, vcc, s[2:3]
	v_cndmask_b32_e32 v7, v7, v10, vcc
	v_cmp_ne_u32_e32 vcc, 63, v9
	s_nop 1
	v_addc_co_u32_e32 v6, vcc, 0, v6, vcc
	v_lshlrev_b32_e32 v6, 2, v6
	ds_bpermute_b32 v9, v6, v7
	v_cmp_eq_u32_e32 vcc, 0, v8
	s_and_saveexec_b64 s[4:5], vcc
	s_cbranch_execz .LBB135_22
; %bb.21:
	s_waitcnt lgkmcnt(0)
	v_cmp_u_f32_e32 vcc, v9, v9
	v_cmp_lt_f32_e64 s[2:3], v7, v9
	s_or_b64 vcc, vcc, s[2:3]
	v_lshrrev_b32_e32 v10, 4, v0
	v_cndmask_b32_e32 v7, v7, v9, vcc
	ds_write_b32 v10, v7
.LBB135_22:
	s_or_b64 exec, exec, s[4:5]
	s_waitcnt lgkmcnt(0)
	s_barrier
	s_load_dword s2, s[0:1], 0xd4c
	v_mov_b32_e32 v7, 0xff7fffff
	s_waitcnt lgkmcnt(0)
	s_bfe_u32 s2, s2, 0xa0006
	v_cmp_gt_u32_e32 vcc, s2, v0
	s_and_saveexec_b64 s[2:3], vcc
	s_cbranch_execnz .LBB135_26
; %bb.23:
	s_or_b64 exec, exec, s[2:3]
	v_cmp_gt_u32_e32 vcc, 64, v0
	s_and_saveexec_b64 s[4:5], vcc
	s_cbranch_execnz .LBB135_27
.LBB135_24:
	s_or_b64 exec, exec, s[4:5]
	v_cmp_eq_u32_e32 vcc, 0, v0
	s_and_saveexec_b64 s[2:3], vcc
	s_cbranch_execnz .LBB135_28
.LBB135_25:
	s_endpgm
.LBB135_26:
	v_lshlrev_b32_e32 v7, 2, v8
	ds_read_b32 v7, v7
	s_or_b64 exec, exec, s[2:3]
	v_cmp_gt_u32_e32 vcc, 64, v0
	s_and_saveexec_b64 s[4:5], vcc
	s_cbranch_execz .LBB135_24
.LBB135_27:
	s_waitcnt lgkmcnt(0)
	ds_bpermute_b32 v1, v1, v7
	s_waitcnt lgkmcnt(0)
	v_cmp_u_f32_e32 vcc, v1, v1
	v_cmp_lt_f32_e64 s[2:3], v7, v1
	s_or_b64 vcc, vcc, s[2:3]
	v_cndmask_b32_e32 v1, v7, v1, vcc
	ds_bpermute_b32 v2, v2, v1
	s_waitcnt lgkmcnt(0)
	v_cmp_u_f32_e32 vcc, v2, v2
	v_cmp_lt_f32_e64 s[2:3], v1, v2
	s_or_b64 vcc, vcc, s[2:3]
	v_cndmask_b32_e32 v1, v1, v2, vcc
	;; [unrolled: 6-line block ×6, first 2 shown]
	s_or_b64 exec, exec, s[4:5]
	v_cmp_eq_u32_e32 vcc, 0, v0
	s_and_saveexec_b64 s[2:3], vcc
	s_cbranch_execz .LBB135_25
.LBB135_28:
	s_load_dword s4, s[0:1], 0xd20
	s_load_dword s5, s[0:1], 0xd38
	s_load_dwordx2 s[2:3], s[0:1], 0xd30
	v_mov_b32_e32 v0, 0
	s_waitcnt lgkmcnt(0)
	s_add_i32 s0, s4, s22
	s_mul_i32 s0, s0, s5
	s_add_i32 s0, s0, s10
	s_ashr_i32 s1, s0, 31
	s_lshl_b64 s[0:1], s[0:1], 2
	s_add_u32 s0, s2, s0
	s_addc_u32 s1, s3, s1
	global_store_dword v0, v7, s[0:1]
	s_endpgm
	.section	.rodata,"a",@progbits
	.p2align	6, 0x0
	.amdhsa_kernel _ZN2at6native12_GLOBAL__N_125multi_tensor_apply_kernelINS1_18TensorListMetadataILi1EEENS0_13LpNormFunctorIN3c108BFloat16ELNS0_8NormTypeE3ENS6_4HalfELi1ELi1ELi0EEEJPfiEEEvT_T0_DpT1_
		.amdhsa_group_segment_fixed_size 2048
		.amdhsa_private_segment_fixed_size 0
		.amdhsa_kernarg_size 3648
		.amdhsa_user_sgpr_count 2
		.amdhsa_user_sgpr_dispatch_ptr 0
		.amdhsa_user_sgpr_queue_ptr 0
		.amdhsa_user_sgpr_kernarg_segment_ptr 1
		.amdhsa_user_sgpr_dispatch_id 0
		.amdhsa_user_sgpr_kernarg_preload_length 0
		.amdhsa_user_sgpr_kernarg_preload_offset 0
		.amdhsa_user_sgpr_private_segment_size 0
		.amdhsa_uses_dynamic_stack 0
		.amdhsa_enable_private_segment 0
		.amdhsa_system_sgpr_workgroup_id_x 1
		.amdhsa_system_sgpr_workgroup_id_y 0
		.amdhsa_system_sgpr_workgroup_id_z 0
		.amdhsa_system_sgpr_workgroup_info 0
		.amdhsa_system_vgpr_workitem_id 0
		.amdhsa_next_free_vgpr 18
		.amdhsa_next_free_sgpr 32
		.amdhsa_accum_offset 20
		.amdhsa_reserve_vcc 1
		.amdhsa_float_round_mode_32 0
		.amdhsa_float_round_mode_16_64 0
		.amdhsa_float_denorm_mode_32 3
		.amdhsa_float_denorm_mode_16_64 3
		.amdhsa_dx10_clamp 1
		.amdhsa_ieee_mode 1
		.amdhsa_fp16_overflow 0
		.amdhsa_tg_split 0
		.amdhsa_exception_fp_ieee_invalid_op 0
		.amdhsa_exception_fp_denorm_src 0
		.amdhsa_exception_fp_ieee_div_zero 0
		.amdhsa_exception_fp_ieee_overflow 0
		.amdhsa_exception_fp_ieee_underflow 0
		.amdhsa_exception_fp_ieee_inexact 0
		.amdhsa_exception_int_div_zero 0
	.end_amdhsa_kernel
	.section	.text._ZN2at6native12_GLOBAL__N_125multi_tensor_apply_kernelINS1_18TensorListMetadataILi1EEENS0_13LpNormFunctorIN3c108BFloat16ELNS0_8NormTypeE3ENS6_4HalfELi1ELi1ELi0EEEJPfiEEEvT_T0_DpT1_,"axG",@progbits,_ZN2at6native12_GLOBAL__N_125multi_tensor_apply_kernelINS1_18TensorListMetadataILi1EEENS0_13LpNormFunctorIN3c108BFloat16ELNS0_8NormTypeE3ENS6_4HalfELi1ELi1ELi0EEEJPfiEEEvT_T0_DpT1_,comdat
.Lfunc_end135:
	.size	_ZN2at6native12_GLOBAL__N_125multi_tensor_apply_kernelINS1_18TensorListMetadataILi1EEENS0_13LpNormFunctorIN3c108BFloat16ELNS0_8NormTypeE3ENS6_4HalfELi1ELi1ELi0EEEJPfiEEEvT_T0_DpT1_, .Lfunc_end135-_ZN2at6native12_GLOBAL__N_125multi_tensor_apply_kernelINS1_18TensorListMetadataILi1EEENS0_13LpNormFunctorIN3c108BFloat16ELNS0_8NormTypeE3ENS6_4HalfELi1ELi1ELi0EEEJPfiEEEvT_T0_DpT1_
                                        ; -- End function
	.set _ZN2at6native12_GLOBAL__N_125multi_tensor_apply_kernelINS1_18TensorListMetadataILi1EEENS0_13LpNormFunctorIN3c108BFloat16ELNS0_8NormTypeE3ENS6_4HalfELi1ELi1ELi0EEEJPfiEEEvT_T0_DpT1_.num_vgpr, 18
	.set _ZN2at6native12_GLOBAL__N_125multi_tensor_apply_kernelINS1_18TensorListMetadataILi1EEENS0_13LpNormFunctorIN3c108BFloat16ELNS0_8NormTypeE3ENS6_4HalfELi1ELi1ELi0EEEJPfiEEEvT_T0_DpT1_.num_agpr, 0
	.set _ZN2at6native12_GLOBAL__N_125multi_tensor_apply_kernelINS1_18TensorListMetadataILi1EEENS0_13LpNormFunctorIN3c108BFloat16ELNS0_8NormTypeE3ENS6_4HalfELi1ELi1ELi0EEEJPfiEEEvT_T0_DpT1_.numbered_sgpr, 32
	.set _ZN2at6native12_GLOBAL__N_125multi_tensor_apply_kernelINS1_18TensorListMetadataILi1EEENS0_13LpNormFunctorIN3c108BFloat16ELNS0_8NormTypeE3ENS6_4HalfELi1ELi1ELi0EEEJPfiEEEvT_T0_DpT1_.num_named_barrier, 0
	.set _ZN2at6native12_GLOBAL__N_125multi_tensor_apply_kernelINS1_18TensorListMetadataILi1EEENS0_13LpNormFunctorIN3c108BFloat16ELNS0_8NormTypeE3ENS6_4HalfELi1ELi1ELi0EEEJPfiEEEvT_T0_DpT1_.private_seg_size, 0
	.set _ZN2at6native12_GLOBAL__N_125multi_tensor_apply_kernelINS1_18TensorListMetadataILi1EEENS0_13LpNormFunctorIN3c108BFloat16ELNS0_8NormTypeE3ENS6_4HalfELi1ELi1ELi0EEEJPfiEEEvT_T0_DpT1_.uses_vcc, 1
	.set _ZN2at6native12_GLOBAL__N_125multi_tensor_apply_kernelINS1_18TensorListMetadataILi1EEENS0_13LpNormFunctorIN3c108BFloat16ELNS0_8NormTypeE3ENS6_4HalfELi1ELi1ELi0EEEJPfiEEEvT_T0_DpT1_.uses_flat_scratch, 0
	.set _ZN2at6native12_GLOBAL__N_125multi_tensor_apply_kernelINS1_18TensorListMetadataILi1EEENS0_13LpNormFunctorIN3c108BFloat16ELNS0_8NormTypeE3ENS6_4HalfELi1ELi1ELi0EEEJPfiEEEvT_T0_DpT1_.has_dyn_sized_stack, 0
	.set _ZN2at6native12_GLOBAL__N_125multi_tensor_apply_kernelINS1_18TensorListMetadataILi1EEENS0_13LpNormFunctorIN3c108BFloat16ELNS0_8NormTypeE3ENS6_4HalfELi1ELi1ELi0EEEJPfiEEEvT_T0_DpT1_.has_recursion, 0
	.set _ZN2at6native12_GLOBAL__N_125multi_tensor_apply_kernelINS1_18TensorListMetadataILi1EEENS0_13LpNormFunctorIN3c108BFloat16ELNS0_8NormTypeE3ENS6_4HalfELi1ELi1ELi0EEEJPfiEEEvT_T0_DpT1_.has_indirect_call, 0
	.section	.AMDGPU.csdata,"",@progbits
; Kernel info:
; codeLenInByte = 1856
; TotalNumSgprs: 38
; NumVgprs: 18
; NumAgprs: 0
; TotalNumVgprs: 18
; ScratchSize: 0
; MemoryBound: 0
; FloatMode: 240
; IeeeMode: 1
; LDSByteSize: 2048 bytes/workgroup (compile time only)
; SGPRBlocks: 4
; VGPRBlocks: 2
; NumSGPRsForWavesPerEU: 38
; NumVGPRsForWavesPerEU: 18
; AccumOffset: 20
; Occupancy: 8
; WaveLimiterHint : 0
; COMPUTE_PGM_RSRC2:SCRATCH_EN: 0
; COMPUTE_PGM_RSRC2:USER_SGPR: 2
; COMPUTE_PGM_RSRC2:TRAP_HANDLER: 0
; COMPUTE_PGM_RSRC2:TGID_X_EN: 1
; COMPUTE_PGM_RSRC2:TGID_Y_EN: 0
; COMPUTE_PGM_RSRC2:TGID_Z_EN: 0
; COMPUTE_PGM_RSRC2:TIDIG_COMP_CNT: 0
; COMPUTE_PGM_RSRC3_GFX90A:ACCUM_OFFSET: 4
; COMPUTE_PGM_RSRC3_GFX90A:TG_SPLIT: 0
	.section	.text._ZN2at6native14lpnorm_cleanupIN3c108BFloat16ELNS0_8NormTypeE0ENS2_4HalfELb1EfEEvPKT3_NS0_19TensorListAddressesEi,"axG",@progbits,_ZN2at6native14lpnorm_cleanupIN3c108BFloat16ELNS0_8NormTypeE0ENS2_4HalfELb1EfEEvPKT3_NS0_19TensorListAddressesEi,comdat
	.protected	_ZN2at6native14lpnorm_cleanupIN3c108BFloat16ELNS0_8NormTypeE0ENS2_4HalfELb1EfEEvPKT3_NS0_19TensorListAddressesEi ; -- Begin function _ZN2at6native14lpnorm_cleanupIN3c108BFloat16ELNS0_8NormTypeE0ENS2_4HalfELb1EfEEvPKT3_NS0_19TensorListAddressesEi
	.globl	_ZN2at6native14lpnorm_cleanupIN3c108BFloat16ELNS0_8NormTypeE0ENS2_4HalfELb1EfEEvPKT3_NS0_19TensorListAddressesEi
	.p2align	8
	.type	_ZN2at6native14lpnorm_cleanupIN3c108BFloat16ELNS0_8NormTypeE0ENS2_4HalfELb1EfEEvPKT3_NS0_19TensorListAddressesEi,@function
_ZN2at6native14lpnorm_cleanupIN3c108BFloat16ELNS0_8NormTypeE0ENS2_4HalfELb1EfEEvPKT3_NS0_19TensorListAddressesEi: ; @_ZN2at6native14lpnorm_cleanupIN3c108BFloat16ELNS0_8NormTypeE0ENS2_4HalfELb1EfEEvPKT3_NS0_19TensorListAddressesEi
; %bb.0:
	s_load_dword s6, s[0:1], 0xc88
	v_mov_b32_e32 v1, 0
	s_waitcnt lgkmcnt(0)
	v_cmp_gt_u32_e32 vcc, s6, v0
	s_and_saveexec_b64 s[4:5], vcc
	s_cbranch_execz .LBB136_4
; %bb.1:
	s_load_dwordx2 s[12:13], s[0:1], 0x0
	s_load_dword s3, s[0:1], 0xc9c
	s_mul_i32 s8, s6, s2
	s_mov_b32 s9, 0
	s_ashr_i32 s7, s6, 31
	s_lshl_b64 s[14:15], s[8:9], 2
	s_waitcnt lgkmcnt(0)
	s_and_b32 s10, s3, 0xffff
	v_mov_b32_e32 v1, 0
	s_add_u32 s12, s12, s14
	v_lshlrev_b32_e32 v2, 2, v0
	v_mov_b32_e32 v3, v1
	s_addc_u32 s13, s13, s15
	s_mov_b32 s11, s9
	v_lshl_add_u64 v[2:3], s[12:13], 0, v[2:3]
	s_lshl_b32 s8, s10, 2
	s_mov_b64 s[12:13], 0
	v_mov_b64_e32 v[4:5], v[0:1]
.LBB136_2:                              ; =>This Inner Loop Header: Depth=1
	global_load_dword v6, v[2:3], off
	v_lshl_add_u64 v[4:5], v[4:5], 0, s[10:11]
	v_cmp_le_u64_e32 vcc, s[6:7], v[4:5]
	v_lshl_add_u64 v[2:3], v[2:3], 0, s[8:9]
	s_or_b64 s[12:13], vcc, s[12:13]
	s_waitcnt vmcnt(0)
	v_add_f32_e32 v1, v1, v6
	s_andn2_b64 exec, exec, s[12:13]
	s_cbranch_execnz .LBB136_2
; %bb.3:
	s_or_b64 exec, exec, s[12:13]
.LBB136_4:
	s_or_b64 exec, exec, s[4:5]
	v_mbcnt_lo_u32_b32 v2, -1, 0
	v_mbcnt_hi_u32_b32 v6, -1, v2
	v_mov_b32_e32 v2, 0x80
	v_lshl_or_b32 v2, v6, 2, v2
	ds_bpermute_b32 v3, v2, v1
	v_and_b32_e32 v7, 63, v6
	v_cmp_gt_u32_e32 vcc, 48, v7
	s_waitcnt lgkmcnt(0)
	s_barrier
	v_cndmask_b32_e64 v4, 0, 16, vcc
	v_add_f32_e32 v5, v1, v3
	v_add_lshl_u32 v1, v4, v6, 2
	ds_bpermute_b32 v4, v1, v5
	v_cmp_gt_u32_e32 vcc, 56, v7
	s_waitcnt lgkmcnt(0)
	v_add_f32_e32 v5, v5, v4
	v_cndmask_b32_e64 v3, 0, 8, vcc
	v_add_lshl_u32 v3, v3, v6, 2
	ds_bpermute_b32 v8, v3, v5
	v_cmp_gt_u32_e32 vcc, 60, v7
	s_waitcnt lgkmcnt(0)
	v_add_f32_e32 v8, v5, v8
	v_cndmask_b32_e64 v4, 0, 4, vcc
	;; [unrolled: 6-line block ×3, first 2 shown]
	v_add_lshl_u32 v5, v5, v6, 2
	ds_bpermute_b32 v10, v5, v9
	v_cmp_ne_u32_e32 vcc, 63, v7
	v_and_b32_e32 v8, 63, v0
	s_waitcnt lgkmcnt(0)
	v_add_f32_e32 v7, v9, v10
	v_addc_co_u32_e32 v6, vcc, 0, v6, vcc
	v_lshlrev_b32_e32 v6, 2, v6
	ds_bpermute_b32 v9, v6, v7
	v_cmp_eq_u32_e32 vcc, 0, v8
	s_and_saveexec_b64 s[4:5], vcc
	s_cbranch_execz .LBB136_6
; %bb.5:
	s_waitcnt lgkmcnt(0)
	v_add_f32_e32 v7, v7, v9
	v_lshrrev_b32_e32 v9, 4, v0
	ds_write_b32 v9, v7
.LBB136_6:
	s_or_b64 exec, exec, s[4:5]
	s_waitcnt lgkmcnt(0)
	s_barrier
	s_load_dword s3, s[0:1], 0xc9c
	v_mov_b32_e32 v7, 0
	s_waitcnt lgkmcnt(0)
	s_bfe_u32 s3, s3, 0xa0006
	v_cmp_gt_u32_e32 vcc, s3, v0
	s_and_saveexec_b64 s[4:5], vcc
; %bb.7:
	v_lshlrev_b32_e32 v7, 2, v8
	ds_read_b32 v7, v7
; %bb.8:
	s_or_b64 exec, exec, s[4:5]
	v_cmp_gt_u32_e32 vcc, 64, v0
	s_and_saveexec_b64 s[4:5], vcc
	s_cbranch_execz .LBB136_10
; %bb.9:
	s_waitcnt lgkmcnt(0)
	ds_bpermute_b32 v2, v2, v7
	s_waitcnt lgkmcnt(0)
	v_add_f32_e32 v2, v7, v2
	ds_bpermute_b32 v1, v1, v2
	s_waitcnt lgkmcnt(0)
	v_add_f32_e32 v1, v2, v1
	;; [unrolled: 3-line block ×6, first 2 shown]
.LBB136_10:
	s_or_b64 exec, exec, s[4:5]
	s_mov_b32 s3, 0
	v_cmp_eq_u32_e32 vcc, 0, v0
	s_and_saveexec_b64 s[4:5], vcc
	s_cbranch_execz .LBB136_12
; %bb.11:
	s_lshl_b64 s[2:3], s[2:3], 3
	s_add_u32 s0, s0, s2
	s_addc_u32 s1, s1, s3
	s_load_dwordx2 s[0:1], s[0:1], 0x8
	s_waitcnt lgkmcnt(0)
	v_cvt_f16_f32_e32 v0, v7
	v_mov_b32_e32 v1, 0
	global_store_short v1, v0, s[0:1]
.LBB136_12:
	s_endpgm
	.section	.rodata,"a",@progbits
	.p2align	6, 0x0
	.amdhsa_kernel _ZN2at6native14lpnorm_cleanupIN3c108BFloat16ELNS0_8NormTypeE0ENS2_4HalfELb1EfEEvPKT3_NS0_19TensorListAddressesEi
		.amdhsa_group_segment_fixed_size 2048
		.amdhsa_private_segment_fixed_size 0
		.amdhsa_kernarg_size 3472
		.amdhsa_user_sgpr_count 2
		.amdhsa_user_sgpr_dispatch_ptr 0
		.amdhsa_user_sgpr_queue_ptr 0
		.amdhsa_user_sgpr_kernarg_segment_ptr 1
		.amdhsa_user_sgpr_dispatch_id 0
		.amdhsa_user_sgpr_kernarg_preload_length 0
		.amdhsa_user_sgpr_kernarg_preload_offset 0
		.amdhsa_user_sgpr_private_segment_size 0
		.amdhsa_uses_dynamic_stack 0
		.amdhsa_enable_private_segment 0
		.amdhsa_system_sgpr_workgroup_id_x 1
		.amdhsa_system_sgpr_workgroup_id_y 0
		.amdhsa_system_sgpr_workgroup_id_z 0
		.amdhsa_system_sgpr_workgroup_info 0
		.amdhsa_system_vgpr_workitem_id 0
		.amdhsa_next_free_vgpr 11
		.amdhsa_next_free_sgpr 16
		.amdhsa_accum_offset 12
		.amdhsa_reserve_vcc 1
		.amdhsa_float_round_mode_32 0
		.amdhsa_float_round_mode_16_64 0
		.amdhsa_float_denorm_mode_32 3
		.amdhsa_float_denorm_mode_16_64 3
		.amdhsa_dx10_clamp 1
		.amdhsa_ieee_mode 1
		.amdhsa_fp16_overflow 0
		.amdhsa_tg_split 0
		.amdhsa_exception_fp_ieee_invalid_op 0
		.amdhsa_exception_fp_denorm_src 0
		.amdhsa_exception_fp_ieee_div_zero 0
		.amdhsa_exception_fp_ieee_overflow 0
		.amdhsa_exception_fp_ieee_underflow 0
		.amdhsa_exception_fp_ieee_inexact 0
		.amdhsa_exception_int_div_zero 0
	.end_amdhsa_kernel
	.section	.text._ZN2at6native14lpnorm_cleanupIN3c108BFloat16ELNS0_8NormTypeE0ENS2_4HalfELb1EfEEvPKT3_NS0_19TensorListAddressesEi,"axG",@progbits,_ZN2at6native14lpnorm_cleanupIN3c108BFloat16ELNS0_8NormTypeE0ENS2_4HalfELb1EfEEvPKT3_NS0_19TensorListAddressesEi,comdat
.Lfunc_end136:
	.size	_ZN2at6native14lpnorm_cleanupIN3c108BFloat16ELNS0_8NormTypeE0ENS2_4HalfELb1EfEEvPKT3_NS0_19TensorListAddressesEi, .Lfunc_end136-_ZN2at6native14lpnorm_cleanupIN3c108BFloat16ELNS0_8NormTypeE0ENS2_4HalfELb1EfEEvPKT3_NS0_19TensorListAddressesEi
                                        ; -- End function
	.set _ZN2at6native14lpnorm_cleanupIN3c108BFloat16ELNS0_8NormTypeE0ENS2_4HalfELb1EfEEvPKT3_NS0_19TensorListAddressesEi.num_vgpr, 11
	.set _ZN2at6native14lpnorm_cleanupIN3c108BFloat16ELNS0_8NormTypeE0ENS2_4HalfELb1EfEEvPKT3_NS0_19TensorListAddressesEi.num_agpr, 0
	.set _ZN2at6native14lpnorm_cleanupIN3c108BFloat16ELNS0_8NormTypeE0ENS2_4HalfELb1EfEEvPKT3_NS0_19TensorListAddressesEi.numbered_sgpr, 16
	.set _ZN2at6native14lpnorm_cleanupIN3c108BFloat16ELNS0_8NormTypeE0ENS2_4HalfELb1EfEEvPKT3_NS0_19TensorListAddressesEi.num_named_barrier, 0
	.set _ZN2at6native14lpnorm_cleanupIN3c108BFloat16ELNS0_8NormTypeE0ENS2_4HalfELb1EfEEvPKT3_NS0_19TensorListAddressesEi.private_seg_size, 0
	.set _ZN2at6native14lpnorm_cleanupIN3c108BFloat16ELNS0_8NormTypeE0ENS2_4HalfELb1EfEEvPKT3_NS0_19TensorListAddressesEi.uses_vcc, 1
	.set _ZN2at6native14lpnorm_cleanupIN3c108BFloat16ELNS0_8NormTypeE0ENS2_4HalfELb1EfEEvPKT3_NS0_19TensorListAddressesEi.uses_flat_scratch, 0
	.set _ZN2at6native14lpnorm_cleanupIN3c108BFloat16ELNS0_8NormTypeE0ENS2_4HalfELb1EfEEvPKT3_NS0_19TensorListAddressesEi.has_dyn_sized_stack, 0
	.set _ZN2at6native14lpnorm_cleanupIN3c108BFloat16ELNS0_8NormTypeE0ENS2_4HalfELb1EfEEvPKT3_NS0_19TensorListAddressesEi.has_recursion, 0
	.set _ZN2at6native14lpnorm_cleanupIN3c108BFloat16ELNS0_8NormTypeE0ENS2_4HalfELb1EfEEvPKT3_NS0_19TensorListAddressesEi.has_indirect_call, 0
	.section	.AMDGPU.csdata,"",@progbits
; Kernel info:
; codeLenInByte = 664
; TotalNumSgprs: 22
; NumVgprs: 11
; NumAgprs: 0
; TotalNumVgprs: 11
; ScratchSize: 0
; MemoryBound: 0
; FloatMode: 240
; IeeeMode: 1
; LDSByteSize: 2048 bytes/workgroup (compile time only)
; SGPRBlocks: 2
; VGPRBlocks: 1
; NumSGPRsForWavesPerEU: 22
; NumVGPRsForWavesPerEU: 11
; AccumOffset: 12
; Occupancy: 8
; WaveLimiterHint : 0
; COMPUTE_PGM_RSRC2:SCRATCH_EN: 0
; COMPUTE_PGM_RSRC2:USER_SGPR: 2
; COMPUTE_PGM_RSRC2:TRAP_HANDLER: 0
; COMPUTE_PGM_RSRC2:TGID_X_EN: 1
; COMPUTE_PGM_RSRC2:TGID_Y_EN: 0
; COMPUTE_PGM_RSRC2:TGID_Z_EN: 0
; COMPUTE_PGM_RSRC2:TIDIG_COMP_CNT: 0
; COMPUTE_PGM_RSRC3_GFX90A:ACCUM_OFFSET: 2
; COMPUTE_PGM_RSRC3_GFX90A:TG_SPLIT: 0
	.section	.text._ZN2at6native14lpnorm_cleanupIN3c108BFloat16ELNS0_8NormTypeE1ENS2_4HalfELb1EfEEvPKT3_NS0_19TensorListAddressesEi,"axG",@progbits,_ZN2at6native14lpnorm_cleanupIN3c108BFloat16ELNS0_8NormTypeE1ENS2_4HalfELb1EfEEvPKT3_NS0_19TensorListAddressesEi,comdat
	.protected	_ZN2at6native14lpnorm_cleanupIN3c108BFloat16ELNS0_8NormTypeE1ENS2_4HalfELb1EfEEvPKT3_NS0_19TensorListAddressesEi ; -- Begin function _ZN2at6native14lpnorm_cleanupIN3c108BFloat16ELNS0_8NormTypeE1ENS2_4HalfELb1EfEEvPKT3_NS0_19TensorListAddressesEi
	.globl	_ZN2at6native14lpnorm_cleanupIN3c108BFloat16ELNS0_8NormTypeE1ENS2_4HalfELb1EfEEvPKT3_NS0_19TensorListAddressesEi
	.p2align	8
	.type	_ZN2at6native14lpnorm_cleanupIN3c108BFloat16ELNS0_8NormTypeE1ENS2_4HalfELb1EfEEvPKT3_NS0_19TensorListAddressesEi,@function
_ZN2at6native14lpnorm_cleanupIN3c108BFloat16ELNS0_8NormTypeE1ENS2_4HalfELb1EfEEvPKT3_NS0_19TensorListAddressesEi: ; @_ZN2at6native14lpnorm_cleanupIN3c108BFloat16ELNS0_8NormTypeE1ENS2_4HalfELb1EfEEvPKT3_NS0_19TensorListAddressesEi
; %bb.0:
	s_load_dword s6, s[0:1], 0xc88
	v_mov_b32_e32 v1, 0
	s_waitcnt lgkmcnt(0)
	v_cmp_gt_u32_e32 vcc, s6, v0
	s_and_saveexec_b64 s[4:5], vcc
	s_cbranch_execz .LBB137_4
; %bb.1:
	s_load_dwordx2 s[12:13], s[0:1], 0x0
	s_load_dword s3, s[0:1], 0xc9c
	s_mul_i32 s8, s6, s2
	s_mov_b32 s9, 0
	s_ashr_i32 s7, s6, 31
	s_lshl_b64 s[14:15], s[8:9], 2
	s_waitcnt lgkmcnt(0)
	s_and_b32 s10, s3, 0xffff
	v_mov_b32_e32 v1, 0
	s_add_u32 s12, s12, s14
	v_lshlrev_b32_e32 v2, 2, v0
	v_mov_b32_e32 v3, v1
	s_addc_u32 s13, s13, s15
	s_mov_b32 s11, s9
	v_lshl_add_u64 v[2:3], s[12:13], 0, v[2:3]
	s_lshl_b32 s8, s10, 2
	s_mov_b64 s[12:13], 0
	v_mov_b64_e32 v[4:5], v[0:1]
.LBB137_2:                              ; =>This Inner Loop Header: Depth=1
	global_load_dword v6, v[2:3], off
	v_lshl_add_u64 v[4:5], v[4:5], 0, s[10:11]
	v_cmp_le_u64_e32 vcc, s[6:7], v[4:5]
	v_lshl_add_u64 v[2:3], v[2:3], 0, s[8:9]
	s_or_b64 s[12:13], vcc, s[12:13]
	s_waitcnt vmcnt(0)
	v_add_f32_e32 v1, v1, v6
	s_andn2_b64 exec, exec, s[12:13]
	s_cbranch_execnz .LBB137_2
; %bb.3:
	s_or_b64 exec, exec, s[12:13]
.LBB137_4:
	s_or_b64 exec, exec, s[4:5]
	v_mbcnt_lo_u32_b32 v2, -1, 0
	v_mbcnt_hi_u32_b32 v6, -1, v2
	v_mov_b32_e32 v2, 0x80
	v_lshl_or_b32 v2, v6, 2, v2
	ds_bpermute_b32 v3, v2, v1
	v_and_b32_e32 v7, 63, v6
	v_cmp_gt_u32_e32 vcc, 48, v7
	s_waitcnt lgkmcnt(0)
	s_barrier
	v_cndmask_b32_e64 v4, 0, 16, vcc
	v_add_f32_e32 v5, v1, v3
	v_add_lshl_u32 v1, v4, v6, 2
	ds_bpermute_b32 v4, v1, v5
	v_cmp_gt_u32_e32 vcc, 56, v7
	s_waitcnt lgkmcnt(0)
	v_add_f32_e32 v5, v5, v4
	v_cndmask_b32_e64 v3, 0, 8, vcc
	v_add_lshl_u32 v3, v3, v6, 2
	ds_bpermute_b32 v8, v3, v5
	v_cmp_gt_u32_e32 vcc, 60, v7
	s_waitcnt lgkmcnt(0)
	v_add_f32_e32 v8, v5, v8
	v_cndmask_b32_e64 v4, 0, 4, vcc
	;; [unrolled: 6-line block ×3, first 2 shown]
	v_add_lshl_u32 v5, v5, v6, 2
	ds_bpermute_b32 v10, v5, v9
	v_cmp_ne_u32_e32 vcc, 63, v7
	v_and_b32_e32 v8, 63, v0
	s_waitcnt lgkmcnt(0)
	v_add_f32_e32 v7, v9, v10
	v_addc_co_u32_e32 v6, vcc, 0, v6, vcc
	v_lshlrev_b32_e32 v6, 2, v6
	ds_bpermute_b32 v9, v6, v7
	v_cmp_eq_u32_e32 vcc, 0, v8
	s_and_saveexec_b64 s[4:5], vcc
	s_cbranch_execz .LBB137_6
; %bb.5:
	s_waitcnt lgkmcnt(0)
	v_add_f32_e32 v7, v7, v9
	v_lshrrev_b32_e32 v9, 4, v0
	ds_write_b32 v9, v7
.LBB137_6:
	s_or_b64 exec, exec, s[4:5]
	s_waitcnt lgkmcnt(0)
	s_barrier
	s_load_dword s3, s[0:1], 0xc9c
	v_mov_b32_e32 v7, 0
	s_waitcnt lgkmcnt(0)
	s_bfe_u32 s3, s3, 0xa0006
	v_cmp_gt_u32_e32 vcc, s3, v0
	s_and_saveexec_b64 s[4:5], vcc
; %bb.7:
	v_lshlrev_b32_e32 v7, 2, v8
	ds_read_b32 v7, v7
; %bb.8:
	s_or_b64 exec, exec, s[4:5]
	v_cmp_gt_u32_e32 vcc, 64, v0
	s_and_saveexec_b64 s[4:5], vcc
	s_cbranch_execz .LBB137_10
; %bb.9:
	s_waitcnt lgkmcnt(0)
	ds_bpermute_b32 v2, v2, v7
	s_waitcnt lgkmcnt(0)
	v_add_f32_e32 v2, v7, v2
	ds_bpermute_b32 v1, v1, v2
	s_waitcnt lgkmcnt(0)
	v_add_f32_e32 v1, v2, v1
	;; [unrolled: 3-line block ×6, first 2 shown]
.LBB137_10:
	s_or_b64 exec, exec, s[4:5]
	s_mov_b32 s3, 0
	v_cmp_eq_u32_e32 vcc, 0, v0
	s_and_saveexec_b64 s[4:5], vcc
	s_cbranch_execz .LBB137_12
; %bb.11:
	s_lshl_b64 s[2:3], s[2:3], 3
	s_add_u32 s0, s0, s2
	s_addc_u32 s1, s1, s3
	s_load_dwordx2 s[0:1], s[0:1], 0x8
	s_waitcnt lgkmcnt(0)
	v_cvt_f16_f32_e32 v0, v7
	v_mov_b32_e32 v1, 0
	global_store_short v1, v0, s[0:1]
.LBB137_12:
	s_endpgm
	.section	.rodata,"a",@progbits
	.p2align	6, 0x0
	.amdhsa_kernel _ZN2at6native14lpnorm_cleanupIN3c108BFloat16ELNS0_8NormTypeE1ENS2_4HalfELb1EfEEvPKT3_NS0_19TensorListAddressesEi
		.amdhsa_group_segment_fixed_size 2048
		.amdhsa_private_segment_fixed_size 0
		.amdhsa_kernarg_size 3472
		.amdhsa_user_sgpr_count 2
		.amdhsa_user_sgpr_dispatch_ptr 0
		.amdhsa_user_sgpr_queue_ptr 0
		.amdhsa_user_sgpr_kernarg_segment_ptr 1
		.amdhsa_user_sgpr_dispatch_id 0
		.amdhsa_user_sgpr_kernarg_preload_length 0
		.amdhsa_user_sgpr_kernarg_preload_offset 0
		.amdhsa_user_sgpr_private_segment_size 0
		.amdhsa_uses_dynamic_stack 0
		.amdhsa_enable_private_segment 0
		.amdhsa_system_sgpr_workgroup_id_x 1
		.amdhsa_system_sgpr_workgroup_id_y 0
		.amdhsa_system_sgpr_workgroup_id_z 0
		.amdhsa_system_sgpr_workgroup_info 0
		.amdhsa_system_vgpr_workitem_id 0
		.amdhsa_next_free_vgpr 11
		.amdhsa_next_free_sgpr 16
		.amdhsa_accum_offset 12
		.amdhsa_reserve_vcc 1
		.amdhsa_float_round_mode_32 0
		.amdhsa_float_round_mode_16_64 0
		.amdhsa_float_denorm_mode_32 3
		.amdhsa_float_denorm_mode_16_64 3
		.amdhsa_dx10_clamp 1
		.amdhsa_ieee_mode 1
		.amdhsa_fp16_overflow 0
		.amdhsa_tg_split 0
		.amdhsa_exception_fp_ieee_invalid_op 0
		.amdhsa_exception_fp_denorm_src 0
		.amdhsa_exception_fp_ieee_div_zero 0
		.amdhsa_exception_fp_ieee_overflow 0
		.amdhsa_exception_fp_ieee_underflow 0
		.amdhsa_exception_fp_ieee_inexact 0
		.amdhsa_exception_int_div_zero 0
	.end_amdhsa_kernel
	.section	.text._ZN2at6native14lpnorm_cleanupIN3c108BFloat16ELNS0_8NormTypeE1ENS2_4HalfELb1EfEEvPKT3_NS0_19TensorListAddressesEi,"axG",@progbits,_ZN2at6native14lpnorm_cleanupIN3c108BFloat16ELNS0_8NormTypeE1ENS2_4HalfELb1EfEEvPKT3_NS0_19TensorListAddressesEi,comdat
.Lfunc_end137:
	.size	_ZN2at6native14lpnorm_cleanupIN3c108BFloat16ELNS0_8NormTypeE1ENS2_4HalfELb1EfEEvPKT3_NS0_19TensorListAddressesEi, .Lfunc_end137-_ZN2at6native14lpnorm_cleanupIN3c108BFloat16ELNS0_8NormTypeE1ENS2_4HalfELb1EfEEvPKT3_NS0_19TensorListAddressesEi
                                        ; -- End function
	.set _ZN2at6native14lpnorm_cleanupIN3c108BFloat16ELNS0_8NormTypeE1ENS2_4HalfELb1EfEEvPKT3_NS0_19TensorListAddressesEi.num_vgpr, 11
	.set _ZN2at6native14lpnorm_cleanupIN3c108BFloat16ELNS0_8NormTypeE1ENS2_4HalfELb1EfEEvPKT3_NS0_19TensorListAddressesEi.num_agpr, 0
	.set _ZN2at6native14lpnorm_cleanupIN3c108BFloat16ELNS0_8NormTypeE1ENS2_4HalfELb1EfEEvPKT3_NS0_19TensorListAddressesEi.numbered_sgpr, 16
	.set _ZN2at6native14lpnorm_cleanupIN3c108BFloat16ELNS0_8NormTypeE1ENS2_4HalfELb1EfEEvPKT3_NS0_19TensorListAddressesEi.num_named_barrier, 0
	.set _ZN2at6native14lpnorm_cleanupIN3c108BFloat16ELNS0_8NormTypeE1ENS2_4HalfELb1EfEEvPKT3_NS0_19TensorListAddressesEi.private_seg_size, 0
	.set _ZN2at6native14lpnorm_cleanupIN3c108BFloat16ELNS0_8NormTypeE1ENS2_4HalfELb1EfEEvPKT3_NS0_19TensorListAddressesEi.uses_vcc, 1
	.set _ZN2at6native14lpnorm_cleanupIN3c108BFloat16ELNS0_8NormTypeE1ENS2_4HalfELb1EfEEvPKT3_NS0_19TensorListAddressesEi.uses_flat_scratch, 0
	.set _ZN2at6native14lpnorm_cleanupIN3c108BFloat16ELNS0_8NormTypeE1ENS2_4HalfELb1EfEEvPKT3_NS0_19TensorListAddressesEi.has_dyn_sized_stack, 0
	.set _ZN2at6native14lpnorm_cleanupIN3c108BFloat16ELNS0_8NormTypeE1ENS2_4HalfELb1EfEEvPKT3_NS0_19TensorListAddressesEi.has_recursion, 0
	.set _ZN2at6native14lpnorm_cleanupIN3c108BFloat16ELNS0_8NormTypeE1ENS2_4HalfELb1EfEEvPKT3_NS0_19TensorListAddressesEi.has_indirect_call, 0
	.section	.AMDGPU.csdata,"",@progbits
; Kernel info:
; codeLenInByte = 664
; TotalNumSgprs: 22
; NumVgprs: 11
; NumAgprs: 0
; TotalNumVgprs: 11
; ScratchSize: 0
; MemoryBound: 0
; FloatMode: 240
; IeeeMode: 1
; LDSByteSize: 2048 bytes/workgroup (compile time only)
; SGPRBlocks: 2
; VGPRBlocks: 1
; NumSGPRsForWavesPerEU: 22
; NumVGPRsForWavesPerEU: 11
; AccumOffset: 12
; Occupancy: 8
; WaveLimiterHint : 0
; COMPUTE_PGM_RSRC2:SCRATCH_EN: 0
; COMPUTE_PGM_RSRC2:USER_SGPR: 2
; COMPUTE_PGM_RSRC2:TRAP_HANDLER: 0
; COMPUTE_PGM_RSRC2:TGID_X_EN: 1
; COMPUTE_PGM_RSRC2:TGID_Y_EN: 0
; COMPUTE_PGM_RSRC2:TGID_Z_EN: 0
; COMPUTE_PGM_RSRC2:TIDIG_COMP_CNT: 0
; COMPUTE_PGM_RSRC3_GFX90A:ACCUM_OFFSET: 2
; COMPUTE_PGM_RSRC3_GFX90A:TG_SPLIT: 0
	.section	.text._ZN2at6native14lpnorm_cleanupIN3c108BFloat16ELNS0_8NormTypeE2ENS2_4HalfELb1EfEEvPKT3_NS0_19TensorListAddressesEi,"axG",@progbits,_ZN2at6native14lpnorm_cleanupIN3c108BFloat16ELNS0_8NormTypeE2ENS2_4HalfELb1EfEEvPKT3_NS0_19TensorListAddressesEi,comdat
	.protected	_ZN2at6native14lpnorm_cleanupIN3c108BFloat16ELNS0_8NormTypeE2ENS2_4HalfELb1EfEEvPKT3_NS0_19TensorListAddressesEi ; -- Begin function _ZN2at6native14lpnorm_cleanupIN3c108BFloat16ELNS0_8NormTypeE2ENS2_4HalfELb1EfEEvPKT3_NS0_19TensorListAddressesEi
	.globl	_ZN2at6native14lpnorm_cleanupIN3c108BFloat16ELNS0_8NormTypeE2ENS2_4HalfELb1EfEEvPKT3_NS0_19TensorListAddressesEi
	.p2align	8
	.type	_ZN2at6native14lpnorm_cleanupIN3c108BFloat16ELNS0_8NormTypeE2ENS2_4HalfELb1EfEEvPKT3_NS0_19TensorListAddressesEi,@function
_ZN2at6native14lpnorm_cleanupIN3c108BFloat16ELNS0_8NormTypeE2ENS2_4HalfELb1EfEEvPKT3_NS0_19TensorListAddressesEi: ; @_ZN2at6native14lpnorm_cleanupIN3c108BFloat16ELNS0_8NormTypeE2ENS2_4HalfELb1EfEEvPKT3_NS0_19TensorListAddressesEi
; %bb.0:
	s_load_dword s6, s[0:1], 0xc88
	v_mov_b32_e32 v1, 0
	s_waitcnt lgkmcnt(0)
	v_cmp_gt_u32_e32 vcc, s6, v0
	s_and_saveexec_b64 s[4:5], vcc
	s_cbranch_execz .LBB138_4
; %bb.1:
	s_load_dwordx2 s[12:13], s[0:1], 0x0
	s_load_dword s3, s[0:1], 0xc9c
	s_mul_i32 s8, s6, s2
	s_mov_b32 s9, 0
	s_ashr_i32 s7, s6, 31
	s_lshl_b64 s[14:15], s[8:9], 2
	s_waitcnt lgkmcnt(0)
	s_and_b32 s10, s3, 0xffff
	v_mov_b32_e32 v1, 0
	s_add_u32 s12, s12, s14
	v_lshlrev_b32_e32 v2, 2, v0
	v_mov_b32_e32 v3, v1
	s_addc_u32 s13, s13, s15
	s_mov_b32 s11, s9
	v_lshl_add_u64 v[2:3], s[12:13], 0, v[2:3]
	s_lshl_b32 s8, s10, 2
	s_mov_b64 s[12:13], 0
	v_mov_b64_e32 v[4:5], v[0:1]
.LBB138_2:                              ; =>This Inner Loop Header: Depth=1
	global_load_dword v6, v[2:3], off
	v_lshl_add_u64 v[4:5], v[4:5], 0, s[10:11]
	v_cmp_le_u64_e32 vcc, s[6:7], v[4:5]
	v_lshl_add_u64 v[2:3], v[2:3], 0, s[8:9]
	s_or_b64 s[12:13], vcc, s[12:13]
	s_waitcnt vmcnt(0)
	v_add_f32_e32 v1, v1, v6
	s_andn2_b64 exec, exec, s[12:13]
	s_cbranch_execnz .LBB138_2
; %bb.3:
	s_or_b64 exec, exec, s[12:13]
.LBB138_4:
	s_or_b64 exec, exec, s[4:5]
	v_mbcnt_lo_u32_b32 v2, -1, 0
	v_mbcnt_hi_u32_b32 v6, -1, v2
	v_mov_b32_e32 v2, 0x80
	v_lshl_or_b32 v2, v6, 2, v2
	ds_bpermute_b32 v3, v2, v1
	v_and_b32_e32 v7, 63, v6
	v_cmp_gt_u32_e32 vcc, 48, v7
	s_waitcnt lgkmcnt(0)
	s_barrier
	v_cndmask_b32_e64 v4, 0, 16, vcc
	v_add_f32_e32 v5, v1, v3
	v_add_lshl_u32 v1, v4, v6, 2
	ds_bpermute_b32 v4, v1, v5
	v_cmp_gt_u32_e32 vcc, 56, v7
	s_waitcnt lgkmcnt(0)
	v_add_f32_e32 v5, v5, v4
	v_cndmask_b32_e64 v3, 0, 8, vcc
	v_add_lshl_u32 v3, v3, v6, 2
	ds_bpermute_b32 v8, v3, v5
	v_cmp_gt_u32_e32 vcc, 60, v7
	s_waitcnt lgkmcnt(0)
	v_add_f32_e32 v8, v5, v8
	v_cndmask_b32_e64 v4, 0, 4, vcc
	;; [unrolled: 6-line block ×3, first 2 shown]
	v_add_lshl_u32 v5, v5, v6, 2
	ds_bpermute_b32 v10, v5, v9
	v_cmp_ne_u32_e32 vcc, 63, v7
	v_and_b32_e32 v8, 63, v0
	s_waitcnt lgkmcnt(0)
	v_add_f32_e32 v7, v9, v10
	v_addc_co_u32_e32 v6, vcc, 0, v6, vcc
	v_lshlrev_b32_e32 v6, 2, v6
	ds_bpermute_b32 v9, v6, v7
	v_cmp_eq_u32_e32 vcc, 0, v8
	s_and_saveexec_b64 s[4:5], vcc
	s_cbranch_execz .LBB138_6
; %bb.5:
	s_waitcnt lgkmcnt(0)
	v_add_f32_e32 v7, v7, v9
	v_lshrrev_b32_e32 v9, 4, v0
	ds_write_b32 v9, v7
.LBB138_6:
	s_or_b64 exec, exec, s[4:5]
	s_waitcnt lgkmcnt(0)
	s_barrier
	s_load_dword s3, s[0:1], 0xc9c
	v_mov_b32_e32 v7, 0
	s_waitcnt lgkmcnt(0)
	s_bfe_u32 s3, s3, 0xa0006
	v_cmp_gt_u32_e32 vcc, s3, v0
	s_and_saveexec_b64 s[4:5], vcc
; %bb.7:
	v_lshlrev_b32_e32 v7, 2, v8
	ds_read_b32 v7, v7
; %bb.8:
	s_or_b64 exec, exec, s[4:5]
	v_cmp_gt_u32_e32 vcc, 64, v0
	s_and_saveexec_b64 s[4:5], vcc
	s_cbranch_execz .LBB138_10
; %bb.9:
	s_waitcnt lgkmcnt(0)
	ds_bpermute_b32 v2, v2, v7
	s_waitcnt lgkmcnt(0)
	v_add_f32_e32 v2, v7, v2
	ds_bpermute_b32 v1, v1, v2
	s_waitcnt lgkmcnt(0)
	v_add_f32_e32 v1, v2, v1
	;; [unrolled: 3-line block ×6, first 2 shown]
.LBB138_10:
	s_or_b64 exec, exec, s[4:5]
	s_mov_b32 s3, 0
	v_cmp_eq_u32_e32 vcc, 0, v0
	s_and_saveexec_b64 s[4:5], vcc
	s_cbranch_execz .LBB138_12
; %bb.11:
	s_mov_b32 s4, 0xf800000
	s_waitcnt lgkmcnt(0)
	v_mul_f32_e32 v0, 0x4f800000, v7
	v_cmp_gt_f32_e32 vcc, s4, v7
	s_lshl_b64 s[2:3], s[2:3], 3
	s_add_u32 s2, s0, s2
	v_cndmask_b32_e32 v0, v7, v0, vcc
	v_sqrt_f32_e32 v1, v0
	s_addc_u32 s3, s1, s3
	v_add_u32_e32 v2, -1, v1
	v_fma_f32 v3, -v2, v1, v0
	v_cmp_ge_f32_e64 s[0:1], 0, v3
	v_add_u32_e32 v3, 1, v1
	s_nop 0
	v_cndmask_b32_e64 v2, v1, v2, s[0:1]
	v_fma_f32 v1, -v3, v1, v0
	v_cmp_lt_f32_e64 s[0:1], 0, v1
	s_nop 1
	v_cndmask_b32_e64 v1, v2, v3, s[0:1]
	v_mul_f32_e32 v2, 0x37800000, v1
	v_cndmask_b32_e32 v1, v1, v2, vcc
	v_mov_b32_e32 v2, 0x260
	v_cmp_class_f32_e32 vcc, v0, v2
	s_load_dwordx2 s[0:1], s[2:3], 0x8
	s_nop 0
	v_cndmask_b32_e32 v0, v1, v0, vcc
	v_cvt_f16_f32_e32 v0, v0
	v_mov_b32_e32 v1, 0
	s_waitcnt lgkmcnt(0)
	global_store_short v1, v0, s[0:1]
.LBB138_12:
	s_endpgm
	.section	.rodata,"a",@progbits
	.p2align	6, 0x0
	.amdhsa_kernel _ZN2at6native14lpnorm_cleanupIN3c108BFloat16ELNS0_8NormTypeE2ENS2_4HalfELb1EfEEvPKT3_NS0_19TensorListAddressesEi
		.amdhsa_group_segment_fixed_size 2048
		.amdhsa_private_segment_fixed_size 0
		.amdhsa_kernarg_size 3472
		.amdhsa_user_sgpr_count 2
		.amdhsa_user_sgpr_dispatch_ptr 0
		.amdhsa_user_sgpr_queue_ptr 0
		.amdhsa_user_sgpr_kernarg_segment_ptr 1
		.amdhsa_user_sgpr_dispatch_id 0
		.amdhsa_user_sgpr_kernarg_preload_length 0
		.amdhsa_user_sgpr_kernarg_preload_offset 0
		.amdhsa_user_sgpr_private_segment_size 0
		.amdhsa_uses_dynamic_stack 0
		.amdhsa_enable_private_segment 0
		.amdhsa_system_sgpr_workgroup_id_x 1
		.amdhsa_system_sgpr_workgroup_id_y 0
		.amdhsa_system_sgpr_workgroup_id_z 0
		.amdhsa_system_sgpr_workgroup_info 0
		.amdhsa_system_vgpr_workitem_id 0
		.amdhsa_next_free_vgpr 11
		.amdhsa_next_free_sgpr 16
		.amdhsa_accum_offset 12
		.amdhsa_reserve_vcc 1
		.amdhsa_float_round_mode_32 0
		.amdhsa_float_round_mode_16_64 0
		.amdhsa_float_denorm_mode_32 3
		.amdhsa_float_denorm_mode_16_64 3
		.amdhsa_dx10_clamp 1
		.amdhsa_ieee_mode 1
		.amdhsa_fp16_overflow 0
		.amdhsa_tg_split 0
		.amdhsa_exception_fp_ieee_invalid_op 0
		.amdhsa_exception_fp_denorm_src 0
		.amdhsa_exception_fp_ieee_div_zero 0
		.amdhsa_exception_fp_ieee_overflow 0
		.amdhsa_exception_fp_ieee_underflow 0
		.amdhsa_exception_fp_ieee_inexact 0
		.amdhsa_exception_int_div_zero 0
	.end_amdhsa_kernel
	.section	.text._ZN2at6native14lpnorm_cleanupIN3c108BFloat16ELNS0_8NormTypeE2ENS2_4HalfELb1EfEEvPKT3_NS0_19TensorListAddressesEi,"axG",@progbits,_ZN2at6native14lpnorm_cleanupIN3c108BFloat16ELNS0_8NormTypeE2ENS2_4HalfELb1EfEEvPKT3_NS0_19TensorListAddressesEi,comdat
.Lfunc_end138:
	.size	_ZN2at6native14lpnorm_cleanupIN3c108BFloat16ELNS0_8NormTypeE2ENS2_4HalfELb1EfEEvPKT3_NS0_19TensorListAddressesEi, .Lfunc_end138-_ZN2at6native14lpnorm_cleanupIN3c108BFloat16ELNS0_8NormTypeE2ENS2_4HalfELb1EfEEvPKT3_NS0_19TensorListAddressesEi
                                        ; -- End function
	.set _ZN2at6native14lpnorm_cleanupIN3c108BFloat16ELNS0_8NormTypeE2ENS2_4HalfELb1EfEEvPKT3_NS0_19TensorListAddressesEi.num_vgpr, 11
	.set _ZN2at6native14lpnorm_cleanupIN3c108BFloat16ELNS0_8NormTypeE2ENS2_4HalfELb1EfEEvPKT3_NS0_19TensorListAddressesEi.num_agpr, 0
	.set _ZN2at6native14lpnorm_cleanupIN3c108BFloat16ELNS0_8NormTypeE2ENS2_4HalfELb1EfEEvPKT3_NS0_19TensorListAddressesEi.numbered_sgpr, 16
	.set _ZN2at6native14lpnorm_cleanupIN3c108BFloat16ELNS0_8NormTypeE2ENS2_4HalfELb1EfEEvPKT3_NS0_19TensorListAddressesEi.num_named_barrier, 0
	.set _ZN2at6native14lpnorm_cleanupIN3c108BFloat16ELNS0_8NormTypeE2ENS2_4HalfELb1EfEEvPKT3_NS0_19TensorListAddressesEi.private_seg_size, 0
	.set _ZN2at6native14lpnorm_cleanupIN3c108BFloat16ELNS0_8NormTypeE2ENS2_4HalfELb1EfEEvPKT3_NS0_19TensorListAddressesEi.uses_vcc, 1
	.set _ZN2at6native14lpnorm_cleanupIN3c108BFloat16ELNS0_8NormTypeE2ENS2_4HalfELb1EfEEvPKT3_NS0_19TensorListAddressesEi.uses_flat_scratch, 0
	.set _ZN2at6native14lpnorm_cleanupIN3c108BFloat16ELNS0_8NormTypeE2ENS2_4HalfELb1EfEEvPKT3_NS0_19TensorListAddressesEi.has_dyn_sized_stack, 0
	.set _ZN2at6native14lpnorm_cleanupIN3c108BFloat16ELNS0_8NormTypeE2ENS2_4HalfELb1EfEEvPKT3_NS0_19TensorListAddressesEi.has_recursion, 0
	.set _ZN2at6native14lpnorm_cleanupIN3c108BFloat16ELNS0_8NormTypeE2ENS2_4HalfELb1EfEEvPKT3_NS0_19TensorListAddressesEi.has_indirect_call, 0
	.section	.AMDGPU.csdata,"",@progbits
; Kernel info:
; codeLenInByte = 792
; TotalNumSgprs: 22
; NumVgprs: 11
; NumAgprs: 0
; TotalNumVgprs: 11
; ScratchSize: 0
; MemoryBound: 0
; FloatMode: 240
; IeeeMode: 1
; LDSByteSize: 2048 bytes/workgroup (compile time only)
; SGPRBlocks: 2
; VGPRBlocks: 1
; NumSGPRsForWavesPerEU: 22
; NumVGPRsForWavesPerEU: 11
; AccumOffset: 12
; Occupancy: 8
; WaveLimiterHint : 0
; COMPUTE_PGM_RSRC2:SCRATCH_EN: 0
; COMPUTE_PGM_RSRC2:USER_SGPR: 2
; COMPUTE_PGM_RSRC2:TRAP_HANDLER: 0
; COMPUTE_PGM_RSRC2:TGID_X_EN: 1
; COMPUTE_PGM_RSRC2:TGID_Y_EN: 0
; COMPUTE_PGM_RSRC2:TGID_Z_EN: 0
; COMPUTE_PGM_RSRC2:TIDIG_COMP_CNT: 0
; COMPUTE_PGM_RSRC3_GFX90A:ACCUM_OFFSET: 2
; COMPUTE_PGM_RSRC3_GFX90A:TG_SPLIT: 0
	.section	.text._ZN2at6native14lpnorm_cleanupIN3c108BFloat16ELNS0_8NormTypeE3ENS2_4HalfELb1EfEEvPKT3_NS0_19TensorListAddressesEi,"axG",@progbits,_ZN2at6native14lpnorm_cleanupIN3c108BFloat16ELNS0_8NormTypeE3ENS2_4HalfELb1EfEEvPKT3_NS0_19TensorListAddressesEi,comdat
	.protected	_ZN2at6native14lpnorm_cleanupIN3c108BFloat16ELNS0_8NormTypeE3ENS2_4HalfELb1EfEEvPKT3_NS0_19TensorListAddressesEi ; -- Begin function _ZN2at6native14lpnorm_cleanupIN3c108BFloat16ELNS0_8NormTypeE3ENS2_4HalfELb1EfEEvPKT3_NS0_19TensorListAddressesEi
	.globl	_ZN2at6native14lpnorm_cleanupIN3c108BFloat16ELNS0_8NormTypeE3ENS2_4HalfELb1EfEEvPKT3_NS0_19TensorListAddressesEi
	.p2align	8
	.type	_ZN2at6native14lpnorm_cleanupIN3c108BFloat16ELNS0_8NormTypeE3ENS2_4HalfELb1EfEEvPKT3_NS0_19TensorListAddressesEi,@function
_ZN2at6native14lpnorm_cleanupIN3c108BFloat16ELNS0_8NormTypeE3ENS2_4HalfELb1EfEEvPKT3_NS0_19TensorListAddressesEi: ; @_ZN2at6native14lpnorm_cleanupIN3c108BFloat16ELNS0_8NormTypeE3ENS2_4HalfELb1EfEEvPKT3_NS0_19TensorListAddressesEi
; %bb.0:
	s_load_dword s10, s[0:1], 0xc88
	v_mov_b32_e32 v1, 0
	s_waitcnt lgkmcnt(0)
	v_cmp_gt_u32_e32 vcc, s10, v0
	s_and_saveexec_b64 s[8:9], vcc
	s_cbranch_execz .LBB139_4
; %bb.1:
	s_load_dwordx2 s[4:5], s[0:1], 0x0
	s_load_dword s3, s[0:1], 0xc9c
	s_mul_i32 s12, s10, s2
	s_mov_b32 s13, 0
	s_ashr_i32 s11, s10, 31
	s_lshl_b64 s[6:7], s[12:13], 2
	s_waitcnt lgkmcnt(0)
	s_and_b32 s14, s3, 0xffff
	v_mov_b32_e32 v1, 0
	s_add_u32 s4, s4, s6
	v_lshlrev_b32_e32 v2, 2, v0
	v_mov_b32_e32 v3, v1
	s_addc_u32 s5, s5, s7
	s_mov_b32 s15, s13
	v_lshl_add_u64 v[2:3], s[4:5], 0, v[2:3]
	s_lshl_b32 s12, s14, 2
	s_mov_b64 s[16:17], 0
	v_mov_b64_e32 v[4:5], v[0:1]
.LBB139_2:                              ; =>This Inner Loop Header: Depth=1
	global_load_dword v6, v[2:3], off
	v_lshl_add_u64 v[4:5], v[4:5], 0, s[14:15]
	v_cmp_le_u64_e32 vcc, s[10:11], v[4:5]
	v_lshl_add_u64 v[2:3], v[2:3], 0, s[12:13]
	s_waitcnt vmcnt(0)
	v_cmp_u_f32_e64 s[4:5], v6, v6
	v_cmp_lt_f32_e64 s[6:7], v1, v6
	s_or_b64 s[4:5], s[4:5], s[6:7]
	s_or_b64 s[16:17], vcc, s[16:17]
	v_cndmask_b32_e64 v1, v1, v6, s[4:5]
	s_andn2_b64 exec, exec, s[16:17]
	s_cbranch_execnz .LBB139_2
; %bb.3:
	s_or_b64 exec, exec, s[16:17]
.LBB139_4:
	s_or_b64 exec, exec, s[8:9]
	v_mbcnt_lo_u32_b32 v2, -1, 0
	v_mbcnt_hi_u32_b32 v6, -1, v2
	v_mov_b32_e32 v2, 0x80
	v_lshl_or_b32 v2, v6, 2, v2
	ds_bpermute_b32 v3, v2, v1
	v_and_b32_e32 v9, 63, v6
	v_and_b32_e32 v8, 63, v0
	s_waitcnt lgkmcnt(0)
	s_barrier
	v_cmp_u_f32_e32 vcc, v3, v3
	v_cmp_lt_f32_e64 s[4:5], v1, v3
	s_or_b64 vcc, vcc, s[4:5]
	v_cndmask_b32_e32 v3, v1, v3, vcc
	v_cmp_gt_u32_e32 vcc, 48, v9
	s_nop 1
	v_cndmask_b32_e64 v1, 0, 16, vcc
	v_add_lshl_u32 v1, v1, v6, 2
	ds_bpermute_b32 v4, v1, v3
	s_waitcnt lgkmcnt(0)
	v_cmp_u_f32_e32 vcc, v4, v4
	v_cmp_lt_f32_e64 s[4:5], v3, v4
	s_or_b64 vcc, vcc, s[4:5]
	v_cndmask_b32_e32 v4, v3, v4, vcc
	v_cmp_gt_u32_e32 vcc, 56, v9
	s_nop 1
	v_cndmask_b32_e64 v3, 0, 8, vcc
	v_add_lshl_u32 v3, v3, v6, 2
	ds_bpermute_b32 v5, v3, v4
	s_waitcnt lgkmcnt(0)
	;; [unrolled: 10-line block ×4, first 2 shown]
	v_cmp_u_f32_e32 vcc, v10, v10
	v_cmp_lt_f32_e64 s[4:5], v7, v10
	s_or_b64 vcc, vcc, s[4:5]
	v_cndmask_b32_e32 v7, v7, v10, vcc
	v_cmp_ne_u32_e32 vcc, 63, v9
	s_nop 1
	v_addc_co_u32_e32 v6, vcc, 0, v6, vcc
	v_lshlrev_b32_e32 v6, 2, v6
	ds_bpermute_b32 v9, v6, v7
	v_cmp_eq_u32_e32 vcc, 0, v8
	s_and_saveexec_b64 s[6:7], vcc
	s_cbranch_execz .LBB139_6
; %bb.5:
	s_waitcnt lgkmcnt(0)
	v_cmp_u_f32_e32 vcc, v9, v9
	v_cmp_lt_f32_e64 s[4:5], v7, v9
	s_or_b64 vcc, vcc, s[4:5]
	v_cndmask_b32_e32 v7, v7, v9, vcc
	v_lshrrev_b32_e32 v9, 4, v0
	ds_write_b32 v9, v7
.LBB139_6:
	s_or_b64 exec, exec, s[6:7]
	s_waitcnt lgkmcnt(0)
	s_barrier
	s_load_dword s3, s[0:1], 0xc9c
	v_mov_b32_e32 v7, 0xff7fffff
	s_waitcnt lgkmcnt(0)
	s_bfe_u32 s3, s3, 0xa0006
	v_cmp_gt_u32_e32 vcc, s3, v0
	s_and_saveexec_b64 s[4:5], vcc
; %bb.7:
	v_lshlrev_b32_e32 v7, 2, v8
	ds_read_b32 v7, v7
; %bb.8:
	s_or_b64 exec, exec, s[4:5]
	v_cmp_gt_u32_e32 vcc, 64, v0
	s_and_saveexec_b64 s[6:7], vcc
	s_cbranch_execz .LBB139_10
; %bb.9:
	s_waitcnt lgkmcnt(0)
	ds_bpermute_b32 v2, v2, v7
	s_waitcnt lgkmcnt(0)
	v_cmp_u_f32_e32 vcc, v2, v2
	v_cmp_lt_f32_e64 s[4:5], v7, v2
	s_or_b64 vcc, vcc, s[4:5]
	v_cndmask_b32_e32 v2, v7, v2, vcc
	ds_bpermute_b32 v1, v1, v2
	s_waitcnt lgkmcnt(0)
	v_cmp_u_f32_e32 vcc, v1, v1
	v_cmp_lt_f32_e64 s[4:5], v2, v1
	s_or_b64 vcc, vcc, s[4:5]
	v_cndmask_b32_e32 v1, v2, v1, vcc
	;; [unrolled: 6-line block ×6, first 2 shown]
.LBB139_10:
	s_or_b64 exec, exec, s[6:7]
	s_mov_b32 s3, 0
	v_cmp_eq_u32_e32 vcc, 0, v0
	s_and_saveexec_b64 s[4:5], vcc
	s_cbranch_execz .LBB139_12
; %bb.11:
	s_lshl_b64 s[2:3], s[2:3], 3
	s_add_u32 s0, s0, s2
	s_addc_u32 s1, s1, s3
	s_load_dwordx2 s[0:1], s[0:1], 0x8
	s_waitcnt lgkmcnt(0)
	v_cvt_f16_f32_e32 v0, v7
	v_mov_b32_e32 v1, 0
	global_store_short v1, v0, s[0:1]
.LBB139_12:
	s_endpgm
	.section	.rodata,"a",@progbits
	.p2align	6, 0x0
	.amdhsa_kernel _ZN2at6native14lpnorm_cleanupIN3c108BFloat16ELNS0_8NormTypeE3ENS2_4HalfELb1EfEEvPKT3_NS0_19TensorListAddressesEi
		.amdhsa_group_segment_fixed_size 2048
		.amdhsa_private_segment_fixed_size 0
		.amdhsa_kernarg_size 3472
		.amdhsa_user_sgpr_count 2
		.amdhsa_user_sgpr_dispatch_ptr 0
		.amdhsa_user_sgpr_queue_ptr 0
		.amdhsa_user_sgpr_kernarg_segment_ptr 1
		.amdhsa_user_sgpr_dispatch_id 0
		.amdhsa_user_sgpr_kernarg_preload_length 0
		.amdhsa_user_sgpr_kernarg_preload_offset 0
		.amdhsa_user_sgpr_private_segment_size 0
		.amdhsa_uses_dynamic_stack 0
		.amdhsa_enable_private_segment 0
		.amdhsa_system_sgpr_workgroup_id_x 1
		.amdhsa_system_sgpr_workgroup_id_y 0
		.amdhsa_system_sgpr_workgroup_id_z 0
		.amdhsa_system_sgpr_workgroup_info 0
		.amdhsa_system_vgpr_workitem_id 0
		.amdhsa_next_free_vgpr 11
		.amdhsa_next_free_sgpr 18
		.amdhsa_accum_offset 12
		.amdhsa_reserve_vcc 1
		.amdhsa_float_round_mode_32 0
		.amdhsa_float_round_mode_16_64 0
		.amdhsa_float_denorm_mode_32 3
		.amdhsa_float_denorm_mode_16_64 3
		.amdhsa_dx10_clamp 1
		.amdhsa_ieee_mode 1
		.amdhsa_fp16_overflow 0
		.amdhsa_tg_split 0
		.amdhsa_exception_fp_ieee_invalid_op 0
		.amdhsa_exception_fp_denorm_src 0
		.amdhsa_exception_fp_ieee_div_zero 0
		.amdhsa_exception_fp_ieee_overflow 0
		.amdhsa_exception_fp_ieee_underflow 0
		.amdhsa_exception_fp_ieee_inexact 0
		.amdhsa_exception_int_div_zero 0
	.end_amdhsa_kernel
	.section	.text._ZN2at6native14lpnorm_cleanupIN3c108BFloat16ELNS0_8NormTypeE3ENS2_4HalfELb1EfEEvPKT3_NS0_19TensorListAddressesEi,"axG",@progbits,_ZN2at6native14lpnorm_cleanupIN3c108BFloat16ELNS0_8NormTypeE3ENS2_4HalfELb1EfEEvPKT3_NS0_19TensorListAddressesEi,comdat
.Lfunc_end139:
	.size	_ZN2at6native14lpnorm_cleanupIN3c108BFloat16ELNS0_8NormTypeE3ENS2_4HalfELb1EfEEvPKT3_NS0_19TensorListAddressesEi, .Lfunc_end139-_ZN2at6native14lpnorm_cleanupIN3c108BFloat16ELNS0_8NormTypeE3ENS2_4HalfELb1EfEEvPKT3_NS0_19TensorListAddressesEi
                                        ; -- End function
	.set _ZN2at6native14lpnorm_cleanupIN3c108BFloat16ELNS0_8NormTypeE3ENS2_4HalfELb1EfEEvPKT3_NS0_19TensorListAddressesEi.num_vgpr, 11
	.set _ZN2at6native14lpnorm_cleanupIN3c108BFloat16ELNS0_8NormTypeE3ENS2_4HalfELb1EfEEvPKT3_NS0_19TensorListAddressesEi.num_agpr, 0
	.set _ZN2at6native14lpnorm_cleanupIN3c108BFloat16ELNS0_8NormTypeE3ENS2_4HalfELb1EfEEvPKT3_NS0_19TensorListAddressesEi.numbered_sgpr, 18
	.set _ZN2at6native14lpnorm_cleanupIN3c108BFloat16ELNS0_8NormTypeE3ENS2_4HalfELb1EfEEvPKT3_NS0_19TensorListAddressesEi.num_named_barrier, 0
	.set _ZN2at6native14lpnorm_cleanupIN3c108BFloat16ELNS0_8NormTypeE3ENS2_4HalfELb1EfEEvPKT3_NS0_19TensorListAddressesEi.private_seg_size, 0
	.set _ZN2at6native14lpnorm_cleanupIN3c108BFloat16ELNS0_8NormTypeE3ENS2_4HalfELb1EfEEvPKT3_NS0_19TensorListAddressesEi.uses_vcc, 1
	.set _ZN2at6native14lpnorm_cleanupIN3c108BFloat16ELNS0_8NormTypeE3ENS2_4HalfELb1EfEEvPKT3_NS0_19TensorListAddressesEi.uses_flat_scratch, 0
	.set _ZN2at6native14lpnorm_cleanupIN3c108BFloat16ELNS0_8NormTypeE3ENS2_4HalfELb1EfEEvPKT3_NS0_19TensorListAddressesEi.has_dyn_sized_stack, 0
	.set _ZN2at6native14lpnorm_cleanupIN3c108BFloat16ELNS0_8NormTypeE3ENS2_4HalfELb1EfEEvPKT3_NS0_19TensorListAddressesEi.has_recursion, 0
	.set _ZN2at6native14lpnorm_cleanupIN3c108BFloat16ELNS0_8NormTypeE3ENS2_4HalfELb1EfEEvPKT3_NS0_19TensorListAddressesEi.has_indirect_call, 0
	.section	.AMDGPU.csdata,"",@progbits
; Kernel info:
; codeLenInByte = 904
; TotalNumSgprs: 24
; NumVgprs: 11
; NumAgprs: 0
; TotalNumVgprs: 11
; ScratchSize: 0
; MemoryBound: 0
; FloatMode: 240
; IeeeMode: 1
; LDSByteSize: 2048 bytes/workgroup (compile time only)
; SGPRBlocks: 2
; VGPRBlocks: 1
; NumSGPRsForWavesPerEU: 24
; NumVGPRsForWavesPerEU: 11
; AccumOffset: 12
; Occupancy: 8
; WaveLimiterHint : 0
; COMPUTE_PGM_RSRC2:SCRATCH_EN: 0
; COMPUTE_PGM_RSRC2:USER_SGPR: 2
; COMPUTE_PGM_RSRC2:TRAP_HANDLER: 0
; COMPUTE_PGM_RSRC2:TGID_X_EN: 1
; COMPUTE_PGM_RSRC2:TGID_Y_EN: 0
; COMPUTE_PGM_RSRC2:TGID_Z_EN: 0
; COMPUTE_PGM_RSRC2:TIDIG_COMP_CNT: 0
; COMPUTE_PGM_RSRC3_GFX90A:ACCUM_OFFSET: 2
; COMPUTE_PGM_RSRC3_GFX90A:TG_SPLIT: 0
	.section	.text._ZN2at6native12_GLOBAL__N_125multi_tensor_apply_kernelINS1_18TensorListMetadataILi1EEENS0_13LpNormFunctorIN3c108BFloat16ELNS0_8NormTypeE0ES7_Li1ELi1ELi0EEEJPfiEEEvT_T0_DpT1_,"axG",@progbits,_ZN2at6native12_GLOBAL__N_125multi_tensor_apply_kernelINS1_18TensorListMetadataILi1EEENS0_13LpNormFunctorIN3c108BFloat16ELNS0_8NormTypeE0ES7_Li1ELi1ELi0EEEJPfiEEEvT_T0_DpT1_,comdat
	.globl	_ZN2at6native12_GLOBAL__N_125multi_tensor_apply_kernelINS1_18TensorListMetadataILi1EEENS0_13LpNormFunctorIN3c108BFloat16ELNS0_8NormTypeE0ES7_Li1ELi1ELi0EEEJPfiEEEvT_T0_DpT1_ ; -- Begin function _ZN2at6native12_GLOBAL__N_125multi_tensor_apply_kernelINS1_18TensorListMetadataILi1EEENS0_13LpNormFunctorIN3c108BFloat16ELNS0_8NormTypeE0ES7_Li1ELi1ELi0EEEJPfiEEEvT_T0_DpT1_
	.p2align	8
	.type	_ZN2at6native12_GLOBAL__N_125multi_tensor_apply_kernelINS1_18TensorListMetadataILi1EEENS0_13LpNormFunctorIN3c108BFloat16ELNS0_8NormTypeE0ES7_Li1ELi1ELi0EEEJPfiEEEvT_T0_DpT1_,@function
_ZN2at6native12_GLOBAL__N_125multi_tensor_apply_kernelINS1_18TensorListMetadataILi1EEENS0_13LpNormFunctorIN3c108BFloat16ELNS0_8NormTypeE0ES7_Li1ELi1ELi0EEEJPfiEEEvT_T0_DpT1_: ; @_ZN2at6native12_GLOBAL__N_125multi_tensor_apply_kernelINS1_18TensorListMetadataILi1EEENS0_13LpNormFunctorIN3c108BFloat16ELNS0_8NormTypeE0ES7_Li1ELi1ELi0EEEJPfiEEEvT_T0_DpT1_
; %bb.0:
	v_mov_b32_e32 v1, s2
	global_load_ubyte v1, v1, s[0:1] offset:1760
	s_add_u32 s3, s0, s2
	s_mul_hi_u32 s4, s2, 3
	s_mul_i32 s2, s2, 3
	s_addc_u32 s5, s1, 0
	s_add_u32 s2, s3, s2
	s_addc_u32 s3, s5, s4
	s_load_dword s4, s[2:3], 0x820
	s_mov_b32 s15, 0
	s_waitcnt vmcnt(0)
	v_readfirstlane_b32 s2, v1
	s_and_b32 s16, s2, 0xff
	s_lshl_b32 s5, s16, 3
	s_load_dwordx2 s[2:3], s[0:1], s5 offset:0x370
	s_load_dwordx2 s[6:7], s[0:1], s5 offset:0x0
	s_waitcnt lgkmcnt(0)
	s_ashr_i32 s5, s4, 31
	s_lshl_b64 s[10:11], s[4:5], 16
	s_lshl_b64 s[8:9], s[4:5], 17
	s_add_u32 s12, s6, s8
	s_addc_u32 s13, s7, s9
	s_sub_u32 s10, s2, s10
	s_subb_u32 s11, s3, s11
	s_and_b32 s14, s2, 3
	s_and_b32 s2, s12, 7
	s_mov_b32 s3, s15
	s_or_b64 s[2:3], s[14:15], s[2:3]
	s_cmp_eq_u64 s[2:3], 0
	s_cbranch_scc1 .LBB140_12
; %bb.1:
	v_cmp_lt_i64_e64 s[2:3], s[10:11], 1
	s_and_b64 vcc, exec, s[2:3]
	s_cbranch_vccnz .LBB140_13
; %bb.2:
	s_load_dword s14, s[0:1], 0xd4c
	v_mov_b64_e32 v[2:3], 0x10000
	v_cmp_lt_i64_e32 vcc, s[10:11], v[2:3]
	s_and_b64 s[2:3], vcc, exec
	v_mov_b32_e32 v7, 0
	s_cselect_b32 s3, s11, 0
	s_cselect_b32 s2, s10, 0x10000
	s_waitcnt lgkmcnt(0)
	s_and_b32 s18, s14, 0xffff
	v_mov_b32_e32 v6, v7
	v_mad_u64_u32 v[12:13], s[14:15], s18, 3, v[0:1]
	v_mov_b32_e32 v8, v7
	v_mov_b32_e32 v9, v7
	v_mov_b64_e32 v[2:3], v[6:7]
	s_mov_b32 s5, 0x10000
	s_lshl_b32 s17, s18, 2
	v_lshl_add_u32 v10, s18, 1, v0
	v_add_u32_e32 v14, s18, v0
	s_mov_b64 s[14:15], 0
	v_mov_b64_e32 v[16:17], s[2:3]
	v_mov_b64_e32 v[4:5], v[8:9]
	s_branch .LBB140_4
.LBB140_3:                              ;   in Loop: Header=BB140_4 Depth=1
	s_or_b64 exec, exec, s[2:3]
	s_add_u32 s14, s14, s17
	s_addc_u32 s15, s15, 0
	v_cmp_lt_i64_e32 vcc, s[14:15], v[16:17]
	s_cbranch_vccz .LBB140_14
.LBB140_4:                              ; =>This Inner Loop Header: Depth=1
	v_add_u32_e32 v6, s14, v0
	v_cmp_gt_i64_e32 vcc, s[10:11], v[6:7]
	v_cmp_gt_u32_e64 s[2:3], s5, v6
	s_and_b64 s[18:19], s[2:3], vcc
	s_and_saveexec_b64 s[2:3], s[18:19]
	s_cbranch_execz .LBB140_6
; %bb.5:                                ;   in Loop: Header=BB140_4 Depth=1
	v_lshl_add_u64 v[8:9], v[6:7], 1, s[12:13]
	global_load_ushort v1, v[8:9], off
	s_waitcnt vmcnt(0)
	v_and_b32_e32 v1, 0x7fff, v1
	v_cmp_eq_u16_e32 vcc, 0, v1
	s_nop 1
	v_cndmask_b32_e64 v1, 1.0, 0, vcc
	v_add_f32_e32 v2, v2, v1
.LBB140_6:                              ;   in Loop: Header=BB140_4 Depth=1
	s_or_b64 exec, exec, s[2:3]
	v_add_u32_e32 v6, s14, v14
	v_cmp_gt_i64_e32 vcc, s[10:11], v[6:7]
	v_cmp_gt_u32_e64 s[2:3], s5, v6
	s_and_b64 s[18:19], s[2:3], vcc
	s_and_saveexec_b64 s[2:3], s[18:19]
	s_cbranch_execz .LBB140_8
; %bb.7:                                ;   in Loop: Header=BB140_4 Depth=1
	v_lshl_add_u64 v[8:9], v[6:7], 1, s[12:13]
	global_load_ushort v1, v[8:9], off
	s_waitcnt vmcnt(0)
	v_and_b32_e32 v1, 0x7fff, v1
	v_cmp_eq_u16_e32 vcc, 0, v1
	s_nop 1
	v_cndmask_b32_e64 v1, 1.0, 0, vcc
	v_add_f32_e32 v3, v3, v1
.LBB140_8:                              ;   in Loop: Header=BB140_4 Depth=1
	s_or_b64 exec, exec, s[2:3]
	v_add_u32_e32 v6, s14, v10
	v_cmp_gt_i64_e32 vcc, s[10:11], v[6:7]
	v_cmp_gt_u32_e64 s[2:3], s5, v6
	s_and_b64 s[18:19], s[2:3], vcc
	s_and_saveexec_b64 s[2:3], s[18:19]
	s_cbranch_execz .LBB140_10
; %bb.9:                                ;   in Loop: Header=BB140_4 Depth=1
	v_lshl_add_u64 v[8:9], v[6:7], 1, s[12:13]
	global_load_ushort v1, v[8:9], off
	s_waitcnt vmcnt(0)
	v_and_b32_e32 v1, 0x7fff, v1
	v_cmp_eq_u16_e32 vcc, 0, v1
	s_nop 1
	v_cndmask_b32_e64 v1, 1.0, 0, vcc
	v_add_f32_e32 v4, v4, v1
.LBB140_10:                             ;   in Loop: Header=BB140_4 Depth=1
	s_or_b64 exec, exec, s[2:3]
	v_add_u32_e32 v6, s14, v12
	v_cmp_gt_i64_e32 vcc, s[10:11], v[6:7]
	v_cmp_gt_u32_e64 s[2:3], s5, v6
	s_and_b64 s[18:19], s[2:3], vcc
	s_and_saveexec_b64 s[2:3], s[18:19]
	s_cbranch_execz .LBB140_3
; %bb.11:                               ;   in Loop: Header=BB140_4 Depth=1
	v_lshl_add_u64 v[8:9], v[6:7], 1, s[12:13]
	global_load_ushort v1, v[8:9], off
	s_waitcnt vmcnt(0)
	v_and_b32_e32 v1, 0x7fff, v1
	v_cmp_eq_u16_e32 vcc, 0, v1
	s_nop 1
	v_cndmask_b32_e64 v1, 1.0, 0, vcc
	v_add_f32_e32 v5, v5, v1
	s_branch .LBB140_3
.LBB140_12:
                                        ; implicit-def: $vgpr2_vgpr3_vgpr4_vgpr5
	s_branch .LBB140_15
.LBB140_13:
	v_mov_b32_e32 v2, 0
	v_mov_b32_e32 v3, v2
	;; [unrolled: 1-line block ×4, first 2 shown]
.LBB140_14:
	s_cbranch_execnz .LBB140_20
.LBB140_15:
	v_mov_b64_e32 v[4:5], 0x10000
	v_cmp_lt_i64_e32 vcc, s[10:11], v[4:5]
	s_and_b64 s[2:3], vcc, exec
	v_mov_b32_e32 v3, 0
	s_cselect_b32 s3, s11, 0
	s_cselect_b32 s2, s10, 0x10000
	v_lshlrev_b32_e32 v2, 2, v0
	v_cmp_gt_i64_e32 vcc, s[2:3], v[2:3]
	s_mov_b32 s13, 0
	v_mov_b32_e32 v2, v3
	v_mov_b32_e32 v4, v3
	;; [unrolled: 1-line block ×3, first 2 shown]
	s_and_saveexec_b64 s[10:11], vcc
	s_cbranch_execz .LBB140_19
; %bb.16:
	s_load_dword s5, s[0:1], 0xd4c
	v_mov_b32_e32 v1, v3
	v_lshlrev_b32_e32 v2, 3, v0
	s_mov_b32 s15, s13
	v_mov_b64_e32 v[10:11], v[0:1]
	s_waitcnt lgkmcnt(0)
	s_and_b32 s12, s5, 0xffff
	s_add_u32 s6, s6, s8
	s_addc_u32 s7, s7, s9
	s_lshl_b32 s14, s12, 3
	v_lshl_add_u64 v[8:9], s[6:7], 0, v[2:3]
	s_mov_b64 s[6:7], 0
	v_mov_b32_e32 v4, 0
	v_mov_b32_e32 v5, 0
	;; [unrolled: 1-line block ×4, first 2 shown]
.LBB140_17:                             ; =>This Inner Loop Header: Depth=1
	global_load_dwordx2 v[12:13], v[8:9], off
	v_lshl_add_u64 v[10:11], v[10:11], 0, s[12:13]
	v_lshlrev_b64 v[18:19], 2, v[10:11]
	v_cmp_le_i64_e32 vcc, s[2:3], v[18:19]
	v_mov_b32_e32 v14, v3
	s_or_b64 s[6:7], vcc, s[6:7]
	v_mov_b32_e32 v16, v3
	v_lshl_add_u64 v[8:9], v[8:9], 0, s[14:15]
	s_waitcnt vmcnt(0)
	v_and_b32_e32 v2, 0x7fff, v12
	v_and_b32_e32 v15, 0x7fff, v13
	v_cmp_eq_u64_e32 vcc, 0, v[2:3]
	v_and_b32_e32 v17, 0x7fff0000, v13
	v_and_b32_e32 v2, 0x7fff0000, v12
	v_cndmask_b32_e64 v1, 1.0, 0, vcc
	v_cmp_eq_u64_e32 vcc, 0, v[14:15]
	v_add_f32_e32 v4, v4, v1
	s_nop 0
	v_cndmask_b32_e64 v12, 1.0, 0, vcc
	v_cmp_eq_u64_e32 vcc, 0, v[16:17]
	v_add_f32_e32 v6, v6, v12
	s_nop 0
	;; [unrolled: 4-line block ×3, first 2 shown]
	v_cndmask_b32_e64 v1, 1.0, 0, vcc
	v_add_f32_e32 v5, v5, v1
	s_andn2_b64 exec, exec, s[6:7]
	s_cbranch_execnz .LBB140_17
; %bb.18:
	s_or_b64 exec, exec, s[6:7]
	v_mov_b64_e32 v[2:3], v[4:5]
	v_mov_b64_e32 v[4:5], v[6:7]
.LBB140_19:
	s_or_b64 exec, exec, s[10:11]
.LBB140_20:
	v_add_f32_e32 v1, 0, v2
	v_add_f32_e32 v1, v3, v1
	;; [unrolled: 1-line block ×4, first 2 shown]
	v_mbcnt_lo_u32_b32 v1, -1, 0
	v_mbcnt_hi_u32_b32 v6, -1, v1
	v_mov_b32_e32 v1, 0x80
	v_lshl_or_b32 v1, v6, 2, v1
	ds_bpermute_b32 v3, v1, v2
	v_and_b32_e32 v9, 63, v6
	v_cmp_gt_u32_e32 vcc, 48, v9
	s_waitcnt lgkmcnt(0)
	s_barrier
	v_add_f32_e32 v3, v2, v3
	v_cndmask_b32_e64 v2, 0, 16, vcc
	v_add_lshl_u32 v2, v2, v6, 2
	ds_bpermute_b32 v4, v2, v3
	v_cmp_gt_u32_e32 vcc, 56, v9
	s_waitcnt lgkmcnt(0)
	v_add_f32_e32 v4, v3, v4
	v_cndmask_b32_e64 v3, 0, 8, vcc
	v_add_lshl_u32 v3, v3, v6, 2
	ds_bpermute_b32 v5, v3, v4
	v_cmp_gt_u32_e32 vcc, 60, v9
	s_waitcnt lgkmcnt(0)
	;; [unrolled: 6-line block ×3, first 2 shown]
	v_add_f32_e32 v7, v5, v7
	v_cndmask_b32_e64 v8, 0, 2, vcc
	v_add_lshl_u32 v5, v8, v6, 2
	ds_bpermute_b32 v10, v5, v7
	v_cmp_ne_u32_e32 vcc, 63, v9
	v_and_b32_e32 v8, 63, v0
	s_waitcnt lgkmcnt(0)
	v_add_f32_e32 v7, v7, v10
	v_addc_co_u32_e32 v6, vcc, 0, v6, vcc
	v_lshlrev_b32_e32 v6, 2, v6
	ds_bpermute_b32 v9, v6, v7
	v_cmp_eq_u32_e32 vcc, 0, v8
	s_and_saveexec_b64 s[2:3], vcc
	s_cbranch_execz .LBB140_22
; %bb.21:
	v_lshrrev_b32_e32 v10, 4, v0
	s_waitcnt lgkmcnt(0)
	v_add_f32_e32 v7, v7, v9
	ds_write_b32 v10, v7
.LBB140_22:
	s_or_b64 exec, exec, s[2:3]
	s_waitcnt lgkmcnt(0)
	s_barrier
	s_load_dword s2, s[0:1], 0xd4c
	v_mov_b32_e32 v7, 0
	s_waitcnt lgkmcnt(0)
	s_bfe_u32 s2, s2, 0xa0006
	v_cmp_gt_u32_e32 vcc, s2, v0
	s_and_saveexec_b64 s[2:3], vcc
	s_cbranch_execnz .LBB140_26
; %bb.23:
	s_or_b64 exec, exec, s[2:3]
	v_cmp_gt_u32_e32 vcc, 64, v0
	s_and_saveexec_b64 s[2:3], vcc
	s_cbranch_execnz .LBB140_27
.LBB140_24:
	s_or_b64 exec, exec, s[2:3]
	v_cmp_eq_u32_e32 vcc, 0, v0
	s_and_saveexec_b64 s[2:3], vcc
	s_cbranch_execnz .LBB140_28
.LBB140_25:
	s_endpgm
.LBB140_26:
	v_lshlrev_b32_e32 v7, 2, v8
	ds_read_b32 v7, v7
	s_or_b64 exec, exec, s[2:3]
	v_cmp_gt_u32_e32 vcc, 64, v0
	s_and_saveexec_b64 s[2:3], vcc
	s_cbranch_execz .LBB140_24
.LBB140_27:
	s_waitcnt lgkmcnt(0)
	ds_bpermute_b32 v1, v1, v7
	s_waitcnt lgkmcnt(0)
	v_add_f32_e32 v1, v7, v1
	ds_bpermute_b32 v2, v2, v1
	s_waitcnt lgkmcnt(0)
	v_add_f32_e32 v1, v1, v2
	;; [unrolled: 3-line block ×6, first 2 shown]
	s_or_b64 exec, exec, s[2:3]
	v_cmp_eq_u32_e32 vcc, 0, v0
	s_and_saveexec_b64 s[2:3], vcc
	s_cbranch_execz .LBB140_25
.LBB140_28:
	s_load_dword s5, s[0:1], 0xd20
	s_load_dword s6, s[0:1], 0xd38
	s_load_dwordx2 s[2:3], s[0:1], 0xd30
	v_mov_b32_e32 v0, 0
	s_waitcnt lgkmcnt(0)
	s_add_i32 s0, s5, s16
	s_mul_i32 s0, s0, s6
	s_add_i32 s0, s0, s4
	s_ashr_i32 s1, s0, 31
	s_lshl_b64 s[0:1], s[0:1], 2
	s_add_u32 s0, s2, s0
	s_addc_u32 s1, s3, s1
	global_store_dword v0, v7, s[0:1]
	s_endpgm
	.section	.rodata,"a",@progbits
	.p2align	6, 0x0
	.amdhsa_kernel _ZN2at6native12_GLOBAL__N_125multi_tensor_apply_kernelINS1_18TensorListMetadataILi1EEENS0_13LpNormFunctorIN3c108BFloat16ELNS0_8NormTypeE0ES7_Li1ELi1ELi0EEEJPfiEEEvT_T0_DpT1_
		.amdhsa_group_segment_fixed_size 2048
		.amdhsa_private_segment_fixed_size 0
		.amdhsa_kernarg_size 3648
		.amdhsa_user_sgpr_count 2
		.amdhsa_user_sgpr_dispatch_ptr 0
		.amdhsa_user_sgpr_queue_ptr 0
		.amdhsa_user_sgpr_kernarg_segment_ptr 1
		.amdhsa_user_sgpr_dispatch_id 0
		.amdhsa_user_sgpr_kernarg_preload_length 0
		.amdhsa_user_sgpr_kernarg_preload_offset 0
		.amdhsa_user_sgpr_private_segment_size 0
		.amdhsa_uses_dynamic_stack 0
		.amdhsa_enable_private_segment 0
		.amdhsa_system_sgpr_workgroup_id_x 1
		.amdhsa_system_sgpr_workgroup_id_y 0
		.amdhsa_system_sgpr_workgroup_id_z 0
		.amdhsa_system_sgpr_workgroup_info 0
		.amdhsa_system_vgpr_workitem_id 0
		.amdhsa_next_free_vgpr 20
		.amdhsa_next_free_sgpr 20
		.amdhsa_accum_offset 20
		.amdhsa_reserve_vcc 1
		.amdhsa_float_round_mode_32 0
		.amdhsa_float_round_mode_16_64 0
		.amdhsa_float_denorm_mode_32 3
		.amdhsa_float_denorm_mode_16_64 3
		.amdhsa_dx10_clamp 1
		.amdhsa_ieee_mode 1
		.amdhsa_fp16_overflow 0
		.amdhsa_tg_split 0
		.amdhsa_exception_fp_ieee_invalid_op 0
		.amdhsa_exception_fp_denorm_src 0
		.amdhsa_exception_fp_ieee_div_zero 0
		.amdhsa_exception_fp_ieee_overflow 0
		.amdhsa_exception_fp_ieee_underflow 0
		.amdhsa_exception_fp_ieee_inexact 0
		.amdhsa_exception_int_div_zero 0
	.end_amdhsa_kernel
	.section	.text._ZN2at6native12_GLOBAL__N_125multi_tensor_apply_kernelINS1_18TensorListMetadataILi1EEENS0_13LpNormFunctorIN3c108BFloat16ELNS0_8NormTypeE0ES7_Li1ELi1ELi0EEEJPfiEEEvT_T0_DpT1_,"axG",@progbits,_ZN2at6native12_GLOBAL__N_125multi_tensor_apply_kernelINS1_18TensorListMetadataILi1EEENS0_13LpNormFunctorIN3c108BFloat16ELNS0_8NormTypeE0ES7_Li1ELi1ELi0EEEJPfiEEEvT_T0_DpT1_,comdat
.Lfunc_end140:
	.size	_ZN2at6native12_GLOBAL__N_125multi_tensor_apply_kernelINS1_18TensorListMetadataILi1EEENS0_13LpNormFunctorIN3c108BFloat16ELNS0_8NormTypeE0ES7_Li1ELi1ELi0EEEJPfiEEEvT_T0_DpT1_, .Lfunc_end140-_ZN2at6native12_GLOBAL__N_125multi_tensor_apply_kernelINS1_18TensorListMetadataILi1EEENS0_13LpNormFunctorIN3c108BFloat16ELNS0_8NormTypeE0ES7_Li1ELi1ELi0EEEJPfiEEEvT_T0_DpT1_
                                        ; -- End function
	.set _ZN2at6native12_GLOBAL__N_125multi_tensor_apply_kernelINS1_18TensorListMetadataILi1EEENS0_13LpNormFunctorIN3c108BFloat16ELNS0_8NormTypeE0ES7_Li1ELi1ELi0EEEJPfiEEEvT_T0_DpT1_.num_vgpr, 20
	.set _ZN2at6native12_GLOBAL__N_125multi_tensor_apply_kernelINS1_18TensorListMetadataILi1EEENS0_13LpNormFunctorIN3c108BFloat16ELNS0_8NormTypeE0ES7_Li1ELi1ELi0EEEJPfiEEEvT_T0_DpT1_.num_agpr, 0
	.set _ZN2at6native12_GLOBAL__N_125multi_tensor_apply_kernelINS1_18TensorListMetadataILi1EEENS0_13LpNormFunctorIN3c108BFloat16ELNS0_8NormTypeE0ES7_Li1ELi1ELi0EEEJPfiEEEvT_T0_DpT1_.numbered_sgpr, 20
	.set _ZN2at6native12_GLOBAL__N_125multi_tensor_apply_kernelINS1_18TensorListMetadataILi1EEENS0_13LpNormFunctorIN3c108BFloat16ELNS0_8NormTypeE0ES7_Li1ELi1ELi0EEEJPfiEEEvT_T0_DpT1_.num_named_barrier, 0
	.set _ZN2at6native12_GLOBAL__N_125multi_tensor_apply_kernelINS1_18TensorListMetadataILi1EEENS0_13LpNormFunctorIN3c108BFloat16ELNS0_8NormTypeE0ES7_Li1ELi1ELi0EEEJPfiEEEvT_T0_DpT1_.private_seg_size, 0
	.set _ZN2at6native12_GLOBAL__N_125multi_tensor_apply_kernelINS1_18TensorListMetadataILi1EEENS0_13LpNormFunctorIN3c108BFloat16ELNS0_8NormTypeE0ES7_Li1ELi1ELi0EEEJPfiEEEvT_T0_DpT1_.uses_vcc, 1
	.set _ZN2at6native12_GLOBAL__N_125multi_tensor_apply_kernelINS1_18TensorListMetadataILi1EEENS0_13LpNormFunctorIN3c108BFloat16ELNS0_8NormTypeE0ES7_Li1ELi1ELi0EEEJPfiEEEvT_T0_DpT1_.uses_flat_scratch, 0
	.set _ZN2at6native12_GLOBAL__N_125multi_tensor_apply_kernelINS1_18TensorListMetadataILi1EEENS0_13LpNormFunctorIN3c108BFloat16ELNS0_8NormTypeE0ES7_Li1ELi1ELi0EEEJPfiEEEvT_T0_DpT1_.has_dyn_sized_stack, 0
	.set _ZN2at6native12_GLOBAL__N_125multi_tensor_apply_kernelINS1_18TensorListMetadataILi1EEENS0_13LpNormFunctorIN3c108BFloat16ELNS0_8NormTypeE0ES7_Li1ELi1ELi0EEEJPfiEEEvT_T0_DpT1_.has_recursion, 0
	.set _ZN2at6native12_GLOBAL__N_125multi_tensor_apply_kernelINS1_18TensorListMetadataILi1EEENS0_13LpNormFunctorIN3c108BFloat16ELNS0_8NormTypeE0ES7_Li1ELi1ELi0EEEJPfiEEEvT_T0_DpT1_.has_indirect_call, 0
	.section	.AMDGPU.csdata,"",@progbits
; Kernel info:
; codeLenInByte = 1532
; TotalNumSgprs: 26
; NumVgprs: 20
; NumAgprs: 0
; TotalNumVgprs: 20
; ScratchSize: 0
; MemoryBound: 0
; FloatMode: 240
; IeeeMode: 1
; LDSByteSize: 2048 bytes/workgroup (compile time only)
; SGPRBlocks: 3
; VGPRBlocks: 2
; NumSGPRsForWavesPerEU: 26
; NumVGPRsForWavesPerEU: 20
; AccumOffset: 20
; Occupancy: 8
; WaveLimiterHint : 0
; COMPUTE_PGM_RSRC2:SCRATCH_EN: 0
; COMPUTE_PGM_RSRC2:USER_SGPR: 2
; COMPUTE_PGM_RSRC2:TRAP_HANDLER: 0
; COMPUTE_PGM_RSRC2:TGID_X_EN: 1
; COMPUTE_PGM_RSRC2:TGID_Y_EN: 0
; COMPUTE_PGM_RSRC2:TGID_Z_EN: 0
; COMPUTE_PGM_RSRC2:TIDIG_COMP_CNT: 0
; COMPUTE_PGM_RSRC3_GFX90A:ACCUM_OFFSET: 4
; COMPUTE_PGM_RSRC3_GFX90A:TG_SPLIT: 0
	.section	.text._ZN2at6native12_GLOBAL__N_125multi_tensor_apply_kernelINS1_18TensorListMetadataILi1EEENS0_13LpNormFunctorIN3c108BFloat16ELNS0_8NormTypeE1ES7_Li1ELi1ELi0EEEJPfiEEEvT_T0_DpT1_,"axG",@progbits,_ZN2at6native12_GLOBAL__N_125multi_tensor_apply_kernelINS1_18TensorListMetadataILi1EEENS0_13LpNormFunctorIN3c108BFloat16ELNS0_8NormTypeE1ES7_Li1ELi1ELi0EEEJPfiEEEvT_T0_DpT1_,comdat
	.globl	_ZN2at6native12_GLOBAL__N_125multi_tensor_apply_kernelINS1_18TensorListMetadataILi1EEENS0_13LpNormFunctorIN3c108BFloat16ELNS0_8NormTypeE1ES7_Li1ELi1ELi0EEEJPfiEEEvT_T0_DpT1_ ; -- Begin function _ZN2at6native12_GLOBAL__N_125multi_tensor_apply_kernelINS1_18TensorListMetadataILi1EEENS0_13LpNormFunctorIN3c108BFloat16ELNS0_8NormTypeE1ES7_Li1ELi1ELi0EEEJPfiEEEvT_T0_DpT1_
	.p2align	8
	.type	_ZN2at6native12_GLOBAL__N_125multi_tensor_apply_kernelINS1_18TensorListMetadataILi1EEENS0_13LpNormFunctorIN3c108BFloat16ELNS0_8NormTypeE1ES7_Li1ELi1ELi0EEEJPfiEEEvT_T0_DpT1_,@function
_ZN2at6native12_GLOBAL__N_125multi_tensor_apply_kernelINS1_18TensorListMetadataILi1EEENS0_13LpNormFunctorIN3c108BFloat16ELNS0_8NormTypeE1ES7_Li1ELi1ELi0EEEJPfiEEEvT_T0_DpT1_: ; @_ZN2at6native12_GLOBAL__N_125multi_tensor_apply_kernelINS1_18TensorListMetadataILi1EEENS0_13LpNormFunctorIN3c108BFloat16ELNS0_8NormTypeE1ES7_Li1ELi1ELi0EEEJPfiEEEvT_T0_DpT1_
; %bb.0:
	v_mov_b32_e32 v1, s2
	global_load_ubyte v1, v1, s[0:1] offset:1760
	s_add_u32 s3, s0, s2
	s_mul_hi_u32 s4, s2, 3
	s_mul_i32 s2, s2, 3
	s_addc_u32 s5, s1, 0
	s_add_u32 s2, s3, s2
	s_addc_u32 s3, s5, s4
	s_load_dword s4, s[2:3], 0x820
	s_mov_b32 s15, 0
	s_waitcnt vmcnt(0)
	v_readfirstlane_b32 s2, v1
	s_and_b32 s16, s2, 0xff
	s_lshl_b32 s5, s16, 3
	s_load_dwordx2 s[2:3], s[0:1], s5 offset:0x370
	s_load_dwordx2 s[6:7], s[0:1], s5 offset:0x0
	s_waitcnt lgkmcnt(0)
	s_ashr_i32 s5, s4, 31
	s_lshl_b64 s[10:11], s[4:5], 16
	s_lshl_b64 s[8:9], s[4:5], 17
	s_add_u32 s12, s6, s8
	s_addc_u32 s13, s7, s9
	s_sub_u32 s10, s2, s10
	s_subb_u32 s11, s3, s11
	s_and_b32 s14, s2, 3
	s_and_b32 s2, s12, 7
	s_mov_b32 s3, s15
	s_or_b64 s[2:3], s[14:15], s[2:3]
	s_cmp_eq_u64 s[2:3], 0
	s_cbranch_scc1 .LBB141_12
; %bb.1:
	v_cmp_lt_i64_e64 s[2:3], s[10:11], 1
	s_and_b64 vcc, exec, s[2:3]
	s_cbranch_vccnz .LBB141_13
; %bb.2:
	s_load_dword s14, s[0:1], 0xd4c
	v_mov_b64_e32 v[2:3], 0x10000
	v_cmp_lt_i64_e32 vcc, s[10:11], v[2:3]
	s_and_b64 s[2:3], vcc, exec
	v_mov_b32_e32 v7, 0
	s_cselect_b32 s3, s11, 0
	s_cselect_b32 s2, s10, 0x10000
	s_waitcnt lgkmcnt(0)
	s_and_b32 s18, s14, 0xffff
	v_mov_b32_e32 v6, v7
	v_mad_u64_u32 v[12:13], s[14:15], s18, 3, v[0:1]
	v_mov_b32_e32 v8, v7
	v_mov_b32_e32 v9, v7
	v_mov_b64_e32 v[2:3], v[6:7]
	s_mov_b32 s5, 0x10000
	s_lshl_b32 s17, s18, 2
	v_lshl_add_u32 v10, s18, 1, v0
	v_add_u32_e32 v14, s18, v0
	s_mov_b64 s[14:15], 0
	v_mov_b64_e32 v[16:17], s[2:3]
	v_mov_b64_e32 v[4:5], v[8:9]
	s_branch .LBB141_4
.LBB141_3:                              ;   in Loop: Header=BB141_4 Depth=1
	s_or_b64 exec, exec, s[2:3]
	s_add_u32 s14, s14, s17
	s_addc_u32 s15, s15, 0
	v_cmp_lt_i64_e32 vcc, s[14:15], v[16:17]
	s_cbranch_vccz .LBB141_14
.LBB141_4:                              ; =>This Inner Loop Header: Depth=1
	v_add_u32_e32 v6, s14, v0
	v_cmp_gt_i64_e32 vcc, s[10:11], v[6:7]
	v_cmp_gt_u32_e64 s[2:3], s5, v6
	s_and_b64 s[18:19], s[2:3], vcc
	s_and_saveexec_b64 s[2:3], s[18:19]
	s_cbranch_execz .LBB141_6
; %bb.5:                                ;   in Loop: Header=BB141_4 Depth=1
	v_lshl_add_u64 v[8:9], v[6:7], 1, s[12:13]
	global_load_ushort v1, v[8:9], off
	s_waitcnt vmcnt(0)
	v_lshlrev_b32_e32 v1, 16, v1
	v_add_f32_e64 v2, v2, |v1|
.LBB141_6:                              ;   in Loop: Header=BB141_4 Depth=1
	s_or_b64 exec, exec, s[2:3]
	v_add_u32_e32 v6, s14, v14
	v_cmp_gt_i64_e32 vcc, s[10:11], v[6:7]
	v_cmp_gt_u32_e64 s[2:3], s5, v6
	s_and_b64 s[18:19], s[2:3], vcc
	s_and_saveexec_b64 s[2:3], s[18:19]
	s_cbranch_execz .LBB141_8
; %bb.7:                                ;   in Loop: Header=BB141_4 Depth=1
	v_lshl_add_u64 v[8:9], v[6:7], 1, s[12:13]
	global_load_ushort v1, v[8:9], off
	s_waitcnt vmcnt(0)
	v_lshlrev_b32_e32 v1, 16, v1
	v_add_f32_e64 v3, v3, |v1|
.LBB141_8:                              ;   in Loop: Header=BB141_4 Depth=1
	s_or_b64 exec, exec, s[2:3]
	v_add_u32_e32 v6, s14, v10
	v_cmp_gt_i64_e32 vcc, s[10:11], v[6:7]
	v_cmp_gt_u32_e64 s[2:3], s5, v6
	s_and_b64 s[18:19], s[2:3], vcc
	s_and_saveexec_b64 s[2:3], s[18:19]
	s_cbranch_execz .LBB141_10
; %bb.9:                                ;   in Loop: Header=BB141_4 Depth=1
	v_lshl_add_u64 v[8:9], v[6:7], 1, s[12:13]
	global_load_ushort v1, v[8:9], off
	s_waitcnt vmcnt(0)
	v_lshlrev_b32_e32 v1, 16, v1
	v_add_f32_e64 v4, v4, |v1|
.LBB141_10:                             ;   in Loop: Header=BB141_4 Depth=1
	s_or_b64 exec, exec, s[2:3]
	v_add_u32_e32 v6, s14, v12
	v_cmp_gt_i64_e32 vcc, s[10:11], v[6:7]
	v_cmp_gt_u32_e64 s[2:3], s5, v6
	s_and_b64 s[18:19], s[2:3], vcc
	s_and_saveexec_b64 s[2:3], s[18:19]
	s_cbranch_execz .LBB141_3
; %bb.11:                               ;   in Loop: Header=BB141_4 Depth=1
	v_lshl_add_u64 v[8:9], v[6:7], 1, s[12:13]
	global_load_ushort v1, v[8:9], off
	s_waitcnt vmcnt(0)
	v_lshlrev_b32_e32 v1, 16, v1
	v_add_f32_e64 v5, v5, |v1|
	s_branch .LBB141_3
.LBB141_12:
                                        ; implicit-def: $vgpr2_vgpr3_vgpr4_vgpr5
	s_branch .LBB141_15
.LBB141_13:
	v_mov_b32_e32 v2, 0
	v_mov_b32_e32 v3, v2
	;; [unrolled: 1-line block ×4, first 2 shown]
.LBB141_14:
	s_cbranch_execnz .LBB141_20
.LBB141_15:
	v_mov_b64_e32 v[4:5], 0x10000
	v_cmp_lt_i64_e32 vcc, s[10:11], v[4:5]
	v_mov_b32_e32 v2, 0
	s_and_b64 s[2:3], vcc, exec
	s_cselect_b32 s3, s11, 0
	s_cselect_b32 s2, s10, 0x10000
	v_lshlrev_b32_e32 v4, 2, v0
	v_mov_b32_e32 v5, v2
	v_cmp_gt_i64_e32 vcc, s[2:3], v[4:5]
	s_mov_b32 s13, 0
	v_mov_b32_e32 v3, v2
	v_mov_b32_e32 v4, v2
	s_and_saveexec_b64 s[10:11], vcc
	s_cbranch_execz .LBB141_19
; %bb.16:
	s_load_dword s5, s[0:1], 0xd4c
	v_mov_b32_e32 v1, v2
	v_lshlrev_b32_e32 v4, 3, v0
	v_mov_b32_e32 v5, v2
	v_mov_b64_e32 v[8:9], v[0:1]
	s_waitcnt lgkmcnt(0)
	s_and_b32 s12, s5, 0xffff
	s_add_u32 s8, s6, s8
	s_addc_u32 s9, s7, s9
	s_lshl_b32 s6, s12, 3
	v_lshl_add_u64 v[6:7], s[8:9], 0, v[4:5]
	s_mov_b32 s7, s13
	s_mov_b64 s[8:9], 0
	v_mov_b32_e32 v3, v2
	v_mov_b32_e32 v4, v2
.LBB141_17:                             ; =>This Inner Loop Header: Depth=1
	global_load_dwordx2 v[10:11], v[6:7], off
	v_lshl_add_u64 v[8:9], v[8:9], 0, s[12:13]
	v_lshlrev_b64 v[12:13], 2, v[8:9]
	v_cmp_le_i64_e32 vcc, s[2:3], v[12:13]
	v_lshl_add_u64 v[6:7], v[6:7], 0, s[6:7]
	s_or_b64 s[8:9], vcc, s[8:9]
	s_waitcnt vmcnt(0)
	v_and_b32_e32 v1, 0xffff0000, v10
	v_lshlrev_b32_e32 v12, 16, v10
	v_alignbit_b32 v10, v11, v10, 16
	v_and_b32_e32 v11, 0xffff0000, v11
	v_and_b32_e32 v10, 0xffff0000, v10
	;; [unrolled: 1-line block ×6, first 2 shown]
	v_pk_add_f32 v[2:3], v[2:3], v[12:13]
	v_pk_add_f32 v[4:5], v[4:5], v[10:11]
	s_andn2_b64 exec, exec, s[8:9]
	s_cbranch_execnz .LBB141_17
; %bb.18:
	s_or_b64 exec, exec, s[8:9]
.LBB141_19:
	s_or_b64 exec, exec, s[10:11]
.LBB141_20:
	v_add_f32_e32 v1, 0, v2
	v_add_f32_e32 v1, v3, v1
	;; [unrolled: 1-line block ×4, first 2 shown]
	v_mbcnt_lo_u32_b32 v1, -1, 0
	v_mbcnt_hi_u32_b32 v6, -1, v1
	v_mov_b32_e32 v1, 0x80
	v_lshl_or_b32 v1, v6, 2, v1
	ds_bpermute_b32 v3, v1, v2
	v_and_b32_e32 v9, 63, v6
	v_cmp_gt_u32_e32 vcc, 48, v9
	s_waitcnt lgkmcnt(0)
	s_barrier
	v_add_f32_e32 v3, v2, v3
	v_cndmask_b32_e64 v2, 0, 16, vcc
	v_add_lshl_u32 v2, v2, v6, 2
	ds_bpermute_b32 v4, v2, v3
	v_cmp_gt_u32_e32 vcc, 56, v9
	s_waitcnt lgkmcnt(0)
	v_add_f32_e32 v4, v3, v4
	v_cndmask_b32_e64 v3, 0, 8, vcc
	v_add_lshl_u32 v3, v3, v6, 2
	ds_bpermute_b32 v5, v3, v4
	v_cmp_gt_u32_e32 vcc, 60, v9
	s_waitcnt lgkmcnt(0)
	v_add_f32_e32 v5, v4, v5
	v_cndmask_b32_e64 v4, 0, 4, vcc
	v_add_lshl_u32 v4, v4, v6, 2
	ds_bpermute_b32 v7, v4, v5
	v_cmp_gt_u32_e32 vcc, 62, v9
	s_waitcnt lgkmcnt(0)
	v_add_f32_e32 v7, v5, v7
	v_cndmask_b32_e64 v8, 0, 2, vcc
	v_add_lshl_u32 v5, v8, v6, 2
	ds_bpermute_b32 v10, v5, v7
	v_cmp_ne_u32_e32 vcc, 63, v9
	v_and_b32_e32 v8, 63, v0
	s_waitcnt lgkmcnt(0)
	v_add_f32_e32 v7, v7, v10
	v_addc_co_u32_e32 v6, vcc, 0, v6, vcc
	v_lshlrev_b32_e32 v6, 2, v6
	ds_bpermute_b32 v9, v6, v7
	v_cmp_eq_u32_e32 vcc, 0, v8
	s_and_saveexec_b64 s[2:3], vcc
	s_cbranch_execz .LBB141_22
; %bb.21:
	v_lshrrev_b32_e32 v10, 4, v0
	s_waitcnt lgkmcnt(0)
	v_add_f32_e32 v7, v7, v9
	ds_write_b32 v10, v7
.LBB141_22:
	s_or_b64 exec, exec, s[2:3]
	s_waitcnt lgkmcnt(0)
	s_barrier
	s_load_dword s2, s[0:1], 0xd4c
	v_mov_b32_e32 v7, 0
	s_waitcnt lgkmcnt(0)
	s_bfe_u32 s2, s2, 0xa0006
	v_cmp_gt_u32_e32 vcc, s2, v0
	s_and_saveexec_b64 s[2:3], vcc
	s_cbranch_execnz .LBB141_26
; %bb.23:
	s_or_b64 exec, exec, s[2:3]
	v_cmp_gt_u32_e32 vcc, 64, v0
	s_and_saveexec_b64 s[2:3], vcc
	s_cbranch_execnz .LBB141_27
.LBB141_24:
	s_or_b64 exec, exec, s[2:3]
	v_cmp_eq_u32_e32 vcc, 0, v0
	s_and_saveexec_b64 s[2:3], vcc
	s_cbranch_execnz .LBB141_28
.LBB141_25:
	s_endpgm
.LBB141_26:
	v_lshlrev_b32_e32 v7, 2, v8
	ds_read_b32 v7, v7
	s_or_b64 exec, exec, s[2:3]
	v_cmp_gt_u32_e32 vcc, 64, v0
	s_and_saveexec_b64 s[2:3], vcc
	s_cbranch_execz .LBB141_24
.LBB141_27:
	s_waitcnt lgkmcnt(0)
	ds_bpermute_b32 v1, v1, v7
	s_waitcnt lgkmcnt(0)
	v_add_f32_e32 v1, v7, v1
	ds_bpermute_b32 v2, v2, v1
	s_waitcnt lgkmcnt(0)
	v_add_f32_e32 v1, v1, v2
	;; [unrolled: 3-line block ×6, first 2 shown]
	s_or_b64 exec, exec, s[2:3]
	v_cmp_eq_u32_e32 vcc, 0, v0
	s_and_saveexec_b64 s[2:3], vcc
	s_cbranch_execz .LBB141_25
.LBB141_28:
	s_load_dword s5, s[0:1], 0xd20
	s_load_dword s6, s[0:1], 0xd38
	s_load_dwordx2 s[2:3], s[0:1], 0xd30
	v_mov_b32_e32 v0, 0
	s_waitcnt lgkmcnt(0)
	s_add_i32 s0, s5, s16
	s_mul_i32 s0, s0, s6
	s_add_i32 s0, s0, s4
	s_ashr_i32 s1, s0, 31
	s_lshl_b64 s[0:1], s[0:1], 2
	s_add_u32 s0, s2, s0
	s_addc_u32 s1, s3, s1
	global_store_dword v0, v7, s[0:1]
	s_endpgm
	.section	.rodata,"a",@progbits
	.p2align	6, 0x0
	.amdhsa_kernel _ZN2at6native12_GLOBAL__N_125multi_tensor_apply_kernelINS1_18TensorListMetadataILi1EEENS0_13LpNormFunctorIN3c108BFloat16ELNS0_8NormTypeE1ES7_Li1ELi1ELi0EEEJPfiEEEvT_T0_DpT1_
		.amdhsa_group_segment_fixed_size 2048
		.amdhsa_private_segment_fixed_size 0
		.amdhsa_kernarg_size 3648
		.amdhsa_user_sgpr_count 2
		.amdhsa_user_sgpr_dispatch_ptr 0
		.amdhsa_user_sgpr_queue_ptr 0
		.amdhsa_user_sgpr_kernarg_segment_ptr 1
		.amdhsa_user_sgpr_dispatch_id 0
		.amdhsa_user_sgpr_kernarg_preload_length 0
		.amdhsa_user_sgpr_kernarg_preload_offset 0
		.amdhsa_user_sgpr_private_segment_size 0
		.amdhsa_uses_dynamic_stack 0
		.amdhsa_enable_private_segment 0
		.amdhsa_system_sgpr_workgroup_id_x 1
		.amdhsa_system_sgpr_workgroup_id_y 0
		.amdhsa_system_sgpr_workgroup_id_z 0
		.amdhsa_system_sgpr_workgroup_info 0
		.amdhsa_system_vgpr_workitem_id 0
		.amdhsa_next_free_vgpr 18
		.amdhsa_next_free_sgpr 20
		.amdhsa_accum_offset 20
		.amdhsa_reserve_vcc 1
		.amdhsa_float_round_mode_32 0
		.amdhsa_float_round_mode_16_64 0
		.amdhsa_float_denorm_mode_32 3
		.amdhsa_float_denorm_mode_16_64 3
		.amdhsa_dx10_clamp 1
		.amdhsa_ieee_mode 1
		.amdhsa_fp16_overflow 0
		.amdhsa_tg_split 0
		.amdhsa_exception_fp_ieee_invalid_op 0
		.amdhsa_exception_fp_denorm_src 0
		.amdhsa_exception_fp_ieee_div_zero 0
		.amdhsa_exception_fp_ieee_overflow 0
		.amdhsa_exception_fp_ieee_underflow 0
		.amdhsa_exception_fp_ieee_inexact 0
		.amdhsa_exception_int_div_zero 0
	.end_amdhsa_kernel
	.section	.text._ZN2at6native12_GLOBAL__N_125multi_tensor_apply_kernelINS1_18TensorListMetadataILi1EEENS0_13LpNormFunctorIN3c108BFloat16ELNS0_8NormTypeE1ES7_Li1ELi1ELi0EEEJPfiEEEvT_T0_DpT1_,"axG",@progbits,_ZN2at6native12_GLOBAL__N_125multi_tensor_apply_kernelINS1_18TensorListMetadataILi1EEENS0_13LpNormFunctorIN3c108BFloat16ELNS0_8NormTypeE1ES7_Li1ELi1ELi0EEEJPfiEEEvT_T0_DpT1_,comdat
.Lfunc_end141:
	.size	_ZN2at6native12_GLOBAL__N_125multi_tensor_apply_kernelINS1_18TensorListMetadataILi1EEENS0_13LpNormFunctorIN3c108BFloat16ELNS0_8NormTypeE1ES7_Li1ELi1ELi0EEEJPfiEEEvT_T0_DpT1_, .Lfunc_end141-_ZN2at6native12_GLOBAL__N_125multi_tensor_apply_kernelINS1_18TensorListMetadataILi1EEENS0_13LpNormFunctorIN3c108BFloat16ELNS0_8NormTypeE1ES7_Li1ELi1ELi0EEEJPfiEEEvT_T0_DpT1_
                                        ; -- End function
	.set _ZN2at6native12_GLOBAL__N_125multi_tensor_apply_kernelINS1_18TensorListMetadataILi1EEENS0_13LpNormFunctorIN3c108BFloat16ELNS0_8NormTypeE1ES7_Li1ELi1ELi0EEEJPfiEEEvT_T0_DpT1_.num_vgpr, 18
	.set _ZN2at6native12_GLOBAL__N_125multi_tensor_apply_kernelINS1_18TensorListMetadataILi1EEENS0_13LpNormFunctorIN3c108BFloat16ELNS0_8NormTypeE1ES7_Li1ELi1ELi0EEEJPfiEEEvT_T0_DpT1_.num_agpr, 0
	.set _ZN2at6native12_GLOBAL__N_125multi_tensor_apply_kernelINS1_18TensorListMetadataILi1EEENS0_13LpNormFunctorIN3c108BFloat16ELNS0_8NormTypeE1ES7_Li1ELi1ELi0EEEJPfiEEEvT_T0_DpT1_.numbered_sgpr, 20
	.set _ZN2at6native12_GLOBAL__N_125multi_tensor_apply_kernelINS1_18TensorListMetadataILi1EEENS0_13LpNormFunctorIN3c108BFloat16ELNS0_8NormTypeE1ES7_Li1ELi1ELi0EEEJPfiEEEvT_T0_DpT1_.num_named_barrier, 0
	.set _ZN2at6native12_GLOBAL__N_125multi_tensor_apply_kernelINS1_18TensorListMetadataILi1EEENS0_13LpNormFunctorIN3c108BFloat16ELNS0_8NormTypeE1ES7_Li1ELi1ELi0EEEJPfiEEEvT_T0_DpT1_.private_seg_size, 0
	.set _ZN2at6native12_GLOBAL__N_125multi_tensor_apply_kernelINS1_18TensorListMetadataILi1EEENS0_13LpNormFunctorIN3c108BFloat16ELNS0_8NormTypeE1ES7_Li1ELi1ELi0EEEJPfiEEEvT_T0_DpT1_.uses_vcc, 1
	.set _ZN2at6native12_GLOBAL__N_125multi_tensor_apply_kernelINS1_18TensorListMetadataILi1EEENS0_13LpNormFunctorIN3c108BFloat16ELNS0_8NormTypeE1ES7_Li1ELi1ELi0EEEJPfiEEEvT_T0_DpT1_.uses_flat_scratch, 0
	.set _ZN2at6native12_GLOBAL__N_125multi_tensor_apply_kernelINS1_18TensorListMetadataILi1EEENS0_13LpNormFunctorIN3c108BFloat16ELNS0_8NormTypeE1ES7_Li1ELi1ELi0EEEJPfiEEEvT_T0_DpT1_.has_dyn_sized_stack, 0
	.set _ZN2at6native12_GLOBAL__N_125multi_tensor_apply_kernelINS1_18TensorListMetadataILi1EEENS0_13LpNormFunctorIN3c108BFloat16ELNS0_8NormTypeE1ES7_Li1ELi1ELi0EEEJPfiEEEvT_T0_DpT1_.has_recursion, 0
	.set _ZN2at6native12_GLOBAL__N_125multi_tensor_apply_kernelINS1_18TensorListMetadataILi1EEENS0_13LpNormFunctorIN3c108BFloat16ELNS0_8NormTypeE1ES7_Li1ELi1ELi0EEEJPfiEEEvT_T0_DpT1_.has_indirect_call, 0
	.section	.AMDGPU.csdata,"",@progbits
; Kernel info:
; codeLenInByte = 1424
; TotalNumSgprs: 26
; NumVgprs: 18
; NumAgprs: 0
; TotalNumVgprs: 18
; ScratchSize: 0
; MemoryBound: 0
; FloatMode: 240
; IeeeMode: 1
; LDSByteSize: 2048 bytes/workgroup (compile time only)
; SGPRBlocks: 3
; VGPRBlocks: 2
; NumSGPRsForWavesPerEU: 26
; NumVGPRsForWavesPerEU: 18
; AccumOffset: 20
; Occupancy: 8
; WaveLimiterHint : 0
; COMPUTE_PGM_RSRC2:SCRATCH_EN: 0
; COMPUTE_PGM_RSRC2:USER_SGPR: 2
; COMPUTE_PGM_RSRC2:TRAP_HANDLER: 0
; COMPUTE_PGM_RSRC2:TGID_X_EN: 1
; COMPUTE_PGM_RSRC2:TGID_Y_EN: 0
; COMPUTE_PGM_RSRC2:TGID_Z_EN: 0
; COMPUTE_PGM_RSRC2:TIDIG_COMP_CNT: 0
; COMPUTE_PGM_RSRC3_GFX90A:ACCUM_OFFSET: 4
; COMPUTE_PGM_RSRC3_GFX90A:TG_SPLIT: 0
	.section	.text._ZN2at6native12_GLOBAL__N_125multi_tensor_apply_kernelINS1_18TensorListMetadataILi1EEENS0_13LpNormFunctorIN3c108BFloat16ELNS0_8NormTypeE2ES7_Li1ELi1ELi0EEEJPfiEEEvT_T0_DpT1_,"axG",@progbits,_ZN2at6native12_GLOBAL__N_125multi_tensor_apply_kernelINS1_18TensorListMetadataILi1EEENS0_13LpNormFunctorIN3c108BFloat16ELNS0_8NormTypeE2ES7_Li1ELi1ELi0EEEJPfiEEEvT_T0_DpT1_,comdat
	.globl	_ZN2at6native12_GLOBAL__N_125multi_tensor_apply_kernelINS1_18TensorListMetadataILi1EEENS0_13LpNormFunctorIN3c108BFloat16ELNS0_8NormTypeE2ES7_Li1ELi1ELi0EEEJPfiEEEvT_T0_DpT1_ ; -- Begin function _ZN2at6native12_GLOBAL__N_125multi_tensor_apply_kernelINS1_18TensorListMetadataILi1EEENS0_13LpNormFunctorIN3c108BFloat16ELNS0_8NormTypeE2ES7_Li1ELi1ELi0EEEJPfiEEEvT_T0_DpT1_
	.p2align	8
	.type	_ZN2at6native12_GLOBAL__N_125multi_tensor_apply_kernelINS1_18TensorListMetadataILi1EEENS0_13LpNormFunctorIN3c108BFloat16ELNS0_8NormTypeE2ES7_Li1ELi1ELi0EEEJPfiEEEvT_T0_DpT1_,@function
_ZN2at6native12_GLOBAL__N_125multi_tensor_apply_kernelINS1_18TensorListMetadataILi1EEENS0_13LpNormFunctorIN3c108BFloat16ELNS0_8NormTypeE2ES7_Li1ELi1ELi0EEEJPfiEEEvT_T0_DpT1_: ; @_ZN2at6native12_GLOBAL__N_125multi_tensor_apply_kernelINS1_18TensorListMetadataILi1EEENS0_13LpNormFunctorIN3c108BFloat16ELNS0_8NormTypeE2ES7_Li1ELi1ELi0EEEJPfiEEEvT_T0_DpT1_
; %bb.0:
	v_mov_b32_e32 v1, s2
	global_load_ubyte v1, v1, s[0:1] offset:1760
	s_add_u32 s3, s0, s2
	s_mul_hi_u32 s4, s2, 3
	s_mul_i32 s2, s2, 3
	s_addc_u32 s5, s1, 0
	s_add_u32 s2, s3, s2
	s_addc_u32 s3, s5, s4
	s_load_dword s4, s[2:3], 0x820
	s_mov_b32 s15, 0
	s_waitcnt vmcnt(0)
	v_readfirstlane_b32 s2, v1
	s_and_b32 s16, s2, 0xff
	s_lshl_b32 s5, s16, 3
	s_load_dwordx2 s[2:3], s[0:1], s5 offset:0x370
	s_load_dwordx2 s[6:7], s[0:1], s5 offset:0x0
	s_waitcnt lgkmcnt(0)
	s_ashr_i32 s5, s4, 31
	s_lshl_b64 s[10:11], s[4:5], 16
	s_lshl_b64 s[8:9], s[4:5], 17
	s_add_u32 s12, s6, s8
	s_addc_u32 s13, s7, s9
	s_sub_u32 s10, s2, s10
	s_subb_u32 s11, s3, s11
	s_and_b32 s14, s2, 3
	s_and_b32 s2, s12, 7
	s_mov_b32 s3, s15
	s_or_b64 s[2:3], s[14:15], s[2:3]
	s_cmp_eq_u64 s[2:3], 0
	s_cbranch_scc1 .LBB142_12
; %bb.1:
	v_cmp_lt_i64_e64 s[2:3], s[10:11], 1
	s_and_b64 vcc, exec, s[2:3]
	s_cbranch_vccnz .LBB142_13
; %bb.2:
	s_load_dword s14, s[0:1], 0xd4c
	v_mov_b64_e32 v[2:3], 0x10000
	v_cmp_lt_i64_e32 vcc, s[10:11], v[2:3]
	s_and_b64 s[2:3], vcc, exec
	v_mov_b32_e32 v7, 0
	s_cselect_b32 s3, s11, 0
	s_cselect_b32 s2, s10, 0x10000
	s_waitcnt lgkmcnt(0)
	s_and_b32 s18, s14, 0xffff
	v_mov_b32_e32 v6, v7
	v_mad_u64_u32 v[12:13], s[14:15], s18, 3, v[0:1]
	v_mov_b32_e32 v8, v7
	v_mov_b32_e32 v9, v7
	v_mov_b64_e32 v[2:3], v[6:7]
	s_mov_b32 s5, 0x10000
	s_lshl_b32 s17, s18, 2
	v_lshl_add_u32 v10, s18, 1, v0
	v_add_u32_e32 v14, s18, v0
	s_mov_b64 s[14:15], 0
	v_mov_b64_e32 v[16:17], s[2:3]
	v_mov_b64_e32 v[4:5], v[8:9]
	s_branch .LBB142_4
.LBB142_3:                              ;   in Loop: Header=BB142_4 Depth=1
	s_or_b64 exec, exec, s[2:3]
	s_add_u32 s14, s14, s17
	s_addc_u32 s15, s15, 0
	v_cmp_lt_i64_e32 vcc, s[14:15], v[16:17]
	s_cbranch_vccz .LBB142_14
.LBB142_4:                              ; =>This Inner Loop Header: Depth=1
	v_add_u32_e32 v6, s14, v0
	v_cmp_gt_i64_e32 vcc, s[10:11], v[6:7]
	v_cmp_gt_u32_e64 s[2:3], s5, v6
	s_and_b64 s[18:19], s[2:3], vcc
	s_and_saveexec_b64 s[2:3], s[18:19]
	s_cbranch_execz .LBB142_6
; %bb.5:                                ;   in Loop: Header=BB142_4 Depth=1
	v_lshl_add_u64 v[8:9], v[6:7], 1, s[12:13]
	global_load_ushort v1, v[8:9], off
	s_waitcnt vmcnt(0)
	v_lshlrev_b32_e32 v1, 16, v1
	v_fma_f32 v2, v1, v1, v2
.LBB142_6:                              ;   in Loop: Header=BB142_4 Depth=1
	s_or_b64 exec, exec, s[2:3]
	v_add_u32_e32 v6, s14, v14
	v_cmp_gt_i64_e32 vcc, s[10:11], v[6:7]
	v_cmp_gt_u32_e64 s[2:3], s5, v6
	s_and_b64 s[18:19], s[2:3], vcc
	s_and_saveexec_b64 s[2:3], s[18:19]
	s_cbranch_execz .LBB142_8
; %bb.7:                                ;   in Loop: Header=BB142_4 Depth=1
	v_lshl_add_u64 v[8:9], v[6:7], 1, s[12:13]
	global_load_ushort v1, v[8:9], off
	s_waitcnt vmcnt(0)
	v_lshlrev_b32_e32 v1, 16, v1
	v_fma_f32 v3, v1, v1, v3
.LBB142_8:                              ;   in Loop: Header=BB142_4 Depth=1
	s_or_b64 exec, exec, s[2:3]
	v_add_u32_e32 v6, s14, v10
	v_cmp_gt_i64_e32 vcc, s[10:11], v[6:7]
	v_cmp_gt_u32_e64 s[2:3], s5, v6
	s_and_b64 s[18:19], s[2:3], vcc
	s_and_saveexec_b64 s[2:3], s[18:19]
	s_cbranch_execz .LBB142_10
; %bb.9:                                ;   in Loop: Header=BB142_4 Depth=1
	v_lshl_add_u64 v[8:9], v[6:7], 1, s[12:13]
	global_load_ushort v1, v[8:9], off
	s_waitcnt vmcnt(0)
	v_lshlrev_b32_e32 v1, 16, v1
	v_fma_f32 v4, v1, v1, v4
.LBB142_10:                             ;   in Loop: Header=BB142_4 Depth=1
	s_or_b64 exec, exec, s[2:3]
	v_add_u32_e32 v6, s14, v12
	v_cmp_gt_i64_e32 vcc, s[10:11], v[6:7]
	v_cmp_gt_u32_e64 s[2:3], s5, v6
	s_and_b64 s[18:19], s[2:3], vcc
	s_and_saveexec_b64 s[2:3], s[18:19]
	s_cbranch_execz .LBB142_3
; %bb.11:                               ;   in Loop: Header=BB142_4 Depth=1
	v_lshl_add_u64 v[8:9], v[6:7], 1, s[12:13]
	global_load_ushort v1, v[8:9], off
	s_waitcnt vmcnt(0)
	v_lshlrev_b32_e32 v1, 16, v1
	v_fma_f32 v5, v1, v1, v5
	s_branch .LBB142_3
.LBB142_12:
                                        ; implicit-def: $vgpr2_vgpr3_vgpr4_vgpr5
	s_branch .LBB142_15
.LBB142_13:
	v_mov_b32_e32 v2, 0
	v_mov_b32_e32 v3, v2
	;; [unrolled: 1-line block ×4, first 2 shown]
.LBB142_14:
	s_cbranch_execnz .LBB142_20
.LBB142_15:
	v_mov_b64_e32 v[4:5], 0x10000
	v_cmp_lt_i64_e32 vcc, s[10:11], v[4:5]
	s_and_b64 s[2:3], vcc, exec
	v_mov_b32_e32 v3, 0
	s_cselect_b32 s3, s11, 0
	s_cselect_b32 s2, s10, 0x10000
	v_lshlrev_b32_e32 v2, 2, v0
	v_cmp_gt_i64_e32 vcc, s[2:3], v[2:3]
	s_mov_b32 s13, 0
	v_mov_b32_e32 v2, v3
	v_mov_b32_e32 v4, v3
	;; [unrolled: 1-line block ×3, first 2 shown]
	s_and_saveexec_b64 s[10:11], vcc
	s_cbranch_execz .LBB142_19
; %bb.16:
	s_load_dword s5, s[0:1], 0xd4c
	v_mov_b32_e32 v1, v3
	v_lshlrev_b32_e32 v2, 3, v0
	s_mov_b32 s15, s13
	v_mov_b64_e32 v[10:11], v[0:1]
	s_waitcnt lgkmcnt(0)
	s_and_b32 s12, s5, 0xffff
	s_add_u32 s6, s6, s8
	s_addc_u32 s7, s7, s9
	s_lshl_b32 s14, s12, 3
	v_lshl_add_u64 v[8:9], s[6:7], 0, v[2:3]
	s_mov_b64 s[6:7], 0
	v_mov_b32_e32 v5, 0
	v_mov_b32_e32 v6, 0
	;; [unrolled: 1-line block ×3, first 2 shown]
.LBB142_17:                             ; =>This Inner Loop Header: Depth=1
	global_load_dwordx2 v[12:13], v[8:9], off
	v_lshl_add_u64 v[10:11], v[10:11], 0, s[12:13]
	v_lshlrev_b64 v[14:15], 2, v[10:11]
	v_cmp_le_i64_e32 vcc, s[2:3], v[14:15]
	v_lshl_add_u64 v[8:9], v[8:9], 0, s[14:15]
	s_or_b64 s[6:7], vcc, s[6:7]
	s_waitcnt vmcnt(0)
	v_and_b32_e32 v1, 0xffff0000, v12
	v_alignbit_b32 v4, v13, v12, 16
	v_lshlrev_b32_e32 v2, 16, v12
	v_and_b32_e32 v12, 0xffff0000, v13
	v_fmac_f32_e32 v5, v1, v1
	v_and_b32_e32 v1, 0xffff0000, v4
	v_fmac_f32_e32 v3, v2, v2
	v_fmac_f32_e32 v7, v12, v12
	;; [unrolled: 1-line block ×3, first 2 shown]
	s_andn2_b64 exec, exec, s[6:7]
	s_cbranch_execnz .LBB142_17
; %bb.18:
	s_or_b64 exec, exec, s[6:7]
	v_mov_b32_e32 v4, v3
	v_mov_b64_e32 v[2:3], v[4:5]
	v_mov_b64_e32 v[4:5], v[6:7]
.LBB142_19:
	s_or_b64 exec, exec, s[10:11]
.LBB142_20:
	v_add_f32_e32 v1, 0, v2
	v_add_f32_e32 v1, v3, v1
	;; [unrolled: 1-line block ×4, first 2 shown]
	v_mbcnt_lo_u32_b32 v1, -1, 0
	v_mbcnt_hi_u32_b32 v6, -1, v1
	v_mov_b32_e32 v1, 0x80
	v_lshl_or_b32 v1, v6, 2, v1
	ds_bpermute_b32 v3, v1, v2
	v_and_b32_e32 v9, 63, v6
	v_cmp_gt_u32_e32 vcc, 48, v9
	s_waitcnt lgkmcnt(0)
	s_barrier
	v_add_f32_e32 v3, v2, v3
	v_cndmask_b32_e64 v2, 0, 16, vcc
	v_add_lshl_u32 v2, v2, v6, 2
	ds_bpermute_b32 v4, v2, v3
	v_cmp_gt_u32_e32 vcc, 56, v9
	s_waitcnt lgkmcnt(0)
	v_add_f32_e32 v4, v3, v4
	v_cndmask_b32_e64 v3, 0, 8, vcc
	v_add_lshl_u32 v3, v3, v6, 2
	ds_bpermute_b32 v5, v3, v4
	v_cmp_gt_u32_e32 vcc, 60, v9
	s_waitcnt lgkmcnt(0)
	;; [unrolled: 6-line block ×3, first 2 shown]
	v_add_f32_e32 v7, v5, v7
	v_cndmask_b32_e64 v8, 0, 2, vcc
	v_add_lshl_u32 v5, v8, v6, 2
	ds_bpermute_b32 v10, v5, v7
	v_cmp_ne_u32_e32 vcc, 63, v9
	v_and_b32_e32 v8, 63, v0
	s_waitcnt lgkmcnt(0)
	v_add_f32_e32 v7, v7, v10
	v_addc_co_u32_e32 v6, vcc, 0, v6, vcc
	v_lshlrev_b32_e32 v6, 2, v6
	ds_bpermute_b32 v9, v6, v7
	v_cmp_eq_u32_e32 vcc, 0, v8
	s_and_saveexec_b64 s[2:3], vcc
	s_cbranch_execz .LBB142_22
; %bb.21:
	v_lshrrev_b32_e32 v10, 4, v0
	s_waitcnt lgkmcnt(0)
	v_add_f32_e32 v7, v7, v9
	ds_write_b32 v10, v7
.LBB142_22:
	s_or_b64 exec, exec, s[2:3]
	s_waitcnt lgkmcnt(0)
	s_barrier
	s_load_dword s2, s[0:1], 0xd4c
	v_mov_b32_e32 v7, 0
	s_waitcnt lgkmcnt(0)
	s_bfe_u32 s2, s2, 0xa0006
	v_cmp_gt_u32_e32 vcc, s2, v0
	s_and_saveexec_b64 s[2:3], vcc
	s_cbranch_execnz .LBB142_26
; %bb.23:
	s_or_b64 exec, exec, s[2:3]
	v_cmp_gt_u32_e32 vcc, 64, v0
	s_and_saveexec_b64 s[2:3], vcc
	s_cbranch_execnz .LBB142_27
.LBB142_24:
	s_or_b64 exec, exec, s[2:3]
	v_cmp_eq_u32_e32 vcc, 0, v0
	s_and_saveexec_b64 s[2:3], vcc
	s_cbranch_execnz .LBB142_28
.LBB142_25:
	s_endpgm
.LBB142_26:
	v_lshlrev_b32_e32 v7, 2, v8
	ds_read_b32 v7, v7
	s_or_b64 exec, exec, s[2:3]
	v_cmp_gt_u32_e32 vcc, 64, v0
	s_and_saveexec_b64 s[2:3], vcc
	s_cbranch_execz .LBB142_24
.LBB142_27:
	s_waitcnt lgkmcnt(0)
	ds_bpermute_b32 v1, v1, v7
	s_waitcnt lgkmcnt(0)
	v_add_f32_e32 v1, v7, v1
	ds_bpermute_b32 v2, v2, v1
	s_waitcnt lgkmcnt(0)
	v_add_f32_e32 v1, v1, v2
	;; [unrolled: 3-line block ×6, first 2 shown]
	s_or_b64 exec, exec, s[2:3]
	v_cmp_eq_u32_e32 vcc, 0, v0
	s_and_saveexec_b64 s[2:3], vcc
	s_cbranch_execz .LBB142_25
.LBB142_28:
	s_load_dword s5, s[0:1], 0xd20
	s_load_dword s6, s[0:1], 0xd38
	s_load_dwordx2 s[2:3], s[0:1], 0xd30
	v_mov_b32_e32 v0, 0
	s_waitcnt lgkmcnt(0)
	s_add_i32 s0, s5, s16
	s_mul_i32 s0, s0, s6
	s_add_i32 s0, s0, s4
	s_ashr_i32 s1, s0, 31
	s_lshl_b64 s[0:1], s[0:1], 2
	s_add_u32 s0, s2, s0
	s_addc_u32 s1, s3, s1
	global_store_dword v0, v7, s[0:1]
	s_endpgm
	.section	.rodata,"a",@progbits
	.p2align	6, 0x0
	.amdhsa_kernel _ZN2at6native12_GLOBAL__N_125multi_tensor_apply_kernelINS1_18TensorListMetadataILi1EEENS0_13LpNormFunctorIN3c108BFloat16ELNS0_8NormTypeE2ES7_Li1ELi1ELi0EEEJPfiEEEvT_T0_DpT1_
		.amdhsa_group_segment_fixed_size 2048
		.amdhsa_private_segment_fixed_size 0
		.amdhsa_kernarg_size 3648
		.amdhsa_user_sgpr_count 2
		.amdhsa_user_sgpr_dispatch_ptr 0
		.amdhsa_user_sgpr_queue_ptr 0
		.amdhsa_user_sgpr_kernarg_segment_ptr 1
		.amdhsa_user_sgpr_dispatch_id 0
		.amdhsa_user_sgpr_kernarg_preload_length 0
		.amdhsa_user_sgpr_kernarg_preload_offset 0
		.amdhsa_user_sgpr_private_segment_size 0
		.amdhsa_uses_dynamic_stack 0
		.amdhsa_enable_private_segment 0
		.amdhsa_system_sgpr_workgroup_id_x 1
		.amdhsa_system_sgpr_workgroup_id_y 0
		.amdhsa_system_sgpr_workgroup_id_z 0
		.amdhsa_system_sgpr_workgroup_info 0
		.amdhsa_system_vgpr_workitem_id 0
		.amdhsa_next_free_vgpr 18
		.amdhsa_next_free_sgpr 20
		.amdhsa_accum_offset 20
		.amdhsa_reserve_vcc 1
		.amdhsa_float_round_mode_32 0
		.amdhsa_float_round_mode_16_64 0
		.amdhsa_float_denorm_mode_32 3
		.amdhsa_float_denorm_mode_16_64 3
		.amdhsa_dx10_clamp 1
		.amdhsa_ieee_mode 1
		.amdhsa_fp16_overflow 0
		.amdhsa_tg_split 0
		.amdhsa_exception_fp_ieee_invalid_op 0
		.amdhsa_exception_fp_denorm_src 0
		.amdhsa_exception_fp_ieee_div_zero 0
		.amdhsa_exception_fp_ieee_overflow 0
		.amdhsa_exception_fp_ieee_underflow 0
		.amdhsa_exception_fp_ieee_inexact 0
		.amdhsa_exception_int_div_zero 0
	.end_amdhsa_kernel
	.section	.text._ZN2at6native12_GLOBAL__N_125multi_tensor_apply_kernelINS1_18TensorListMetadataILi1EEENS0_13LpNormFunctorIN3c108BFloat16ELNS0_8NormTypeE2ES7_Li1ELi1ELi0EEEJPfiEEEvT_T0_DpT1_,"axG",@progbits,_ZN2at6native12_GLOBAL__N_125multi_tensor_apply_kernelINS1_18TensorListMetadataILi1EEENS0_13LpNormFunctorIN3c108BFloat16ELNS0_8NormTypeE2ES7_Li1ELi1ELi0EEEJPfiEEEvT_T0_DpT1_,comdat
.Lfunc_end142:
	.size	_ZN2at6native12_GLOBAL__N_125multi_tensor_apply_kernelINS1_18TensorListMetadataILi1EEENS0_13LpNormFunctorIN3c108BFloat16ELNS0_8NormTypeE2ES7_Li1ELi1ELi0EEEJPfiEEEvT_T0_DpT1_, .Lfunc_end142-_ZN2at6native12_GLOBAL__N_125multi_tensor_apply_kernelINS1_18TensorListMetadataILi1EEENS0_13LpNormFunctorIN3c108BFloat16ELNS0_8NormTypeE2ES7_Li1ELi1ELi0EEEJPfiEEEvT_T0_DpT1_
                                        ; -- End function
	.set _ZN2at6native12_GLOBAL__N_125multi_tensor_apply_kernelINS1_18TensorListMetadataILi1EEENS0_13LpNormFunctorIN3c108BFloat16ELNS0_8NormTypeE2ES7_Li1ELi1ELi0EEEJPfiEEEvT_T0_DpT1_.num_vgpr, 18
	.set _ZN2at6native12_GLOBAL__N_125multi_tensor_apply_kernelINS1_18TensorListMetadataILi1EEENS0_13LpNormFunctorIN3c108BFloat16ELNS0_8NormTypeE2ES7_Li1ELi1ELi0EEEJPfiEEEvT_T0_DpT1_.num_agpr, 0
	.set _ZN2at6native12_GLOBAL__N_125multi_tensor_apply_kernelINS1_18TensorListMetadataILi1EEENS0_13LpNormFunctorIN3c108BFloat16ELNS0_8NormTypeE2ES7_Li1ELi1ELi0EEEJPfiEEEvT_T0_DpT1_.numbered_sgpr, 20
	.set _ZN2at6native12_GLOBAL__N_125multi_tensor_apply_kernelINS1_18TensorListMetadataILi1EEENS0_13LpNormFunctorIN3c108BFloat16ELNS0_8NormTypeE2ES7_Li1ELi1ELi0EEEJPfiEEEvT_T0_DpT1_.num_named_barrier, 0
	.set _ZN2at6native12_GLOBAL__N_125multi_tensor_apply_kernelINS1_18TensorListMetadataILi1EEENS0_13LpNormFunctorIN3c108BFloat16ELNS0_8NormTypeE2ES7_Li1ELi1ELi0EEEJPfiEEEvT_T0_DpT1_.private_seg_size, 0
	.set _ZN2at6native12_GLOBAL__N_125multi_tensor_apply_kernelINS1_18TensorListMetadataILi1EEENS0_13LpNormFunctorIN3c108BFloat16ELNS0_8NormTypeE2ES7_Li1ELi1ELi0EEEJPfiEEEvT_T0_DpT1_.uses_vcc, 1
	.set _ZN2at6native12_GLOBAL__N_125multi_tensor_apply_kernelINS1_18TensorListMetadataILi1EEENS0_13LpNormFunctorIN3c108BFloat16ELNS0_8NormTypeE2ES7_Li1ELi1ELi0EEEJPfiEEEvT_T0_DpT1_.uses_flat_scratch, 0
	.set _ZN2at6native12_GLOBAL__N_125multi_tensor_apply_kernelINS1_18TensorListMetadataILi1EEENS0_13LpNormFunctorIN3c108BFloat16ELNS0_8NormTypeE2ES7_Li1ELi1ELi0EEEJPfiEEEvT_T0_DpT1_.has_dyn_sized_stack, 0
	.set _ZN2at6native12_GLOBAL__N_125multi_tensor_apply_kernelINS1_18TensorListMetadataILi1EEENS0_13LpNormFunctorIN3c108BFloat16ELNS0_8NormTypeE2ES7_Li1ELi1ELi0EEEJPfiEEEvT_T0_DpT1_.has_recursion, 0
	.set _ZN2at6native12_GLOBAL__N_125multi_tensor_apply_kernelINS1_18TensorListMetadataILi1EEENS0_13LpNormFunctorIN3c108BFloat16ELNS0_8NormTypeE2ES7_Li1ELi1ELi0EEEJPfiEEEvT_T0_DpT1_.has_indirect_call, 0
	.section	.AMDGPU.csdata,"",@progbits
; Kernel info:
; codeLenInByte = 1404
; TotalNumSgprs: 26
; NumVgprs: 18
; NumAgprs: 0
; TotalNumVgprs: 18
; ScratchSize: 0
; MemoryBound: 0
; FloatMode: 240
; IeeeMode: 1
; LDSByteSize: 2048 bytes/workgroup (compile time only)
; SGPRBlocks: 3
; VGPRBlocks: 2
; NumSGPRsForWavesPerEU: 26
; NumVGPRsForWavesPerEU: 18
; AccumOffset: 20
; Occupancy: 8
; WaveLimiterHint : 0
; COMPUTE_PGM_RSRC2:SCRATCH_EN: 0
; COMPUTE_PGM_RSRC2:USER_SGPR: 2
; COMPUTE_PGM_RSRC2:TRAP_HANDLER: 0
; COMPUTE_PGM_RSRC2:TGID_X_EN: 1
; COMPUTE_PGM_RSRC2:TGID_Y_EN: 0
; COMPUTE_PGM_RSRC2:TGID_Z_EN: 0
; COMPUTE_PGM_RSRC2:TIDIG_COMP_CNT: 0
; COMPUTE_PGM_RSRC3_GFX90A:ACCUM_OFFSET: 4
; COMPUTE_PGM_RSRC3_GFX90A:TG_SPLIT: 0
	.section	.text._ZN2at6native12_GLOBAL__N_125multi_tensor_apply_kernelINS1_18TensorListMetadataILi1EEENS0_13LpNormFunctorIN3c108BFloat16ELNS0_8NormTypeE3ES7_Li1ELi1ELi0EEEJPfiEEEvT_T0_DpT1_,"axG",@progbits,_ZN2at6native12_GLOBAL__N_125multi_tensor_apply_kernelINS1_18TensorListMetadataILi1EEENS0_13LpNormFunctorIN3c108BFloat16ELNS0_8NormTypeE3ES7_Li1ELi1ELi0EEEJPfiEEEvT_T0_DpT1_,comdat
	.globl	_ZN2at6native12_GLOBAL__N_125multi_tensor_apply_kernelINS1_18TensorListMetadataILi1EEENS0_13LpNormFunctorIN3c108BFloat16ELNS0_8NormTypeE3ES7_Li1ELi1ELi0EEEJPfiEEEvT_T0_DpT1_ ; -- Begin function _ZN2at6native12_GLOBAL__N_125multi_tensor_apply_kernelINS1_18TensorListMetadataILi1EEENS0_13LpNormFunctorIN3c108BFloat16ELNS0_8NormTypeE3ES7_Li1ELi1ELi0EEEJPfiEEEvT_T0_DpT1_
	.p2align	8
	.type	_ZN2at6native12_GLOBAL__N_125multi_tensor_apply_kernelINS1_18TensorListMetadataILi1EEENS0_13LpNormFunctorIN3c108BFloat16ELNS0_8NormTypeE3ES7_Li1ELi1ELi0EEEJPfiEEEvT_T0_DpT1_,@function
_ZN2at6native12_GLOBAL__N_125multi_tensor_apply_kernelINS1_18TensorListMetadataILi1EEENS0_13LpNormFunctorIN3c108BFloat16ELNS0_8NormTypeE3ES7_Li1ELi1ELi0EEEJPfiEEEvT_T0_DpT1_: ; @_ZN2at6native12_GLOBAL__N_125multi_tensor_apply_kernelINS1_18TensorListMetadataILi1EEENS0_13LpNormFunctorIN3c108BFloat16ELNS0_8NormTypeE3ES7_Li1ELi1ELi0EEEJPfiEEEvT_T0_DpT1_
; %bb.0:
	v_mov_b32_e32 v1, s2
	global_load_ubyte v1, v1, s[0:1] offset:1760
	s_add_u32 s3, s0, s2
	s_mul_hi_u32 s4, s2, 3
	s_mul_i32 s2, s2, 3
	s_addc_u32 s5, s1, 0
	s_add_u32 s2, s3, s2
	s_addc_u32 s3, s5, s4
	s_load_dword s10, s[2:3], 0x820
	s_mov_b32 s15, 0
	s_waitcnt lgkmcnt(0)
	s_ashr_i32 s11, s10, 31
	s_lshl_b64 s[8:9], s[10:11], 16
	s_waitcnt vmcnt(0)
	v_readfirstlane_b32 s2, v1
	s_and_b32 s22, s2, 0xff
	s_lshl_b32 s6, s22, 3
	s_load_dwordx2 s[2:3], s[0:1], s6 offset:0x370
	s_load_dwordx2 s[4:5], s[0:1], s6 offset:0x0
	s_lshl_b64 s[6:7], s[10:11], 17
	s_waitcnt lgkmcnt(0)
	s_add_u32 s12, s4, s6
	s_addc_u32 s13, s5, s7
	s_sub_u32 s8, s2, s8
	s_subb_u32 s9, s3, s9
	s_and_b32 s14, s2, 3
	s_and_b32 s2, s12, 7
	s_mov_b32 s3, s15
	s_or_b64 s[2:3], s[14:15], s[2:3]
	s_cmp_eq_u64 s[2:3], 0
	s_cbranch_scc1 .LBB143_12
; %bb.1:
	v_cmp_lt_i64_e64 s[2:3], s[8:9], 1
	s_and_b64 vcc, exec, s[2:3]
	s_cbranch_vccnz .LBB143_13
; %bb.2:
	s_load_dword s14, s[0:1], 0xd4c
	v_mov_b64_e32 v[2:3], 0x10000
	v_cmp_lt_i64_e32 vcc, s[8:9], v[2:3]
	s_and_b64 s[2:3], vcc, exec
	v_mov_b32_e32 v7, 0
	s_cselect_b32 s3, s9, 0
	s_cselect_b32 s2, s8, 0x10000
	s_waitcnt lgkmcnt(0)
	s_and_b32 s17, s14, 0xffff
	v_mov_b32_e32 v6, v7
	v_mad_u64_u32 v[12:13], s[14:15], s17, 3, v[0:1]
	v_mov_b32_e32 v8, v7
	v_mov_b32_e32 v9, v7
	v_mov_b64_e32 v[2:3], v[6:7]
	s_mov_b32 s11, 0x10000
	s_lshl_b32 s16, s17, 2
	v_lshl_add_u32 v10, s17, 1, v0
	v_add_u32_e32 v14, s17, v0
	s_mov_b64 s[14:15], 0
	v_mov_b64_e32 v[16:17], s[2:3]
	v_mov_b64_e32 v[4:5], v[8:9]
	s_branch .LBB143_4
.LBB143_3:                              ;   in Loop: Header=BB143_4 Depth=1
	s_or_b64 exec, exec, s[2:3]
	s_add_u32 s14, s14, s16
	s_addc_u32 s15, s15, 0
	v_cmp_lt_i64_e32 vcc, s[14:15], v[16:17]
	s_cbranch_vccz .LBB143_14
.LBB143_4:                              ; =>This Inner Loop Header: Depth=1
	v_add_u32_e32 v6, s14, v0
	v_cmp_gt_i64_e32 vcc, s[8:9], v[6:7]
	v_cmp_gt_u32_e64 s[2:3], s11, v6
	s_and_b64 s[18:19], s[2:3], vcc
	s_and_saveexec_b64 s[2:3], s[18:19]
	s_cbranch_execz .LBB143_6
; %bb.5:                                ;   in Loop: Header=BB143_4 Depth=1
	v_lshl_add_u64 v[8:9], v[6:7], 1, s[12:13]
	global_load_ushort v1, v[8:9], off
	s_waitcnt vmcnt(0)
	v_lshlrev_b32_e32 v1, 16, v1
	v_cmp_u_f32_e32 vcc, v1, v1
	v_cmp_lt_f32_e64 s[18:19], v2, |v1|
	s_or_b64 s[18:19], vcc, s[18:19]
	s_nop 0
	v_cndmask_b32_e64 v2, v2, |v1|, s[18:19]
.LBB143_6:                              ;   in Loop: Header=BB143_4 Depth=1
	s_or_b64 exec, exec, s[2:3]
	v_add_u32_e32 v6, s14, v14
	v_cmp_gt_i64_e32 vcc, s[8:9], v[6:7]
	v_cmp_gt_u32_e64 s[2:3], s11, v6
	s_and_b64 s[18:19], s[2:3], vcc
	s_and_saveexec_b64 s[2:3], s[18:19]
	s_cbranch_execz .LBB143_8
; %bb.7:                                ;   in Loop: Header=BB143_4 Depth=1
	v_lshl_add_u64 v[8:9], v[6:7], 1, s[12:13]
	global_load_ushort v1, v[8:9], off
	s_waitcnt vmcnt(0)
	v_lshlrev_b32_e32 v1, 16, v1
	v_cmp_u_f32_e32 vcc, v1, v1
	v_cmp_lt_f32_e64 s[18:19], v3, |v1|
	s_or_b64 s[18:19], vcc, s[18:19]
	s_nop 0
	v_cndmask_b32_e64 v3, v3, |v1|, s[18:19]
.LBB143_8:                              ;   in Loop: Header=BB143_4 Depth=1
	s_or_b64 exec, exec, s[2:3]
	v_add_u32_e32 v6, s14, v10
	v_cmp_gt_i64_e32 vcc, s[8:9], v[6:7]
	v_cmp_gt_u32_e64 s[2:3], s11, v6
	s_and_b64 s[18:19], s[2:3], vcc
	s_and_saveexec_b64 s[2:3], s[18:19]
	s_cbranch_execz .LBB143_10
; %bb.9:                                ;   in Loop: Header=BB143_4 Depth=1
	v_lshl_add_u64 v[8:9], v[6:7], 1, s[12:13]
	global_load_ushort v1, v[8:9], off
	s_waitcnt vmcnt(0)
	v_lshlrev_b32_e32 v1, 16, v1
	v_cmp_u_f32_e32 vcc, v1, v1
	v_cmp_lt_f32_e64 s[18:19], v4, |v1|
	s_or_b64 s[18:19], vcc, s[18:19]
	s_nop 0
	v_cndmask_b32_e64 v4, v4, |v1|, s[18:19]
.LBB143_10:                             ;   in Loop: Header=BB143_4 Depth=1
	s_or_b64 exec, exec, s[2:3]
	v_add_u32_e32 v6, s14, v12
	v_cmp_gt_i64_e32 vcc, s[8:9], v[6:7]
	v_cmp_gt_u32_e64 s[2:3], s11, v6
	s_and_b64 s[18:19], s[2:3], vcc
	s_and_saveexec_b64 s[2:3], s[18:19]
	s_cbranch_execz .LBB143_3
; %bb.11:                               ;   in Loop: Header=BB143_4 Depth=1
	v_lshl_add_u64 v[8:9], v[6:7], 1, s[12:13]
	global_load_ushort v1, v[8:9], off
	s_waitcnt vmcnt(0)
	v_lshlrev_b32_e32 v1, 16, v1
	v_cmp_u_f32_e32 vcc, v1, v1
	v_cmp_lt_f32_e64 s[18:19], v5, |v1|
	s_or_b64 s[18:19], vcc, s[18:19]
	s_nop 0
	v_cndmask_b32_e64 v5, v5, |v1|, s[18:19]
	s_branch .LBB143_3
.LBB143_12:
                                        ; implicit-def: $vgpr2_vgpr3_vgpr4_vgpr5
	s_branch .LBB143_15
.LBB143_13:
	v_mov_b32_e32 v2, 0
	v_mov_b32_e32 v3, v2
	;; [unrolled: 1-line block ×4, first 2 shown]
.LBB143_14:
	s_cbranch_execnz .LBB143_20
.LBB143_15:
	v_mov_b64_e32 v[4:5], 0x10000
	v_cmp_lt_i64_e32 vcc, s[8:9], v[4:5]
	s_and_b64 s[2:3], vcc, exec
	v_mov_b32_e32 v3, 0
	s_cselect_b32 s13, s9, 0
	s_cselect_b32 s12, s8, 0x10000
	v_lshlrev_b32_e32 v2, 2, v0
	v_cmp_gt_i64_e32 vcc, s[12:13], v[2:3]
	s_mov_b32 s17, 0
	v_mov_b32_e32 v2, v3
	v_mov_b32_e32 v4, v3
	;; [unrolled: 1-line block ×3, first 2 shown]
	s_and_saveexec_b64 s[14:15], vcc
	s_cbranch_execz .LBB143_19
; %bb.16:
	s_load_dword s2, s[0:1], 0xd4c
	v_mov_b32_e32 v1, v3
	v_lshlrev_b32_e32 v2, 3, v0
	s_mov_b32 s19, s17
	s_mov_b64 s[20:21], 0
	s_waitcnt lgkmcnt(0)
	s_and_b32 s16, s2, 0xffff
	s_add_u32 s2, s4, s6
	s_addc_u32 s3, s5, s7
	s_lshl_b32 s18, s16, 3
	v_lshl_add_u64 v[8:9], s[2:3], 0, v[2:3]
	v_mov_b64_e32 v[10:11], v[0:1]
	v_mov_b32_e32 v5, 0
	v_mov_b32_e32 v6, 0
	;; [unrolled: 1-line block ×3, first 2 shown]
.LBB143_17:                             ; =>This Inner Loop Header: Depth=1
	global_load_dwordx2 v[12:13], v[8:9], off
	v_lshl_add_u64 v[10:11], v[10:11], 0, s[16:17]
	v_lshlrev_b64 v[14:15], 2, v[10:11]
	v_cmp_le_i64_e32 vcc, s[12:13], v[14:15]
	v_lshl_add_u64 v[8:9], v[8:9], 0, s[18:19]
	s_waitcnt vmcnt(0)
	v_and_b32_e32 v1, 0xffff0000, v12
	v_lshlrev_b32_e32 v2, 16, v12
	v_alignbit_b32 v4, v13, v12, 16
	v_and_b32_e32 v12, 0xffff0000, v13
	v_cmp_u_f32_e64 s[2:3], v12, v12
	v_cmp_lt_f32_e64 s[24:25], v7, |v12|
	v_cmp_u_f32_e64 s[4:5], v1, v1
	v_cmp_lt_f32_e64 s[26:27], v5, |v1|
	s_or_b64 s[2:3], s[2:3], s[24:25]
	v_and_b32_e32 v4, 0xffff0000, v4
	v_cmp_u_f32_e64 s[6:7], v2, v2
	v_cmp_lt_f32_e64 s[28:29], v3, |v2|
	v_cndmask_b32_e64 v7, v7, |v12|, s[2:3]
	s_or_b64 s[2:3], s[4:5], s[26:27]
	v_cmp_u_f32_e64 s[8:9], v4, v4
	v_cmp_lt_f32_e64 s[30:31], v6, |v4|
	v_cndmask_b32_e64 v5, v5, |v1|, s[2:3]
	s_or_b64 s[2:3], s[6:7], s[28:29]
	v_cndmask_b32_e64 v3, v3, |v2|, s[2:3]
	s_or_b64 s[2:3], s[8:9], s[30:31]
	s_or_b64 s[20:21], vcc, s[20:21]
	v_cndmask_b32_e64 v6, v6, |v4|, s[2:3]
	s_andn2_b64 exec, exec, s[20:21]
	s_cbranch_execnz .LBB143_17
; %bb.18:
	s_or_b64 exec, exec, s[20:21]
	v_mov_b32_e32 v4, v3
	v_mov_b64_e32 v[2:3], v[4:5]
	v_mov_b64_e32 v[4:5], v[6:7]
.LBB143_19:
	s_or_b64 exec, exec, s[14:15]
.LBB143_20:
	v_cmp_nge_f32_e32 vcc, 0, v2
	v_and_b32_e32 v8, 63, v0
	s_nop 0
	v_cndmask_b32_e32 v1, 0, v2, vcc
	v_cmp_u_f32_e32 vcc, v3, v3
	v_cmp_lt_f32_e64 s[2:3], v1, v3
	s_or_b64 vcc, vcc, s[2:3]
	v_cndmask_b32_e32 v1, v1, v3, vcc
	v_cmp_u_f32_e32 vcc, v4, v4
	v_cmp_lt_f32_e64 s[2:3], v1, v4
	s_or_b64 vcc, vcc, s[2:3]
	;; [unrolled: 4-line block ×3, first 2 shown]
	v_cndmask_b32_e32 v2, v1, v5, vcc
	v_mbcnt_lo_u32_b32 v1, -1, 0
	v_mbcnt_hi_u32_b32 v6, -1, v1
	v_mov_b32_e32 v1, 0x80
	v_lshl_or_b32 v1, v6, 2, v1
	ds_bpermute_b32 v3, v1, v2
	v_and_b32_e32 v9, 63, v6
	s_barrier
	s_waitcnt lgkmcnt(0)
	v_cmp_u_f32_e32 vcc, v3, v3
	v_cmp_lt_f32_e64 s[2:3], v2, v3
	s_or_b64 vcc, vcc, s[2:3]
	v_cndmask_b32_e32 v3, v2, v3, vcc
	v_cmp_gt_u32_e32 vcc, 48, v9
	s_nop 1
	v_cndmask_b32_e64 v2, 0, 16, vcc
	v_add_lshl_u32 v2, v2, v6, 2
	ds_bpermute_b32 v4, v2, v3
	s_waitcnt lgkmcnt(0)
	v_cmp_u_f32_e32 vcc, v4, v4
	v_cmp_lt_f32_e64 s[2:3], v3, v4
	s_or_b64 vcc, vcc, s[2:3]
	v_cndmask_b32_e32 v4, v3, v4, vcc
	v_cmp_gt_u32_e32 vcc, 56, v9
	s_nop 1
	v_cndmask_b32_e64 v3, 0, 8, vcc
	v_add_lshl_u32 v3, v3, v6, 2
	ds_bpermute_b32 v5, v3, v4
	;; [unrolled: 10-line block ×4, first 2 shown]
	s_waitcnt lgkmcnt(0)
	v_cmp_u_f32_e32 vcc, v10, v10
	v_cmp_lt_f32_e64 s[2:3], v7, v10
	s_or_b64 vcc, vcc, s[2:3]
	v_cndmask_b32_e32 v7, v7, v10, vcc
	v_cmp_ne_u32_e32 vcc, 63, v9
	s_nop 1
	v_addc_co_u32_e32 v6, vcc, 0, v6, vcc
	v_lshlrev_b32_e32 v6, 2, v6
	ds_bpermute_b32 v9, v6, v7
	v_cmp_eq_u32_e32 vcc, 0, v8
	s_and_saveexec_b64 s[4:5], vcc
	s_cbranch_execz .LBB143_22
; %bb.21:
	s_waitcnt lgkmcnt(0)
	v_cmp_u_f32_e32 vcc, v9, v9
	v_cmp_lt_f32_e64 s[2:3], v7, v9
	s_or_b64 vcc, vcc, s[2:3]
	v_lshrrev_b32_e32 v10, 4, v0
	v_cndmask_b32_e32 v7, v7, v9, vcc
	ds_write_b32 v10, v7
.LBB143_22:
	s_or_b64 exec, exec, s[4:5]
	s_waitcnt lgkmcnt(0)
	s_barrier
	s_load_dword s2, s[0:1], 0xd4c
	v_mov_b32_e32 v7, 0xff7fffff
	s_waitcnt lgkmcnt(0)
	s_bfe_u32 s2, s2, 0xa0006
	v_cmp_gt_u32_e32 vcc, s2, v0
	s_and_saveexec_b64 s[2:3], vcc
	s_cbranch_execnz .LBB143_26
; %bb.23:
	s_or_b64 exec, exec, s[2:3]
	v_cmp_gt_u32_e32 vcc, 64, v0
	s_and_saveexec_b64 s[4:5], vcc
	s_cbranch_execnz .LBB143_27
.LBB143_24:
	s_or_b64 exec, exec, s[4:5]
	v_cmp_eq_u32_e32 vcc, 0, v0
	s_and_saveexec_b64 s[2:3], vcc
	s_cbranch_execnz .LBB143_28
.LBB143_25:
	s_endpgm
.LBB143_26:
	v_lshlrev_b32_e32 v7, 2, v8
	ds_read_b32 v7, v7
	s_or_b64 exec, exec, s[2:3]
	v_cmp_gt_u32_e32 vcc, 64, v0
	s_and_saveexec_b64 s[4:5], vcc
	s_cbranch_execz .LBB143_24
.LBB143_27:
	s_waitcnt lgkmcnt(0)
	ds_bpermute_b32 v1, v1, v7
	s_waitcnt lgkmcnt(0)
	v_cmp_u_f32_e32 vcc, v1, v1
	v_cmp_lt_f32_e64 s[2:3], v7, v1
	s_or_b64 vcc, vcc, s[2:3]
	v_cndmask_b32_e32 v1, v7, v1, vcc
	ds_bpermute_b32 v2, v2, v1
	s_waitcnt lgkmcnt(0)
	v_cmp_u_f32_e32 vcc, v2, v2
	v_cmp_lt_f32_e64 s[2:3], v1, v2
	s_or_b64 vcc, vcc, s[2:3]
	v_cndmask_b32_e32 v1, v1, v2, vcc
	;; [unrolled: 6-line block ×6, first 2 shown]
	s_or_b64 exec, exec, s[4:5]
	v_cmp_eq_u32_e32 vcc, 0, v0
	s_and_saveexec_b64 s[2:3], vcc
	s_cbranch_execz .LBB143_25
.LBB143_28:
	s_load_dword s4, s[0:1], 0xd20
	s_load_dword s5, s[0:1], 0xd38
	s_load_dwordx2 s[2:3], s[0:1], 0xd30
	v_mov_b32_e32 v0, 0
	s_waitcnt lgkmcnt(0)
	s_add_i32 s0, s4, s22
	s_mul_i32 s0, s0, s5
	s_add_i32 s0, s0, s10
	s_ashr_i32 s1, s0, 31
	s_lshl_b64 s[0:1], s[0:1], 2
	s_add_u32 s0, s2, s0
	s_addc_u32 s1, s3, s1
	global_store_dword v0, v7, s[0:1]
	s_endpgm
	.section	.rodata,"a",@progbits
	.p2align	6, 0x0
	.amdhsa_kernel _ZN2at6native12_GLOBAL__N_125multi_tensor_apply_kernelINS1_18TensorListMetadataILi1EEENS0_13LpNormFunctorIN3c108BFloat16ELNS0_8NormTypeE3ES7_Li1ELi1ELi0EEEJPfiEEEvT_T0_DpT1_
		.amdhsa_group_segment_fixed_size 2048
		.amdhsa_private_segment_fixed_size 0
		.amdhsa_kernarg_size 3648
		.amdhsa_user_sgpr_count 2
		.amdhsa_user_sgpr_dispatch_ptr 0
		.amdhsa_user_sgpr_queue_ptr 0
		.amdhsa_user_sgpr_kernarg_segment_ptr 1
		.amdhsa_user_sgpr_dispatch_id 0
		.amdhsa_user_sgpr_kernarg_preload_length 0
		.amdhsa_user_sgpr_kernarg_preload_offset 0
		.amdhsa_user_sgpr_private_segment_size 0
		.amdhsa_uses_dynamic_stack 0
		.amdhsa_enable_private_segment 0
		.amdhsa_system_sgpr_workgroup_id_x 1
		.amdhsa_system_sgpr_workgroup_id_y 0
		.amdhsa_system_sgpr_workgroup_id_z 0
		.amdhsa_system_sgpr_workgroup_info 0
		.amdhsa_system_vgpr_workitem_id 0
		.amdhsa_next_free_vgpr 18
		.amdhsa_next_free_sgpr 32
		.amdhsa_accum_offset 20
		.amdhsa_reserve_vcc 1
		.amdhsa_float_round_mode_32 0
		.amdhsa_float_round_mode_16_64 0
		.amdhsa_float_denorm_mode_32 3
		.amdhsa_float_denorm_mode_16_64 3
		.amdhsa_dx10_clamp 1
		.amdhsa_ieee_mode 1
		.amdhsa_fp16_overflow 0
		.amdhsa_tg_split 0
		.amdhsa_exception_fp_ieee_invalid_op 0
		.amdhsa_exception_fp_denorm_src 0
		.amdhsa_exception_fp_ieee_div_zero 0
		.amdhsa_exception_fp_ieee_overflow 0
		.amdhsa_exception_fp_ieee_underflow 0
		.amdhsa_exception_fp_ieee_inexact 0
		.amdhsa_exception_int_div_zero 0
	.end_amdhsa_kernel
	.section	.text._ZN2at6native12_GLOBAL__N_125multi_tensor_apply_kernelINS1_18TensorListMetadataILi1EEENS0_13LpNormFunctorIN3c108BFloat16ELNS0_8NormTypeE3ES7_Li1ELi1ELi0EEEJPfiEEEvT_T0_DpT1_,"axG",@progbits,_ZN2at6native12_GLOBAL__N_125multi_tensor_apply_kernelINS1_18TensorListMetadataILi1EEENS0_13LpNormFunctorIN3c108BFloat16ELNS0_8NormTypeE3ES7_Li1ELi1ELi0EEEJPfiEEEvT_T0_DpT1_,comdat
.Lfunc_end143:
	.size	_ZN2at6native12_GLOBAL__N_125multi_tensor_apply_kernelINS1_18TensorListMetadataILi1EEENS0_13LpNormFunctorIN3c108BFloat16ELNS0_8NormTypeE3ES7_Li1ELi1ELi0EEEJPfiEEEvT_T0_DpT1_, .Lfunc_end143-_ZN2at6native12_GLOBAL__N_125multi_tensor_apply_kernelINS1_18TensorListMetadataILi1EEENS0_13LpNormFunctorIN3c108BFloat16ELNS0_8NormTypeE3ES7_Li1ELi1ELi0EEEJPfiEEEvT_T0_DpT1_
                                        ; -- End function
	.set _ZN2at6native12_GLOBAL__N_125multi_tensor_apply_kernelINS1_18TensorListMetadataILi1EEENS0_13LpNormFunctorIN3c108BFloat16ELNS0_8NormTypeE3ES7_Li1ELi1ELi0EEEJPfiEEEvT_T0_DpT1_.num_vgpr, 18
	.set _ZN2at6native12_GLOBAL__N_125multi_tensor_apply_kernelINS1_18TensorListMetadataILi1EEENS0_13LpNormFunctorIN3c108BFloat16ELNS0_8NormTypeE3ES7_Li1ELi1ELi0EEEJPfiEEEvT_T0_DpT1_.num_agpr, 0
	.set _ZN2at6native12_GLOBAL__N_125multi_tensor_apply_kernelINS1_18TensorListMetadataILi1EEENS0_13LpNormFunctorIN3c108BFloat16ELNS0_8NormTypeE3ES7_Li1ELi1ELi0EEEJPfiEEEvT_T0_DpT1_.numbered_sgpr, 32
	.set _ZN2at6native12_GLOBAL__N_125multi_tensor_apply_kernelINS1_18TensorListMetadataILi1EEENS0_13LpNormFunctorIN3c108BFloat16ELNS0_8NormTypeE3ES7_Li1ELi1ELi0EEEJPfiEEEvT_T0_DpT1_.num_named_barrier, 0
	.set _ZN2at6native12_GLOBAL__N_125multi_tensor_apply_kernelINS1_18TensorListMetadataILi1EEENS0_13LpNormFunctorIN3c108BFloat16ELNS0_8NormTypeE3ES7_Li1ELi1ELi0EEEJPfiEEEvT_T0_DpT1_.private_seg_size, 0
	.set _ZN2at6native12_GLOBAL__N_125multi_tensor_apply_kernelINS1_18TensorListMetadataILi1EEENS0_13LpNormFunctorIN3c108BFloat16ELNS0_8NormTypeE3ES7_Li1ELi1ELi0EEEJPfiEEEvT_T0_DpT1_.uses_vcc, 1
	.set _ZN2at6native12_GLOBAL__N_125multi_tensor_apply_kernelINS1_18TensorListMetadataILi1EEENS0_13LpNormFunctorIN3c108BFloat16ELNS0_8NormTypeE3ES7_Li1ELi1ELi0EEEJPfiEEEvT_T0_DpT1_.uses_flat_scratch, 0
	.set _ZN2at6native12_GLOBAL__N_125multi_tensor_apply_kernelINS1_18TensorListMetadataILi1EEENS0_13LpNormFunctorIN3c108BFloat16ELNS0_8NormTypeE3ES7_Li1ELi1ELi0EEEJPfiEEEvT_T0_DpT1_.has_dyn_sized_stack, 0
	.set _ZN2at6native12_GLOBAL__N_125multi_tensor_apply_kernelINS1_18TensorListMetadataILi1EEENS0_13LpNormFunctorIN3c108BFloat16ELNS0_8NormTypeE3ES7_Li1ELi1ELi0EEEJPfiEEEvT_T0_DpT1_.has_recursion, 0
	.set _ZN2at6native12_GLOBAL__N_125multi_tensor_apply_kernelINS1_18TensorListMetadataILi1EEENS0_13LpNormFunctorIN3c108BFloat16ELNS0_8NormTypeE3ES7_Li1ELi1ELi0EEEJPfiEEEvT_T0_DpT1_.has_indirect_call, 0
	.section	.AMDGPU.csdata,"",@progbits
; Kernel info:
; codeLenInByte = 1856
; TotalNumSgprs: 38
; NumVgprs: 18
; NumAgprs: 0
; TotalNumVgprs: 18
; ScratchSize: 0
; MemoryBound: 0
; FloatMode: 240
; IeeeMode: 1
; LDSByteSize: 2048 bytes/workgroup (compile time only)
; SGPRBlocks: 4
; VGPRBlocks: 2
; NumSGPRsForWavesPerEU: 38
; NumVGPRsForWavesPerEU: 18
; AccumOffset: 20
; Occupancy: 8
; WaveLimiterHint : 0
; COMPUTE_PGM_RSRC2:SCRATCH_EN: 0
; COMPUTE_PGM_RSRC2:USER_SGPR: 2
; COMPUTE_PGM_RSRC2:TRAP_HANDLER: 0
; COMPUTE_PGM_RSRC2:TGID_X_EN: 1
; COMPUTE_PGM_RSRC2:TGID_Y_EN: 0
; COMPUTE_PGM_RSRC2:TGID_Z_EN: 0
; COMPUTE_PGM_RSRC2:TIDIG_COMP_CNT: 0
; COMPUTE_PGM_RSRC3_GFX90A:ACCUM_OFFSET: 4
; COMPUTE_PGM_RSRC3_GFX90A:TG_SPLIT: 0
	.section	.text._ZN2at6native14lpnorm_cleanupIN3c108BFloat16ELNS0_8NormTypeE0ES3_Lb1EfEEvPKT3_NS0_19TensorListAddressesEi,"axG",@progbits,_ZN2at6native14lpnorm_cleanupIN3c108BFloat16ELNS0_8NormTypeE0ES3_Lb1EfEEvPKT3_NS0_19TensorListAddressesEi,comdat
	.protected	_ZN2at6native14lpnorm_cleanupIN3c108BFloat16ELNS0_8NormTypeE0ES3_Lb1EfEEvPKT3_NS0_19TensorListAddressesEi ; -- Begin function _ZN2at6native14lpnorm_cleanupIN3c108BFloat16ELNS0_8NormTypeE0ES3_Lb1EfEEvPKT3_NS0_19TensorListAddressesEi
	.globl	_ZN2at6native14lpnorm_cleanupIN3c108BFloat16ELNS0_8NormTypeE0ES3_Lb1EfEEvPKT3_NS0_19TensorListAddressesEi
	.p2align	8
	.type	_ZN2at6native14lpnorm_cleanupIN3c108BFloat16ELNS0_8NormTypeE0ES3_Lb1EfEEvPKT3_NS0_19TensorListAddressesEi,@function
_ZN2at6native14lpnorm_cleanupIN3c108BFloat16ELNS0_8NormTypeE0ES3_Lb1EfEEvPKT3_NS0_19TensorListAddressesEi: ; @_ZN2at6native14lpnorm_cleanupIN3c108BFloat16ELNS0_8NormTypeE0ES3_Lb1EfEEvPKT3_NS0_19TensorListAddressesEi
; %bb.0:
	s_load_dword s6, s[0:1], 0xc88
	v_mov_b32_e32 v1, 0
	s_waitcnt lgkmcnt(0)
	v_cmp_gt_u32_e32 vcc, s6, v0
	s_and_saveexec_b64 s[4:5], vcc
	s_cbranch_execz .LBB144_4
; %bb.1:
	s_load_dwordx2 s[12:13], s[0:1], 0x0
	s_load_dword s3, s[0:1], 0xc9c
	s_mul_i32 s8, s6, s2
	s_mov_b32 s9, 0
	s_ashr_i32 s7, s6, 31
	s_lshl_b64 s[14:15], s[8:9], 2
	s_waitcnt lgkmcnt(0)
	s_and_b32 s10, s3, 0xffff
	v_mov_b32_e32 v1, 0
	s_add_u32 s12, s12, s14
	v_lshlrev_b32_e32 v2, 2, v0
	v_mov_b32_e32 v3, v1
	s_addc_u32 s13, s13, s15
	s_mov_b32 s11, s9
	v_lshl_add_u64 v[2:3], s[12:13], 0, v[2:3]
	s_lshl_b32 s8, s10, 2
	s_mov_b64 s[12:13], 0
	v_mov_b64_e32 v[4:5], v[0:1]
.LBB144_2:                              ; =>This Inner Loop Header: Depth=1
	global_load_dword v6, v[2:3], off
	v_lshl_add_u64 v[4:5], v[4:5], 0, s[10:11]
	v_cmp_le_u64_e32 vcc, s[6:7], v[4:5]
	v_lshl_add_u64 v[2:3], v[2:3], 0, s[8:9]
	s_or_b64 s[12:13], vcc, s[12:13]
	s_waitcnt vmcnt(0)
	v_add_f32_e32 v1, v1, v6
	s_andn2_b64 exec, exec, s[12:13]
	s_cbranch_execnz .LBB144_2
; %bb.3:
	s_or_b64 exec, exec, s[12:13]
.LBB144_4:
	s_or_b64 exec, exec, s[4:5]
	v_mbcnt_lo_u32_b32 v2, -1, 0
	v_mbcnt_hi_u32_b32 v6, -1, v2
	v_mov_b32_e32 v2, 0x80
	v_lshl_or_b32 v2, v6, 2, v2
	ds_bpermute_b32 v3, v2, v1
	v_and_b32_e32 v7, 63, v6
	v_cmp_gt_u32_e32 vcc, 48, v7
	s_waitcnt lgkmcnt(0)
	s_barrier
	v_cndmask_b32_e64 v4, 0, 16, vcc
	v_add_f32_e32 v5, v1, v3
	v_add_lshl_u32 v1, v4, v6, 2
	ds_bpermute_b32 v4, v1, v5
	v_cmp_gt_u32_e32 vcc, 56, v7
	s_waitcnt lgkmcnt(0)
	v_add_f32_e32 v5, v5, v4
	v_cndmask_b32_e64 v3, 0, 8, vcc
	v_add_lshl_u32 v3, v3, v6, 2
	ds_bpermute_b32 v8, v3, v5
	v_cmp_gt_u32_e32 vcc, 60, v7
	s_waitcnt lgkmcnt(0)
	v_add_f32_e32 v8, v5, v8
	v_cndmask_b32_e64 v4, 0, 4, vcc
	v_add_lshl_u32 v4, v4, v6, 2
	ds_bpermute_b32 v9, v4, v8
	v_cmp_gt_u32_e32 vcc, 62, v7
	s_waitcnt lgkmcnt(0)
	v_add_f32_e32 v9, v8, v9
	v_cndmask_b32_e64 v5, 0, 2, vcc
	v_add_lshl_u32 v5, v5, v6, 2
	ds_bpermute_b32 v10, v5, v9
	v_cmp_ne_u32_e32 vcc, 63, v7
	v_and_b32_e32 v8, 63, v0
	s_waitcnt lgkmcnt(0)
	v_add_f32_e32 v7, v9, v10
	v_addc_co_u32_e32 v6, vcc, 0, v6, vcc
	v_lshlrev_b32_e32 v6, 2, v6
	ds_bpermute_b32 v9, v6, v7
	v_cmp_eq_u32_e32 vcc, 0, v8
	s_and_saveexec_b64 s[4:5], vcc
	s_cbranch_execz .LBB144_6
; %bb.5:
	s_waitcnt lgkmcnt(0)
	v_add_f32_e32 v7, v7, v9
	v_lshrrev_b32_e32 v9, 4, v0
	ds_write_b32 v9, v7
.LBB144_6:
	s_or_b64 exec, exec, s[4:5]
	s_waitcnt lgkmcnt(0)
	s_barrier
	s_load_dword s3, s[0:1], 0xc9c
	v_mov_b32_e32 v7, 0
	s_waitcnt lgkmcnt(0)
	s_bfe_u32 s3, s3, 0xa0006
	v_cmp_gt_u32_e32 vcc, s3, v0
	s_and_saveexec_b64 s[4:5], vcc
; %bb.7:
	v_lshlrev_b32_e32 v7, 2, v8
	ds_read_b32 v7, v7
; %bb.8:
	s_or_b64 exec, exec, s[4:5]
	v_cmp_gt_u32_e32 vcc, 64, v0
	s_and_saveexec_b64 s[4:5], vcc
	s_cbranch_execz .LBB144_10
; %bb.9:
	s_waitcnt lgkmcnt(0)
	ds_bpermute_b32 v2, v2, v7
	s_waitcnt lgkmcnt(0)
	v_add_f32_e32 v2, v7, v2
	ds_bpermute_b32 v1, v1, v2
	s_waitcnt lgkmcnt(0)
	v_add_f32_e32 v1, v2, v1
	;; [unrolled: 3-line block ×6, first 2 shown]
.LBB144_10:
	s_or_b64 exec, exec, s[4:5]
	s_mov_b32 s3, 0
	v_cmp_eq_u32_e32 vcc, 0, v0
	s_and_saveexec_b64 s[4:5], vcc
	s_cbranch_execz .LBB144_12
; %bb.11:
	s_lshl_b64 s[2:3], s[2:3], 3
	s_add_u32 s0, s0, s2
	s_addc_u32 s1, s1, s3
	s_load_dwordx2 s[0:1], s[0:1], 0x8
	s_waitcnt lgkmcnt(0)
	v_bfe_u32 v0, v7, 16, 1
	s_movk_i32 s4, 0x7fff
	v_add3_u32 v0, v7, v0, s4
	v_cmp_o_f32_e32 vcc, v7, v7
	v_mov_b32_e32 v1, 0x7fc0
	s_nop 0
	v_cndmask_b32_sdwa v0, v1, v0, vcc dst_sel:DWORD dst_unused:UNUSED_PAD src0_sel:DWORD src1_sel:WORD_1
	v_mov_b32_e32 v1, 0
	global_store_short v1, v0, s[0:1]
.LBB144_12:
	s_endpgm
	.section	.rodata,"a",@progbits
	.p2align	6, 0x0
	.amdhsa_kernel _ZN2at6native14lpnorm_cleanupIN3c108BFloat16ELNS0_8NormTypeE0ES3_Lb1EfEEvPKT3_NS0_19TensorListAddressesEi
		.amdhsa_group_segment_fixed_size 2048
		.amdhsa_private_segment_fixed_size 0
		.amdhsa_kernarg_size 3472
		.amdhsa_user_sgpr_count 2
		.amdhsa_user_sgpr_dispatch_ptr 0
		.amdhsa_user_sgpr_queue_ptr 0
		.amdhsa_user_sgpr_kernarg_segment_ptr 1
		.amdhsa_user_sgpr_dispatch_id 0
		.amdhsa_user_sgpr_kernarg_preload_length 0
		.amdhsa_user_sgpr_kernarg_preload_offset 0
		.amdhsa_user_sgpr_private_segment_size 0
		.amdhsa_uses_dynamic_stack 0
		.amdhsa_enable_private_segment 0
		.amdhsa_system_sgpr_workgroup_id_x 1
		.amdhsa_system_sgpr_workgroup_id_y 0
		.amdhsa_system_sgpr_workgroup_id_z 0
		.amdhsa_system_sgpr_workgroup_info 0
		.amdhsa_system_vgpr_workitem_id 0
		.amdhsa_next_free_vgpr 11
		.amdhsa_next_free_sgpr 16
		.amdhsa_accum_offset 12
		.amdhsa_reserve_vcc 1
		.amdhsa_float_round_mode_32 0
		.amdhsa_float_round_mode_16_64 0
		.amdhsa_float_denorm_mode_32 3
		.amdhsa_float_denorm_mode_16_64 3
		.amdhsa_dx10_clamp 1
		.amdhsa_ieee_mode 1
		.amdhsa_fp16_overflow 0
		.amdhsa_tg_split 0
		.amdhsa_exception_fp_ieee_invalid_op 0
		.amdhsa_exception_fp_denorm_src 0
		.amdhsa_exception_fp_ieee_div_zero 0
		.amdhsa_exception_fp_ieee_overflow 0
		.amdhsa_exception_fp_ieee_underflow 0
		.amdhsa_exception_fp_ieee_inexact 0
		.amdhsa_exception_int_div_zero 0
	.end_amdhsa_kernel
	.section	.text._ZN2at6native14lpnorm_cleanupIN3c108BFloat16ELNS0_8NormTypeE0ES3_Lb1EfEEvPKT3_NS0_19TensorListAddressesEi,"axG",@progbits,_ZN2at6native14lpnorm_cleanupIN3c108BFloat16ELNS0_8NormTypeE0ES3_Lb1EfEEvPKT3_NS0_19TensorListAddressesEi,comdat
.Lfunc_end144:
	.size	_ZN2at6native14lpnorm_cleanupIN3c108BFloat16ELNS0_8NormTypeE0ES3_Lb1EfEEvPKT3_NS0_19TensorListAddressesEi, .Lfunc_end144-_ZN2at6native14lpnorm_cleanupIN3c108BFloat16ELNS0_8NormTypeE0ES3_Lb1EfEEvPKT3_NS0_19TensorListAddressesEi
                                        ; -- End function
	.set _ZN2at6native14lpnorm_cleanupIN3c108BFloat16ELNS0_8NormTypeE0ES3_Lb1EfEEvPKT3_NS0_19TensorListAddressesEi.num_vgpr, 11
	.set _ZN2at6native14lpnorm_cleanupIN3c108BFloat16ELNS0_8NormTypeE0ES3_Lb1EfEEvPKT3_NS0_19TensorListAddressesEi.num_agpr, 0
	.set _ZN2at6native14lpnorm_cleanupIN3c108BFloat16ELNS0_8NormTypeE0ES3_Lb1EfEEvPKT3_NS0_19TensorListAddressesEi.numbered_sgpr, 16
	.set _ZN2at6native14lpnorm_cleanupIN3c108BFloat16ELNS0_8NormTypeE0ES3_Lb1EfEEvPKT3_NS0_19TensorListAddressesEi.num_named_barrier, 0
	.set _ZN2at6native14lpnorm_cleanupIN3c108BFloat16ELNS0_8NormTypeE0ES3_Lb1EfEEvPKT3_NS0_19TensorListAddressesEi.private_seg_size, 0
	.set _ZN2at6native14lpnorm_cleanupIN3c108BFloat16ELNS0_8NormTypeE0ES3_Lb1EfEEvPKT3_NS0_19TensorListAddressesEi.uses_vcc, 1
	.set _ZN2at6native14lpnorm_cleanupIN3c108BFloat16ELNS0_8NormTypeE0ES3_Lb1EfEEvPKT3_NS0_19TensorListAddressesEi.uses_flat_scratch, 0
	.set _ZN2at6native14lpnorm_cleanupIN3c108BFloat16ELNS0_8NormTypeE0ES3_Lb1EfEEvPKT3_NS0_19TensorListAddressesEi.has_dyn_sized_stack, 0
	.set _ZN2at6native14lpnorm_cleanupIN3c108BFloat16ELNS0_8NormTypeE0ES3_Lb1EfEEvPKT3_NS0_19TensorListAddressesEi.has_recursion, 0
	.set _ZN2at6native14lpnorm_cleanupIN3c108BFloat16ELNS0_8NormTypeE0ES3_Lb1EfEEvPKT3_NS0_19TensorListAddressesEi.has_indirect_call, 0
	.section	.AMDGPU.csdata,"",@progbits
; Kernel info:
; codeLenInByte = 704
; TotalNumSgprs: 22
; NumVgprs: 11
; NumAgprs: 0
; TotalNumVgprs: 11
; ScratchSize: 0
; MemoryBound: 0
; FloatMode: 240
; IeeeMode: 1
; LDSByteSize: 2048 bytes/workgroup (compile time only)
; SGPRBlocks: 2
; VGPRBlocks: 1
; NumSGPRsForWavesPerEU: 22
; NumVGPRsForWavesPerEU: 11
; AccumOffset: 12
; Occupancy: 8
; WaveLimiterHint : 0
; COMPUTE_PGM_RSRC2:SCRATCH_EN: 0
; COMPUTE_PGM_RSRC2:USER_SGPR: 2
; COMPUTE_PGM_RSRC2:TRAP_HANDLER: 0
; COMPUTE_PGM_RSRC2:TGID_X_EN: 1
; COMPUTE_PGM_RSRC2:TGID_Y_EN: 0
; COMPUTE_PGM_RSRC2:TGID_Z_EN: 0
; COMPUTE_PGM_RSRC2:TIDIG_COMP_CNT: 0
; COMPUTE_PGM_RSRC3_GFX90A:ACCUM_OFFSET: 2
; COMPUTE_PGM_RSRC3_GFX90A:TG_SPLIT: 0
	.section	.text._ZN2at6native14lpnorm_cleanupIN3c108BFloat16ELNS0_8NormTypeE1ES3_Lb1EfEEvPKT3_NS0_19TensorListAddressesEi,"axG",@progbits,_ZN2at6native14lpnorm_cleanupIN3c108BFloat16ELNS0_8NormTypeE1ES3_Lb1EfEEvPKT3_NS0_19TensorListAddressesEi,comdat
	.protected	_ZN2at6native14lpnorm_cleanupIN3c108BFloat16ELNS0_8NormTypeE1ES3_Lb1EfEEvPKT3_NS0_19TensorListAddressesEi ; -- Begin function _ZN2at6native14lpnorm_cleanupIN3c108BFloat16ELNS0_8NormTypeE1ES3_Lb1EfEEvPKT3_NS0_19TensorListAddressesEi
	.globl	_ZN2at6native14lpnorm_cleanupIN3c108BFloat16ELNS0_8NormTypeE1ES3_Lb1EfEEvPKT3_NS0_19TensorListAddressesEi
	.p2align	8
	.type	_ZN2at6native14lpnorm_cleanupIN3c108BFloat16ELNS0_8NormTypeE1ES3_Lb1EfEEvPKT3_NS0_19TensorListAddressesEi,@function
_ZN2at6native14lpnorm_cleanupIN3c108BFloat16ELNS0_8NormTypeE1ES3_Lb1EfEEvPKT3_NS0_19TensorListAddressesEi: ; @_ZN2at6native14lpnorm_cleanupIN3c108BFloat16ELNS0_8NormTypeE1ES3_Lb1EfEEvPKT3_NS0_19TensorListAddressesEi
; %bb.0:
	s_load_dword s6, s[0:1], 0xc88
	v_mov_b32_e32 v1, 0
	s_waitcnt lgkmcnt(0)
	v_cmp_gt_u32_e32 vcc, s6, v0
	s_and_saveexec_b64 s[4:5], vcc
	s_cbranch_execz .LBB145_4
; %bb.1:
	s_load_dwordx2 s[12:13], s[0:1], 0x0
	s_load_dword s3, s[0:1], 0xc9c
	s_mul_i32 s8, s6, s2
	s_mov_b32 s9, 0
	s_ashr_i32 s7, s6, 31
	s_lshl_b64 s[14:15], s[8:9], 2
	s_waitcnt lgkmcnt(0)
	s_and_b32 s10, s3, 0xffff
	v_mov_b32_e32 v1, 0
	s_add_u32 s12, s12, s14
	v_lshlrev_b32_e32 v2, 2, v0
	v_mov_b32_e32 v3, v1
	s_addc_u32 s13, s13, s15
	s_mov_b32 s11, s9
	v_lshl_add_u64 v[2:3], s[12:13], 0, v[2:3]
	s_lshl_b32 s8, s10, 2
	s_mov_b64 s[12:13], 0
	v_mov_b64_e32 v[4:5], v[0:1]
.LBB145_2:                              ; =>This Inner Loop Header: Depth=1
	global_load_dword v6, v[2:3], off
	v_lshl_add_u64 v[4:5], v[4:5], 0, s[10:11]
	v_cmp_le_u64_e32 vcc, s[6:7], v[4:5]
	v_lshl_add_u64 v[2:3], v[2:3], 0, s[8:9]
	s_or_b64 s[12:13], vcc, s[12:13]
	s_waitcnt vmcnt(0)
	v_add_f32_e32 v1, v1, v6
	s_andn2_b64 exec, exec, s[12:13]
	s_cbranch_execnz .LBB145_2
; %bb.3:
	s_or_b64 exec, exec, s[12:13]
.LBB145_4:
	s_or_b64 exec, exec, s[4:5]
	v_mbcnt_lo_u32_b32 v2, -1, 0
	v_mbcnt_hi_u32_b32 v6, -1, v2
	v_mov_b32_e32 v2, 0x80
	v_lshl_or_b32 v2, v6, 2, v2
	ds_bpermute_b32 v3, v2, v1
	v_and_b32_e32 v7, 63, v6
	v_cmp_gt_u32_e32 vcc, 48, v7
	s_waitcnt lgkmcnt(0)
	s_barrier
	v_cndmask_b32_e64 v4, 0, 16, vcc
	v_add_f32_e32 v5, v1, v3
	v_add_lshl_u32 v1, v4, v6, 2
	ds_bpermute_b32 v4, v1, v5
	v_cmp_gt_u32_e32 vcc, 56, v7
	s_waitcnt lgkmcnt(0)
	v_add_f32_e32 v5, v5, v4
	v_cndmask_b32_e64 v3, 0, 8, vcc
	v_add_lshl_u32 v3, v3, v6, 2
	ds_bpermute_b32 v8, v3, v5
	v_cmp_gt_u32_e32 vcc, 60, v7
	s_waitcnt lgkmcnt(0)
	v_add_f32_e32 v8, v5, v8
	v_cndmask_b32_e64 v4, 0, 4, vcc
	;; [unrolled: 6-line block ×3, first 2 shown]
	v_add_lshl_u32 v5, v5, v6, 2
	ds_bpermute_b32 v10, v5, v9
	v_cmp_ne_u32_e32 vcc, 63, v7
	v_and_b32_e32 v8, 63, v0
	s_waitcnt lgkmcnt(0)
	v_add_f32_e32 v7, v9, v10
	v_addc_co_u32_e32 v6, vcc, 0, v6, vcc
	v_lshlrev_b32_e32 v6, 2, v6
	ds_bpermute_b32 v9, v6, v7
	v_cmp_eq_u32_e32 vcc, 0, v8
	s_and_saveexec_b64 s[4:5], vcc
	s_cbranch_execz .LBB145_6
; %bb.5:
	s_waitcnt lgkmcnt(0)
	v_add_f32_e32 v7, v7, v9
	v_lshrrev_b32_e32 v9, 4, v0
	ds_write_b32 v9, v7
.LBB145_6:
	s_or_b64 exec, exec, s[4:5]
	s_waitcnt lgkmcnt(0)
	s_barrier
	s_load_dword s3, s[0:1], 0xc9c
	v_mov_b32_e32 v7, 0
	s_waitcnt lgkmcnt(0)
	s_bfe_u32 s3, s3, 0xa0006
	v_cmp_gt_u32_e32 vcc, s3, v0
	s_and_saveexec_b64 s[4:5], vcc
; %bb.7:
	v_lshlrev_b32_e32 v7, 2, v8
	ds_read_b32 v7, v7
; %bb.8:
	s_or_b64 exec, exec, s[4:5]
	v_cmp_gt_u32_e32 vcc, 64, v0
	s_and_saveexec_b64 s[4:5], vcc
	s_cbranch_execz .LBB145_10
; %bb.9:
	s_waitcnt lgkmcnt(0)
	ds_bpermute_b32 v2, v2, v7
	s_waitcnt lgkmcnt(0)
	v_add_f32_e32 v2, v7, v2
	ds_bpermute_b32 v1, v1, v2
	s_waitcnt lgkmcnt(0)
	v_add_f32_e32 v1, v2, v1
	ds_bpermute_b32 v2, v3, v1
	s_waitcnt lgkmcnt(0)
	v_add_f32_e32 v1, v1, v2
	ds_bpermute_b32 v2, v4, v1
	s_waitcnt lgkmcnt(0)
	v_add_f32_e32 v1, v1, v2
	ds_bpermute_b32 v2, v5, v1
	s_waitcnt lgkmcnt(0)
	v_add_f32_e32 v1, v1, v2
	ds_bpermute_b32 v2, v6, v1
	s_waitcnt lgkmcnt(0)
	v_add_f32_e32 v7, v1, v2
.LBB145_10:
	s_or_b64 exec, exec, s[4:5]
	s_mov_b32 s3, 0
	v_cmp_eq_u32_e32 vcc, 0, v0
	s_and_saveexec_b64 s[4:5], vcc
	s_cbranch_execz .LBB145_12
; %bb.11:
	s_lshl_b64 s[2:3], s[2:3], 3
	s_add_u32 s0, s0, s2
	s_addc_u32 s1, s1, s3
	s_load_dwordx2 s[0:1], s[0:1], 0x8
	s_waitcnt lgkmcnt(0)
	v_bfe_u32 v0, v7, 16, 1
	s_movk_i32 s4, 0x7fff
	v_add3_u32 v0, v7, v0, s4
	v_cmp_o_f32_e32 vcc, v7, v7
	v_mov_b32_e32 v1, 0x7fc0
	s_nop 0
	v_cndmask_b32_sdwa v0, v1, v0, vcc dst_sel:DWORD dst_unused:UNUSED_PAD src0_sel:DWORD src1_sel:WORD_1
	v_mov_b32_e32 v1, 0
	global_store_short v1, v0, s[0:1]
.LBB145_12:
	s_endpgm
	.section	.rodata,"a",@progbits
	.p2align	6, 0x0
	.amdhsa_kernel _ZN2at6native14lpnorm_cleanupIN3c108BFloat16ELNS0_8NormTypeE1ES3_Lb1EfEEvPKT3_NS0_19TensorListAddressesEi
		.amdhsa_group_segment_fixed_size 2048
		.amdhsa_private_segment_fixed_size 0
		.amdhsa_kernarg_size 3472
		.amdhsa_user_sgpr_count 2
		.amdhsa_user_sgpr_dispatch_ptr 0
		.amdhsa_user_sgpr_queue_ptr 0
		.amdhsa_user_sgpr_kernarg_segment_ptr 1
		.amdhsa_user_sgpr_dispatch_id 0
		.amdhsa_user_sgpr_kernarg_preload_length 0
		.amdhsa_user_sgpr_kernarg_preload_offset 0
		.amdhsa_user_sgpr_private_segment_size 0
		.amdhsa_uses_dynamic_stack 0
		.amdhsa_enable_private_segment 0
		.amdhsa_system_sgpr_workgroup_id_x 1
		.amdhsa_system_sgpr_workgroup_id_y 0
		.amdhsa_system_sgpr_workgroup_id_z 0
		.amdhsa_system_sgpr_workgroup_info 0
		.amdhsa_system_vgpr_workitem_id 0
		.amdhsa_next_free_vgpr 11
		.amdhsa_next_free_sgpr 16
		.amdhsa_accum_offset 12
		.amdhsa_reserve_vcc 1
		.amdhsa_float_round_mode_32 0
		.amdhsa_float_round_mode_16_64 0
		.amdhsa_float_denorm_mode_32 3
		.amdhsa_float_denorm_mode_16_64 3
		.amdhsa_dx10_clamp 1
		.amdhsa_ieee_mode 1
		.amdhsa_fp16_overflow 0
		.amdhsa_tg_split 0
		.amdhsa_exception_fp_ieee_invalid_op 0
		.amdhsa_exception_fp_denorm_src 0
		.amdhsa_exception_fp_ieee_div_zero 0
		.amdhsa_exception_fp_ieee_overflow 0
		.amdhsa_exception_fp_ieee_underflow 0
		.amdhsa_exception_fp_ieee_inexact 0
		.amdhsa_exception_int_div_zero 0
	.end_amdhsa_kernel
	.section	.text._ZN2at6native14lpnorm_cleanupIN3c108BFloat16ELNS0_8NormTypeE1ES3_Lb1EfEEvPKT3_NS0_19TensorListAddressesEi,"axG",@progbits,_ZN2at6native14lpnorm_cleanupIN3c108BFloat16ELNS0_8NormTypeE1ES3_Lb1EfEEvPKT3_NS0_19TensorListAddressesEi,comdat
.Lfunc_end145:
	.size	_ZN2at6native14lpnorm_cleanupIN3c108BFloat16ELNS0_8NormTypeE1ES3_Lb1EfEEvPKT3_NS0_19TensorListAddressesEi, .Lfunc_end145-_ZN2at6native14lpnorm_cleanupIN3c108BFloat16ELNS0_8NormTypeE1ES3_Lb1EfEEvPKT3_NS0_19TensorListAddressesEi
                                        ; -- End function
	.set _ZN2at6native14lpnorm_cleanupIN3c108BFloat16ELNS0_8NormTypeE1ES3_Lb1EfEEvPKT3_NS0_19TensorListAddressesEi.num_vgpr, 11
	.set _ZN2at6native14lpnorm_cleanupIN3c108BFloat16ELNS0_8NormTypeE1ES3_Lb1EfEEvPKT3_NS0_19TensorListAddressesEi.num_agpr, 0
	.set _ZN2at6native14lpnorm_cleanupIN3c108BFloat16ELNS0_8NormTypeE1ES3_Lb1EfEEvPKT3_NS0_19TensorListAddressesEi.numbered_sgpr, 16
	.set _ZN2at6native14lpnorm_cleanupIN3c108BFloat16ELNS0_8NormTypeE1ES3_Lb1EfEEvPKT3_NS0_19TensorListAddressesEi.num_named_barrier, 0
	.set _ZN2at6native14lpnorm_cleanupIN3c108BFloat16ELNS0_8NormTypeE1ES3_Lb1EfEEvPKT3_NS0_19TensorListAddressesEi.private_seg_size, 0
	.set _ZN2at6native14lpnorm_cleanupIN3c108BFloat16ELNS0_8NormTypeE1ES3_Lb1EfEEvPKT3_NS0_19TensorListAddressesEi.uses_vcc, 1
	.set _ZN2at6native14lpnorm_cleanupIN3c108BFloat16ELNS0_8NormTypeE1ES3_Lb1EfEEvPKT3_NS0_19TensorListAddressesEi.uses_flat_scratch, 0
	.set _ZN2at6native14lpnorm_cleanupIN3c108BFloat16ELNS0_8NormTypeE1ES3_Lb1EfEEvPKT3_NS0_19TensorListAddressesEi.has_dyn_sized_stack, 0
	.set _ZN2at6native14lpnorm_cleanupIN3c108BFloat16ELNS0_8NormTypeE1ES3_Lb1EfEEvPKT3_NS0_19TensorListAddressesEi.has_recursion, 0
	.set _ZN2at6native14lpnorm_cleanupIN3c108BFloat16ELNS0_8NormTypeE1ES3_Lb1EfEEvPKT3_NS0_19TensorListAddressesEi.has_indirect_call, 0
	.section	.AMDGPU.csdata,"",@progbits
; Kernel info:
; codeLenInByte = 704
; TotalNumSgprs: 22
; NumVgprs: 11
; NumAgprs: 0
; TotalNumVgprs: 11
; ScratchSize: 0
; MemoryBound: 0
; FloatMode: 240
; IeeeMode: 1
; LDSByteSize: 2048 bytes/workgroup (compile time only)
; SGPRBlocks: 2
; VGPRBlocks: 1
; NumSGPRsForWavesPerEU: 22
; NumVGPRsForWavesPerEU: 11
; AccumOffset: 12
; Occupancy: 8
; WaveLimiterHint : 0
; COMPUTE_PGM_RSRC2:SCRATCH_EN: 0
; COMPUTE_PGM_RSRC2:USER_SGPR: 2
; COMPUTE_PGM_RSRC2:TRAP_HANDLER: 0
; COMPUTE_PGM_RSRC2:TGID_X_EN: 1
; COMPUTE_PGM_RSRC2:TGID_Y_EN: 0
; COMPUTE_PGM_RSRC2:TGID_Z_EN: 0
; COMPUTE_PGM_RSRC2:TIDIG_COMP_CNT: 0
; COMPUTE_PGM_RSRC3_GFX90A:ACCUM_OFFSET: 2
; COMPUTE_PGM_RSRC3_GFX90A:TG_SPLIT: 0
	.section	.text._ZN2at6native14lpnorm_cleanupIN3c108BFloat16ELNS0_8NormTypeE2ES3_Lb1EfEEvPKT3_NS0_19TensorListAddressesEi,"axG",@progbits,_ZN2at6native14lpnorm_cleanupIN3c108BFloat16ELNS0_8NormTypeE2ES3_Lb1EfEEvPKT3_NS0_19TensorListAddressesEi,comdat
	.protected	_ZN2at6native14lpnorm_cleanupIN3c108BFloat16ELNS0_8NormTypeE2ES3_Lb1EfEEvPKT3_NS0_19TensorListAddressesEi ; -- Begin function _ZN2at6native14lpnorm_cleanupIN3c108BFloat16ELNS0_8NormTypeE2ES3_Lb1EfEEvPKT3_NS0_19TensorListAddressesEi
	.globl	_ZN2at6native14lpnorm_cleanupIN3c108BFloat16ELNS0_8NormTypeE2ES3_Lb1EfEEvPKT3_NS0_19TensorListAddressesEi
	.p2align	8
	.type	_ZN2at6native14lpnorm_cleanupIN3c108BFloat16ELNS0_8NormTypeE2ES3_Lb1EfEEvPKT3_NS0_19TensorListAddressesEi,@function
_ZN2at6native14lpnorm_cleanupIN3c108BFloat16ELNS0_8NormTypeE2ES3_Lb1EfEEvPKT3_NS0_19TensorListAddressesEi: ; @_ZN2at6native14lpnorm_cleanupIN3c108BFloat16ELNS0_8NormTypeE2ES3_Lb1EfEEvPKT3_NS0_19TensorListAddressesEi
; %bb.0:
	s_load_dword s6, s[0:1], 0xc88
	v_mov_b32_e32 v1, 0
	s_waitcnt lgkmcnt(0)
	v_cmp_gt_u32_e32 vcc, s6, v0
	s_and_saveexec_b64 s[4:5], vcc
	s_cbranch_execz .LBB146_4
; %bb.1:
	s_load_dwordx2 s[12:13], s[0:1], 0x0
	s_load_dword s3, s[0:1], 0xc9c
	s_mul_i32 s8, s6, s2
	s_mov_b32 s9, 0
	s_ashr_i32 s7, s6, 31
	s_lshl_b64 s[14:15], s[8:9], 2
	s_waitcnt lgkmcnt(0)
	s_and_b32 s10, s3, 0xffff
	v_mov_b32_e32 v1, 0
	s_add_u32 s12, s12, s14
	v_lshlrev_b32_e32 v2, 2, v0
	v_mov_b32_e32 v3, v1
	s_addc_u32 s13, s13, s15
	s_mov_b32 s11, s9
	v_lshl_add_u64 v[2:3], s[12:13], 0, v[2:3]
	s_lshl_b32 s8, s10, 2
	s_mov_b64 s[12:13], 0
	v_mov_b64_e32 v[4:5], v[0:1]
.LBB146_2:                              ; =>This Inner Loop Header: Depth=1
	global_load_dword v6, v[2:3], off
	v_lshl_add_u64 v[4:5], v[4:5], 0, s[10:11]
	v_cmp_le_u64_e32 vcc, s[6:7], v[4:5]
	v_lshl_add_u64 v[2:3], v[2:3], 0, s[8:9]
	s_or_b64 s[12:13], vcc, s[12:13]
	s_waitcnt vmcnt(0)
	v_add_f32_e32 v1, v1, v6
	s_andn2_b64 exec, exec, s[12:13]
	s_cbranch_execnz .LBB146_2
; %bb.3:
	s_or_b64 exec, exec, s[12:13]
.LBB146_4:
	s_or_b64 exec, exec, s[4:5]
	v_mbcnt_lo_u32_b32 v2, -1, 0
	v_mbcnt_hi_u32_b32 v6, -1, v2
	v_mov_b32_e32 v2, 0x80
	v_lshl_or_b32 v2, v6, 2, v2
	ds_bpermute_b32 v3, v2, v1
	v_and_b32_e32 v7, 63, v6
	v_cmp_gt_u32_e32 vcc, 48, v7
	s_waitcnt lgkmcnt(0)
	s_barrier
	v_cndmask_b32_e64 v4, 0, 16, vcc
	v_add_f32_e32 v5, v1, v3
	v_add_lshl_u32 v1, v4, v6, 2
	ds_bpermute_b32 v4, v1, v5
	v_cmp_gt_u32_e32 vcc, 56, v7
	s_waitcnt lgkmcnt(0)
	v_add_f32_e32 v5, v5, v4
	v_cndmask_b32_e64 v3, 0, 8, vcc
	v_add_lshl_u32 v3, v3, v6, 2
	ds_bpermute_b32 v8, v3, v5
	v_cmp_gt_u32_e32 vcc, 60, v7
	s_waitcnt lgkmcnt(0)
	v_add_f32_e32 v8, v5, v8
	v_cndmask_b32_e64 v4, 0, 4, vcc
	;; [unrolled: 6-line block ×3, first 2 shown]
	v_add_lshl_u32 v5, v5, v6, 2
	ds_bpermute_b32 v10, v5, v9
	v_cmp_ne_u32_e32 vcc, 63, v7
	v_and_b32_e32 v8, 63, v0
	s_nop 0
	v_addc_co_u32_e32 v7, vcc, 0, v6, vcc
	s_waitcnt lgkmcnt(0)
	v_add_f32_e32 v6, v9, v10
	v_lshlrev_b32_e32 v7, 2, v7
	ds_bpermute_b32 v9, v7, v6
	v_cmp_eq_u32_e32 vcc, 0, v8
	s_and_saveexec_b64 s[4:5], vcc
	s_cbranch_execz .LBB146_6
; %bb.5:
	s_waitcnt lgkmcnt(0)
	v_add_f32_e32 v6, v6, v9
	v_lshrrev_b32_e32 v9, 4, v0
	ds_write_b32 v9, v6
.LBB146_6:
	s_or_b64 exec, exec, s[4:5]
	s_waitcnt lgkmcnt(0)
	s_barrier
	s_load_dword s3, s[0:1], 0xc9c
	v_mov_b32_e32 v6, 0
	s_waitcnt lgkmcnt(0)
	s_bfe_u32 s3, s3, 0xa0006
	v_cmp_gt_u32_e32 vcc, s3, v0
	s_and_saveexec_b64 s[4:5], vcc
; %bb.7:
	v_lshlrev_b32_e32 v6, 2, v8
	ds_read_b32 v6, v6
; %bb.8:
	s_or_b64 exec, exec, s[4:5]
	v_cmp_gt_u32_e32 vcc, 64, v0
	s_and_saveexec_b64 s[4:5], vcc
	s_cbranch_execz .LBB146_10
; %bb.9:
	s_waitcnt lgkmcnt(0)
	ds_bpermute_b32 v2, v2, v6
	s_waitcnt lgkmcnt(0)
	v_add_f32_e32 v2, v6, v2
	ds_bpermute_b32 v1, v1, v2
	s_waitcnt lgkmcnt(0)
	v_add_f32_e32 v1, v2, v1
	;; [unrolled: 3-line block ×6, first 2 shown]
.LBB146_10:
	s_or_b64 exec, exec, s[4:5]
	s_mov_b32 s3, 0
	v_cmp_eq_u32_e32 vcc, 0, v0
	s_and_saveexec_b64 s[4:5], vcc
	s_cbranch_execz .LBB146_12
; %bb.11:
	s_mov_b32 s4, 0xf800000
	s_waitcnt lgkmcnt(0)
	v_mul_f32_e32 v0, 0x4f800000, v6
	v_cmp_gt_f32_e32 vcc, s4, v6
	s_lshl_b64 s[2:3], s[2:3], 3
	s_add_u32 s0, s0, s2
	v_cndmask_b32_e32 v0, v6, v0, vcc
	v_sqrt_f32_e32 v1, v0
	s_addc_u32 s1, s1, s3
	s_load_dwordx2 s[0:1], s[0:1], 0x8
	v_add_u32_e32 v2, -1, v1
	v_fma_f32 v3, -v2, v1, v0
	v_cmp_ge_f32_e64 s[4:5], 0, v3
	v_add_u32_e32 v3, 1, v1
	s_nop 0
	v_cndmask_b32_e64 v2, v1, v2, s[4:5]
	v_fma_f32 v1, -v3, v1, v0
	v_cmp_lt_f32_e64 s[4:5], 0, v1
	s_nop 1
	v_cndmask_b32_e64 v1, v2, v3, s[4:5]
	v_mul_f32_e32 v2, 0x37800000, v1
	v_cndmask_b32_e32 v1, v1, v2, vcc
	v_mov_b32_e32 v2, 0x260
	v_cmp_class_f32_e32 vcc, v0, v2
	s_movk_i32 s4, 0x7fff
	s_nop 0
	v_cndmask_b32_e32 v0, v1, v0, vcc
	v_bfe_u32 v1, v0, 16, 1
	v_add3_u32 v0, v0, v1, s4
	v_cmp_le_f32_e32 vcc, 0, v6
	v_mov_b32_e32 v1, 0x7fc0
	s_nop 0
	v_cndmask_b32_sdwa v0, v1, v0, vcc dst_sel:DWORD dst_unused:UNUSED_PAD src0_sel:DWORD src1_sel:WORD_1
	v_mov_b32_e32 v1, 0
	s_waitcnt lgkmcnt(0)
	global_store_short v1, v0, s[0:1]
.LBB146_12:
	s_endpgm
	.section	.rodata,"a",@progbits
	.p2align	6, 0x0
	.amdhsa_kernel _ZN2at6native14lpnorm_cleanupIN3c108BFloat16ELNS0_8NormTypeE2ES3_Lb1EfEEvPKT3_NS0_19TensorListAddressesEi
		.amdhsa_group_segment_fixed_size 2048
		.amdhsa_private_segment_fixed_size 0
		.amdhsa_kernarg_size 3472
		.amdhsa_user_sgpr_count 2
		.amdhsa_user_sgpr_dispatch_ptr 0
		.amdhsa_user_sgpr_queue_ptr 0
		.amdhsa_user_sgpr_kernarg_segment_ptr 1
		.amdhsa_user_sgpr_dispatch_id 0
		.amdhsa_user_sgpr_kernarg_preload_length 0
		.amdhsa_user_sgpr_kernarg_preload_offset 0
		.amdhsa_user_sgpr_private_segment_size 0
		.amdhsa_uses_dynamic_stack 0
		.amdhsa_enable_private_segment 0
		.amdhsa_system_sgpr_workgroup_id_x 1
		.amdhsa_system_sgpr_workgroup_id_y 0
		.amdhsa_system_sgpr_workgroup_id_z 0
		.amdhsa_system_sgpr_workgroup_info 0
		.amdhsa_system_vgpr_workitem_id 0
		.amdhsa_next_free_vgpr 11
		.amdhsa_next_free_sgpr 16
		.amdhsa_accum_offset 12
		.amdhsa_reserve_vcc 1
		.amdhsa_float_round_mode_32 0
		.amdhsa_float_round_mode_16_64 0
		.amdhsa_float_denorm_mode_32 3
		.amdhsa_float_denorm_mode_16_64 3
		.amdhsa_dx10_clamp 1
		.amdhsa_ieee_mode 1
		.amdhsa_fp16_overflow 0
		.amdhsa_tg_split 0
		.amdhsa_exception_fp_ieee_invalid_op 0
		.amdhsa_exception_fp_denorm_src 0
		.amdhsa_exception_fp_ieee_div_zero 0
		.amdhsa_exception_fp_ieee_overflow 0
		.amdhsa_exception_fp_ieee_underflow 0
		.amdhsa_exception_fp_ieee_inexact 0
		.amdhsa_exception_int_div_zero 0
	.end_amdhsa_kernel
	.section	.text._ZN2at6native14lpnorm_cleanupIN3c108BFloat16ELNS0_8NormTypeE2ES3_Lb1EfEEvPKT3_NS0_19TensorListAddressesEi,"axG",@progbits,_ZN2at6native14lpnorm_cleanupIN3c108BFloat16ELNS0_8NormTypeE2ES3_Lb1EfEEvPKT3_NS0_19TensorListAddressesEi,comdat
.Lfunc_end146:
	.size	_ZN2at6native14lpnorm_cleanupIN3c108BFloat16ELNS0_8NormTypeE2ES3_Lb1EfEEvPKT3_NS0_19TensorListAddressesEi, .Lfunc_end146-_ZN2at6native14lpnorm_cleanupIN3c108BFloat16ELNS0_8NormTypeE2ES3_Lb1EfEEvPKT3_NS0_19TensorListAddressesEi
                                        ; -- End function
	.set _ZN2at6native14lpnorm_cleanupIN3c108BFloat16ELNS0_8NormTypeE2ES3_Lb1EfEEvPKT3_NS0_19TensorListAddressesEi.num_vgpr, 11
	.set _ZN2at6native14lpnorm_cleanupIN3c108BFloat16ELNS0_8NormTypeE2ES3_Lb1EfEEvPKT3_NS0_19TensorListAddressesEi.num_agpr, 0
	.set _ZN2at6native14lpnorm_cleanupIN3c108BFloat16ELNS0_8NormTypeE2ES3_Lb1EfEEvPKT3_NS0_19TensorListAddressesEi.numbered_sgpr, 16
	.set _ZN2at6native14lpnorm_cleanupIN3c108BFloat16ELNS0_8NormTypeE2ES3_Lb1EfEEvPKT3_NS0_19TensorListAddressesEi.num_named_barrier, 0
	.set _ZN2at6native14lpnorm_cleanupIN3c108BFloat16ELNS0_8NormTypeE2ES3_Lb1EfEEvPKT3_NS0_19TensorListAddressesEi.private_seg_size, 0
	.set _ZN2at6native14lpnorm_cleanupIN3c108BFloat16ELNS0_8NormTypeE2ES3_Lb1EfEEvPKT3_NS0_19TensorListAddressesEi.uses_vcc, 1
	.set _ZN2at6native14lpnorm_cleanupIN3c108BFloat16ELNS0_8NormTypeE2ES3_Lb1EfEEvPKT3_NS0_19TensorListAddressesEi.uses_flat_scratch, 0
	.set _ZN2at6native14lpnorm_cleanupIN3c108BFloat16ELNS0_8NormTypeE2ES3_Lb1EfEEvPKT3_NS0_19TensorListAddressesEi.has_dyn_sized_stack, 0
	.set _ZN2at6native14lpnorm_cleanupIN3c108BFloat16ELNS0_8NormTypeE2ES3_Lb1EfEEvPKT3_NS0_19TensorListAddressesEi.has_recursion, 0
	.set _ZN2at6native14lpnorm_cleanupIN3c108BFloat16ELNS0_8NormTypeE2ES3_Lb1EfEEvPKT3_NS0_19TensorListAddressesEi.has_indirect_call, 0
	.section	.AMDGPU.csdata,"",@progbits
; Kernel info:
; codeLenInByte = 836
; TotalNumSgprs: 22
; NumVgprs: 11
; NumAgprs: 0
; TotalNumVgprs: 11
; ScratchSize: 0
; MemoryBound: 0
; FloatMode: 240
; IeeeMode: 1
; LDSByteSize: 2048 bytes/workgroup (compile time only)
; SGPRBlocks: 2
; VGPRBlocks: 1
; NumSGPRsForWavesPerEU: 22
; NumVGPRsForWavesPerEU: 11
; AccumOffset: 12
; Occupancy: 8
; WaveLimiterHint : 0
; COMPUTE_PGM_RSRC2:SCRATCH_EN: 0
; COMPUTE_PGM_RSRC2:USER_SGPR: 2
; COMPUTE_PGM_RSRC2:TRAP_HANDLER: 0
; COMPUTE_PGM_RSRC2:TGID_X_EN: 1
; COMPUTE_PGM_RSRC2:TGID_Y_EN: 0
; COMPUTE_PGM_RSRC2:TGID_Z_EN: 0
; COMPUTE_PGM_RSRC2:TIDIG_COMP_CNT: 0
; COMPUTE_PGM_RSRC3_GFX90A:ACCUM_OFFSET: 2
; COMPUTE_PGM_RSRC3_GFX90A:TG_SPLIT: 0
	.section	.text._ZN2at6native14lpnorm_cleanupIN3c108BFloat16ELNS0_8NormTypeE3ES3_Lb1EfEEvPKT3_NS0_19TensorListAddressesEi,"axG",@progbits,_ZN2at6native14lpnorm_cleanupIN3c108BFloat16ELNS0_8NormTypeE3ES3_Lb1EfEEvPKT3_NS0_19TensorListAddressesEi,comdat
	.protected	_ZN2at6native14lpnorm_cleanupIN3c108BFloat16ELNS0_8NormTypeE3ES3_Lb1EfEEvPKT3_NS0_19TensorListAddressesEi ; -- Begin function _ZN2at6native14lpnorm_cleanupIN3c108BFloat16ELNS0_8NormTypeE3ES3_Lb1EfEEvPKT3_NS0_19TensorListAddressesEi
	.globl	_ZN2at6native14lpnorm_cleanupIN3c108BFloat16ELNS0_8NormTypeE3ES3_Lb1EfEEvPKT3_NS0_19TensorListAddressesEi
	.p2align	8
	.type	_ZN2at6native14lpnorm_cleanupIN3c108BFloat16ELNS0_8NormTypeE3ES3_Lb1EfEEvPKT3_NS0_19TensorListAddressesEi,@function
_ZN2at6native14lpnorm_cleanupIN3c108BFloat16ELNS0_8NormTypeE3ES3_Lb1EfEEvPKT3_NS0_19TensorListAddressesEi: ; @_ZN2at6native14lpnorm_cleanupIN3c108BFloat16ELNS0_8NormTypeE3ES3_Lb1EfEEvPKT3_NS0_19TensorListAddressesEi
; %bb.0:
	s_load_dword s10, s[0:1], 0xc88
	v_mov_b32_e32 v1, 0
	s_waitcnt lgkmcnt(0)
	v_cmp_gt_u32_e32 vcc, s10, v0
	s_and_saveexec_b64 s[8:9], vcc
	s_cbranch_execz .LBB147_4
; %bb.1:
	s_load_dwordx2 s[4:5], s[0:1], 0x0
	s_load_dword s3, s[0:1], 0xc9c
	s_mul_i32 s12, s10, s2
	s_mov_b32 s13, 0
	s_ashr_i32 s11, s10, 31
	s_lshl_b64 s[6:7], s[12:13], 2
	s_waitcnt lgkmcnt(0)
	s_and_b32 s14, s3, 0xffff
	v_mov_b32_e32 v1, 0
	s_add_u32 s4, s4, s6
	v_lshlrev_b32_e32 v2, 2, v0
	v_mov_b32_e32 v3, v1
	s_addc_u32 s5, s5, s7
	s_mov_b32 s15, s13
	v_lshl_add_u64 v[2:3], s[4:5], 0, v[2:3]
	s_lshl_b32 s12, s14, 2
	s_mov_b64 s[16:17], 0
	v_mov_b64_e32 v[4:5], v[0:1]
.LBB147_2:                              ; =>This Inner Loop Header: Depth=1
	global_load_dword v6, v[2:3], off
	v_lshl_add_u64 v[4:5], v[4:5], 0, s[14:15]
	v_cmp_le_u64_e32 vcc, s[10:11], v[4:5]
	v_lshl_add_u64 v[2:3], v[2:3], 0, s[12:13]
	s_waitcnt vmcnt(0)
	v_cmp_u_f32_e64 s[4:5], v6, v6
	v_cmp_lt_f32_e64 s[6:7], v1, v6
	s_or_b64 s[4:5], s[4:5], s[6:7]
	s_or_b64 s[16:17], vcc, s[16:17]
	v_cndmask_b32_e64 v1, v1, v6, s[4:5]
	s_andn2_b64 exec, exec, s[16:17]
	s_cbranch_execnz .LBB147_2
; %bb.3:
	s_or_b64 exec, exec, s[16:17]
.LBB147_4:
	s_or_b64 exec, exec, s[8:9]
	v_mbcnt_lo_u32_b32 v2, -1, 0
	v_mbcnt_hi_u32_b32 v6, -1, v2
	v_mov_b32_e32 v2, 0x80
	v_lshl_or_b32 v2, v6, 2, v2
	ds_bpermute_b32 v3, v2, v1
	v_and_b32_e32 v9, 63, v6
	s_waitcnt lgkmcnt(0)
	s_barrier
	v_cmp_u_f32_e32 vcc, v3, v3
	v_cmp_lt_f32_e64 s[4:5], v1, v3
	s_or_b64 vcc, vcc, s[4:5]
	v_cndmask_b32_e32 v3, v1, v3, vcc
	v_cmp_gt_u32_e32 vcc, 48, v9
	s_nop 1
	v_cndmask_b32_e64 v1, 0, 16, vcc
	v_add_lshl_u32 v1, v1, v6, 2
	ds_bpermute_b32 v4, v1, v3
	s_waitcnt lgkmcnt(0)
	v_cmp_u_f32_e32 vcc, v4, v4
	v_cmp_lt_f32_e64 s[4:5], v3, v4
	s_or_b64 vcc, vcc, s[4:5]
	v_cndmask_b32_e32 v4, v3, v4, vcc
	v_cmp_gt_u32_e32 vcc, 56, v9
	s_nop 1
	v_cndmask_b32_e64 v3, 0, 8, vcc
	v_add_lshl_u32 v3, v3, v6, 2
	ds_bpermute_b32 v5, v3, v4
	s_waitcnt lgkmcnt(0)
	;; [unrolled: 10-line block ×3, first 2 shown]
	v_cmp_u_f32_e32 vcc, v7, v7
	v_cmp_lt_f32_e64 s[4:5], v5, v7
	s_or_b64 vcc, vcc, s[4:5]
	v_cndmask_b32_e32 v8, v5, v7, vcc
	v_cmp_gt_u32_e32 vcc, 62, v9
	v_and_b32_e32 v7, 63, v0
	s_nop 0
	v_cndmask_b32_e64 v5, 0, 2, vcc
	v_add_lshl_u32 v5, v5, v6, 2
	ds_bpermute_b32 v10, v5, v8
	s_waitcnt lgkmcnt(0)
	v_cmp_u_f32_e32 vcc, v10, v10
	v_cmp_lt_f32_e64 s[4:5], v8, v10
	s_or_b64 vcc, vcc, s[4:5]
	v_cndmask_b32_e32 v8, v8, v10, vcc
	v_cmp_ne_u32_e32 vcc, 63, v9
	s_nop 1
	v_addc_co_u32_e32 v6, vcc, 0, v6, vcc
	v_lshlrev_b32_e32 v6, 2, v6
	ds_bpermute_b32 v9, v6, v8
	v_cmp_eq_u32_e32 vcc, 0, v7
	s_and_saveexec_b64 s[6:7], vcc
	s_cbranch_execz .LBB147_6
; %bb.5:
	s_waitcnt lgkmcnt(0)
	v_cmp_u_f32_e32 vcc, v9, v9
	v_cmp_lt_f32_e64 s[4:5], v8, v9
	s_or_b64 vcc, vcc, s[4:5]
	v_cndmask_b32_e32 v8, v8, v9, vcc
	v_lshrrev_b32_e32 v9, 4, v0
	ds_write_b32 v9, v8
.LBB147_6:
	s_or_b64 exec, exec, s[6:7]
	s_waitcnt lgkmcnt(0)
	s_barrier
	s_load_dword s3, s[0:1], 0xc9c
	v_mov_b32_e32 v8, 0xff7fffff
	s_waitcnt lgkmcnt(0)
	s_bfe_u32 s3, s3, 0xa0006
	v_cmp_gt_u32_e32 vcc, s3, v0
	s_and_saveexec_b64 s[4:5], vcc
; %bb.7:
	v_lshlrev_b32_e32 v7, 2, v7
	ds_read_b32 v8, v7
; %bb.8:
	s_or_b64 exec, exec, s[4:5]
	v_cmp_gt_u32_e32 vcc, 64, v0
	s_and_saveexec_b64 s[6:7], vcc
	s_cbranch_execz .LBB147_10
; %bb.9:
	s_waitcnt lgkmcnt(0)
	ds_bpermute_b32 v2, v2, v8
	s_waitcnt lgkmcnt(0)
	v_cmp_u_f32_e32 vcc, v2, v2
	v_cmp_lt_f32_e64 s[4:5], v8, v2
	s_or_b64 vcc, vcc, s[4:5]
	v_cndmask_b32_e32 v2, v8, v2, vcc
	ds_bpermute_b32 v1, v1, v2
	s_waitcnt lgkmcnt(0)
	v_cmp_u_f32_e32 vcc, v1, v1
	v_cmp_lt_f32_e64 s[4:5], v2, v1
	s_or_b64 vcc, vcc, s[4:5]
	v_cndmask_b32_e32 v1, v2, v1, vcc
	;; [unrolled: 6-line block ×6, first 2 shown]
.LBB147_10:
	s_or_b64 exec, exec, s[6:7]
	s_mov_b32 s3, 0
	v_cmp_eq_u32_e32 vcc, 0, v0
	s_and_saveexec_b64 s[4:5], vcc
	s_cbranch_execz .LBB147_12
; %bb.11:
	s_lshl_b64 s[2:3], s[2:3], 3
	s_add_u32 s0, s0, s2
	s_addc_u32 s1, s1, s3
	s_load_dwordx2 s[0:1], s[0:1], 0x8
	s_waitcnt lgkmcnt(0)
	v_bfe_u32 v0, v8, 16, 1
	s_movk_i32 s4, 0x7fff
	v_add3_u32 v0, v8, v0, s4
	v_cmp_o_f32_e32 vcc, v8, v8
	v_mov_b32_e32 v1, 0x7fc0
	s_nop 0
	v_cndmask_b32_sdwa v0, v1, v0, vcc dst_sel:DWORD dst_unused:UNUSED_PAD src0_sel:DWORD src1_sel:WORD_1
	v_mov_b32_e32 v1, 0
	global_store_short v1, v0, s[0:1]
.LBB147_12:
	s_endpgm
	.section	.rodata,"a",@progbits
	.p2align	6, 0x0
	.amdhsa_kernel _ZN2at6native14lpnorm_cleanupIN3c108BFloat16ELNS0_8NormTypeE3ES3_Lb1EfEEvPKT3_NS0_19TensorListAddressesEi
		.amdhsa_group_segment_fixed_size 2048
		.amdhsa_private_segment_fixed_size 0
		.amdhsa_kernarg_size 3472
		.amdhsa_user_sgpr_count 2
		.amdhsa_user_sgpr_dispatch_ptr 0
		.amdhsa_user_sgpr_queue_ptr 0
		.amdhsa_user_sgpr_kernarg_segment_ptr 1
		.amdhsa_user_sgpr_dispatch_id 0
		.amdhsa_user_sgpr_kernarg_preload_length 0
		.amdhsa_user_sgpr_kernarg_preload_offset 0
		.amdhsa_user_sgpr_private_segment_size 0
		.amdhsa_uses_dynamic_stack 0
		.amdhsa_enable_private_segment 0
		.amdhsa_system_sgpr_workgroup_id_x 1
		.amdhsa_system_sgpr_workgroup_id_y 0
		.amdhsa_system_sgpr_workgroup_id_z 0
		.amdhsa_system_sgpr_workgroup_info 0
		.amdhsa_system_vgpr_workitem_id 0
		.amdhsa_next_free_vgpr 11
		.amdhsa_next_free_sgpr 18
		.amdhsa_accum_offset 12
		.amdhsa_reserve_vcc 1
		.amdhsa_float_round_mode_32 0
		.amdhsa_float_round_mode_16_64 0
		.amdhsa_float_denorm_mode_32 3
		.amdhsa_float_denorm_mode_16_64 3
		.amdhsa_dx10_clamp 1
		.amdhsa_ieee_mode 1
		.amdhsa_fp16_overflow 0
		.amdhsa_tg_split 0
		.amdhsa_exception_fp_ieee_invalid_op 0
		.amdhsa_exception_fp_denorm_src 0
		.amdhsa_exception_fp_ieee_div_zero 0
		.amdhsa_exception_fp_ieee_overflow 0
		.amdhsa_exception_fp_ieee_underflow 0
		.amdhsa_exception_fp_ieee_inexact 0
		.amdhsa_exception_int_div_zero 0
	.end_amdhsa_kernel
	.section	.text._ZN2at6native14lpnorm_cleanupIN3c108BFloat16ELNS0_8NormTypeE3ES3_Lb1EfEEvPKT3_NS0_19TensorListAddressesEi,"axG",@progbits,_ZN2at6native14lpnorm_cleanupIN3c108BFloat16ELNS0_8NormTypeE3ES3_Lb1EfEEvPKT3_NS0_19TensorListAddressesEi,comdat
.Lfunc_end147:
	.size	_ZN2at6native14lpnorm_cleanupIN3c108BFloat16ELNS0_8NormTypeE3ES3_Lb1EfEEvPKT3_NS0_19TensorListAddressesEi, .Lfunc_end147-_ZN2at6native14lpnorm_cleanupIN3c108BFloat16ELNS0_8NormTypeE3ES3_Lb1EfEEvPKT3_NS0_19TensorListAddressesEi
                                        ; -- End function
	.set _ZN2at6native14lpnorm_cleanupIN3c108BFloat16ELNS0_8NormTypeE3ES3_Lb1EfEEvPKT3_NS0_19TensorListAddressesEi.num_vgpr, 11
	.set _ZN2at6native14lpnorm_cleanupIN3c108BFloat16ELNS0_8NormTypeE3ES3_Lb1EfEEvPKT3_NS0_19TensorListAddressesEi.num_agpr, 0
	.set _ZN2at6native14lpnorm_cleanupIN3c108BFloat16ELNS0_8NormTypeE3ES3_Lb1EfEEvPKT3_NS0_19TensorListAddressesEi.numbered_sgpr, 18
	.set _ZN2at6native14lpnorm_cleanupIN3c108BFloat16ELNS0_8NormTypeE3ES3_Lb1EfEEvPKT3_NS0_19TensorListAddressesEi.num_named_barrier, 0
	.set _ZN2at6native14lpnorm_cleanupIN3c108BFloat16ELNS0_8NormTypeE3ES3_Lb1EfEEvPKT3_NS0_19TensorListAddressesEi.private_seg_size, 0
	.set _ZN2at6native14lpnorm_cleanupIN3c108BFloat16ELNS0_8NormTypeE3ES3_Lb1EfEEvPKT3_NS0_19TensorListAddressesEi.uses_vcc, 1
	.set _ZN2at6native14lpnorm_cleanupIN3c108BFloat16ELNS0_8NormTypeE3ES3_Lb1EfEEvPKT3_NS0_19TensorListAddressesEi.uses_flat_scratch, 0
	.set _ZN2at6native14lpnorm_cleanupIN3c108BFloat16ELNS0_8NormTypeE3ES3_Lb1EfEEvPKT3_NS0_19TensorListAddressesEi.has_dyn_sized_stack, 0
	.set _ZN2at6native14lpnorm_cleanupIN3c108BFloat16ELNS0_8NormTypeE3ES3_Lb1EfEEvPKT3_NS0_19TensorListAddressesEi.has_recursion, 0
	.set _ZN2at6native14lpnorm_cleanupIN3c108BFloat16ELNS0_8NormTypeE3ES3_Lb1EfEEvPKT3_NS0_19TensorListAddressesEi.has_indirect_call, 0
	.section	.AMDGPU.csdata,"",@progbits
; Kernel info:
; codeLenInByte = 944
; TotalNumSgprs: 24
; NumVgprs: 11
; NumAgprs: 0
; TotalNumVgprs: 11
; ScratchSize: 0
; MemoryBound: 0
; FloatMode: 240
; IeeeMode: 1
; LDSByteSize: 2048 bytes/workgroup (compile time only)
; SGPRBlocks: 2
; VGPRBlocks: 1
; NumSGPRsForWavesPerEU: 24
; NumVGPRsForWavesPerEU: 11
; AccumOffset: 12
; Occupancy: 8
; WaveLimiterHint : 0
; COMPUTE_PGM_RSRC2:SCRATCH_EN: 0
; COMPUTE_PGM_RSRC2:USER_SGPR: 2
; COMPUTE_PGM_RSRC2:TRAP_HANDLER: 0
; COMPUTE_PGM_RSRC2:TGID_X_EN: 1
; COMPUTE_PGM_RSRC2:TGID_Y_EN: 0
; COMPUTE_PGM_RSRC2:TGID_Z_EN: 0
; COMPUTE_PGM_RSRC2:TIDIG_COMP_CNT: 0
; COMPUTE_PGM_RSRC3_GFX90A:ACCUM_OFFSET: 2
; COMPUTE_PGM_RSRC3_GFX90A:TG_SPLIT: 0
	.section	.text._ZN2at6native14lpnorm_cleanupIdLNS0_8NormTypeE0EdLb0EdEEvPKT3_NS0_19TensorListAddressesEi,"axG",@progbits,_ZN2at6native14lpnorm_cleanupIdLNS0_8NormTypeE0EdLb0EdEEvPKT3_NS0_19TensorListAddressesEi,comdat
	.protected	_ZN2at6native14lpnorm_cleanupIdLNS0_8NormTypeE0EdLb0EdEEvPKT3_NS0_19TensorListAddressesEi ; -- Begin function _ZN2at6native14lpnorm_cleanupIdLNS0_8NormTypeE0EdLb0EdEEvPKT3_NS0_19TensorListAddressesEi
	.globl	_ZN2at6native14lpnorm_cleanupIdLNS0_8NormTypeE0EdLb0EdEEvPKT3_NS0_19TensorListAddressesEi
	.p2align	8
	.type	_ZN2at6native14lpnorm_cleanupIdLNS0_8NormTypeE0EdLb0EdEEvPKT3_NS0_19TensorListAddressesEi,@function
_ZN2at6native14lpnorm_cleanupIdLNS0_8NormTypeE0EdLb0EdEEvPKT3_NS0_19TensorListAddressesEi: ; @_ZN2at6native14lpnorm_cleanupIdLNS0_8NormTypeE0EdLb0EdEEvPKT3_NS0_19TensorListAddressesEi
; %bb.0:
	s_load_dword s6, s[0:1], 0xc88
	v_mov_b64_e32 v[2:3], 0
	s_waitcnt lgkmcnt(0)
	v_cmp_gt_u32_e32 vcc, s6, v0
	s_and_saveexec_b64 s[4:5], vcc
	s_cbranch_execz .LBB148_4
; %bb.1:
	s_load_dwordx2 s[12:13], s[0:1], 0x0
	s_load_dword s3, s[0:1], 0xc9c
	s_mul_i32 s8, s6, s2
	s_mov_b32 s9, 0
	s_ashr_i32 s7, s6, 31
	s_lshl_b64 s[14:15], s[8:9], 3
	s_waitcnt lgkmcnt(0)
	s_and_b32 s10, s3, 0xffff
	v_mov_b32_e32 v1, 0
	s_add_u32 s12, s12, s14
	v_lshlrev_b32_e32 v2, 3, v0
	v_mov_b32_e32 v3, v1
	s_addc_u32 s13, s13, s15
	s_mov_b32 s11, s9
	v_lshl_add_u64 v[4:5], s[12:13], 0, v[2:3]
	s_lshl_b32 s8, s10, 3
	v_mov_b64_e32 v[2:3], 0
	s_mov_b64 s[12:13], 0
	v_mov_b64_e32 v[6:7], v[0:1]
.LBB148_2:                              ; =>This Inner Loop Header: Depth=1
	global_load_dwordx2 v[8:9], v[4:5], off
	v_lshl_add_u64 v[6:7], v[6:7], 0, s[10:11]
	v_cmp_le_u64_e32 vcc, s[6:7], v[6:7]
	v_lshl_add_u64 v[4:5], v[4:5], 0, s[8:9]
	s_or_b64 s[12:13], vcc, s[12:13]
	s_waitcnt vmcnt(0)
	v_add_f64 v[2:3], v[2:3], v[8:9]
	s_andn2_b64 exec, exec, s[12:13]
	s_cbranch_execnz .LBB148_2
; %bb.3:
	s_or_b64 exec, exec, s[12:13]
.LBB148_4:
	s_or_b64 exec, exec, s[4:5]
	v_mbcnt_lo_u32_b32 v1, -1, 0
	v_mbcnt_hi_u32_b32 v10, -1, v1
	v_mov_b32_e32 v1, 0x80
	v_lshl_or_b32 v1, v10, 2, v1
	ds_bpermute_b32 v4, v1, v2
	ds_bpermute_b32 v5, v1, v3
	v_and_b32_e32 v12, 63, v10
	v_cmp_gt_u32_e32 vcc, 48, v12
	v_and_b32_e32 v11, 63, v0
	s_waitcnt lgkmcnt(0)
	v_add_f64 v[2:3], v[2:3], v[4:5]
	v_cndmask_b32_e64 v4, 0, 16, vcc
	v_add_lshl_u32 v6, v4, v10, 2
	ds_bpermute_b32 v4, v6, v2
	ds_bpermute_b32 v5, v6, v3
	v_cmp_gt_u32_e32 vcc, 56, v12
	s_barrier
	s_waitcnt lgkmcnt(0)
	v_add_f64 v[2:3], v[2:3], v[4:5]
	v_cndmask_b32_e64 v4, 0, 8, vcc
	v_add_lshl_u32 v7, v4, v10, 2
	ds_bpermute_b32 v4, v7, v2
	ds_bpermute_b32 v5, v7, v3
	v_cmp_gt_u32_e32 vcc, 60, v12
	s_waitcnt lgkmcnt(0)
	v_add_f64 v[2:3], v[2:3], v[4:5]
	v_cndmask_b32_e64 v4, 0, 4, vcc
	v_add_lshl_u32 v8, v4, v10, 2
	ds_bpermute_b32 v4, v8, v2
	ds_bpermute_b32 v5, v8, v3
	v_cmp_gt_u32_e32 vcc, 62, v12
	s_waitcnt lgkmcnt(0)
	v_add_f64 v[2:3], v[2:3], v[4:5]
	v_cndmask_b32_e64 v4, 0, 2, vcc
	v_add_lshl_u32 v9, v4, v10, 2
	ds_bpermute_b32 v4, v9, v2
	ds_bpermute_b32 v5, v9, v3
	v_cmp_ne_u32_e32 vcc, 63, v12
	s_waitcnt lgkmcnt(0)
	v_add_f64 v[2:3], v[2:3], v[4:5]
	v_addc_co_u32_e32 v4, vcc, 0, v10, vcc
	v_lshlrev_b32_e32 v10, 2, v4
	ds_bpermute_b32 v4, v10, v2
	ds_bpermute_b32 v5, v10, v3
	v_cmp_eq_u32_e32 vcc, 0, v11
	s_and_saveexec_b64 s[4:5], vcc
	s_cbranch_execz .LBB148_6
; %bb.5:
	v_lshrrev_b32_e32 v12, 3, v0
	s_waitcnt lgkmcnt(0)
	v_add_f64 v[2:3], v[2:3], v[4:5]
	ds_write_b64 v12, v[2:3]
.LBB148_6:
	s_or_b64 exec, exec, s[4:5]
	s_waitcnt lgkmcnt(0)
	s_barrier
	s_load_dword s3, s[0:1], 0xc9c
	v_mov_b64_e32 v[2:3], 0
	s_waitcnt lgkmcnt(0)
	s_bfe_u32 s3, s3, 0xa0006
	v_cmp_gt_u32_e32 vcc, s3, v0
	s_and_saveexec_b64 s[4:5], vcc
; %bb.7:
	v_lshlrev_b32_e32 v2, 3, v11
	ds_read_b64 v[2:3], v2
; %bb.8:
	s_or_b64 exec, exec, s[4:5]
	v_cmp_gt_u32_e32 vcc, 64, v0
	s_and_saveexec_b64 s[4:5], vcc
	s_cbranch_execz .LBB148_10
; %bb.9:
	s_waitcnt lgkmcnt(0)
	ds_bpermute_b32 v4, v1, v2
	ds_bpermute_b32 v5, v1, v3
	s_waitcnt lgkmcnt(0)
	v_add_f64 v[2:3], v[2:3], v[4:5]
	ds_bpermute_b32 v4, v6, v2
	ds_bpermute_b32 v5, v6, v3
	s_waitcnt lgkmcnt(0)
	v_add_f64 v[2:3], v[2:3], v[4:5]
	;; [unrolled: 4-line block ×6, first 2 shown]
.LBB148_10:
	s_or_b64 exec, exec, s[4:5]
	s_mov_b32 s3, 0
	v_cmp_eq_u32_e32 vcc, 0, v0
	s_and_saveexec_b64 s[4:5], vcc
	s_cbranch_execz .LBB148_12
; %bb.11:
	s_lshl_b64 s[2:3], s[2:3], 3
	s_add_u32 s0, s0, s2
	s_addc_u32 s1, s1, s3
	s_load_dwordx2 s[0:1], s[0:1], 0x8
	v_mov_b32_e32 v0, 0
	s_waitcnt lgkmcnt(0)
	global_store_dwordx2 v0, v[2:3], s[0:1]
.LBB148_12:
	s_endpgm
	.section	.rodata,"a",@progbits
	.p2align	6, 0x0
	.amdhsa_kernel _ZN2at6native14lpnorm_cleanupIdLNS0_8NormTypeE0EdLb0EdEEvPKT3_NS0_19TensorListAddressesEi
		.amdhsa_group_segment_fixed_size 4096
		.amdhsa_private_segment_fixed_size 0
		.amdhsa_kernarg_size 3472
		.amdhsa_user_sgpr_count 2
		.amdhsa_user_sgpr_dispatch_ptr 0
		.amdhsa_user_sgpr_queue_ptr 0
		.amdhsa_user_sgpr_kernarg_segment_ptr 1
		.amdhsa_user_sgpr_dispatch_id 0
		.amdhsa_user_sgpr_kernarg_preload_length 0
		.amdhsa_user_sgpr_kernarg_preload_offset 0
		.amdhsa_user_sgpr_private_segment_size 0
		.amdhsa_uses_dynamic_stack 0
		.amdhsa_enable_private_segment 0
		.amdhsa_system_sgpr_workgroup_id_x 1
		.amdhsa_system_sgpr_workgroup_id_y 0
		.amdhsa_system_sgpr_workgroup_id_z 0
		.amdhsa_system_sgpr_workgroup_info 0
		.amdhsa_system_vgpr_workitem_id 0
		.amdhsa_next_free_vgpr 13
		.amdhsa_next_free_sgpr 16
		.amdhsa_accum_offset 16
		.amdhsa_reserve_vcc 1
		.amdhsa_float_round_mode_32 0
		.amdhsa_float_round_mode_16_64 0
		.amdhsa_float_denorm_mode_32 3
		.amdhsa_float_denorm_mode_16_64 3
		.amdhsa_dx10_clamp 1
		.amdhsa_ieee_mode 1
		.amdhsa_fp16_overflow 0
		.amdhsa_tg_split 0
		.amdhsa_exception_fp_ieee_invalid_op 0
		.amdhsa_exception_fp_denorm_src 0
		.amdhsa_exception_fp_ieee_div_zero 0
		.amdhsa_exception_fp_ieee_overflow 0
		.amdhsa_exception_fp_ieee_underflow 0
		.amdhsa_exception_fp_ieee_inexact 0
		.amdhsa_exception_int_div_zero 0
	.end_amdhsa_kernel
	.section	.text._ZN2at6native14lpnorm_cleanupIdLNS0_8NormTypeE0EdLb0EdEEvPKT3_NS0_19TensorListAddressesEi,"axG",@progbits,_ZN2at6native14lpnorm_cleanupIdLNS0_8NormTypeE0EdLb0EdEEvPKT3_NS0_19TensorListAddressesEi,comdat
.Lfunc_end148:
	.size	_ZN2at6native14lpnorm_cleanupIdLNS0_8NormTypeE0EdLb0EdEEvPKT3_NS0_19TensorListAddressesEi, .Lfunc_end148-_ZN2at6native14lpnorm_cleanupIdLNS0_8NormTypeE0EdLb0EdEEvPKT3_NS0_19TensorListAddressesEi
                                        ; -- End function
	.set _ZN2at6native14lpnorm_cleanupIdLNS0_8NormTypeE0EdLb0EdEEvPKT3_NS0_19TensorListAddressesEi.num_vgpr, 13
	.set _ZN2at6native14lpnorm_cleanupIdLNS0_8NormTypeE0EdLb0EdEEvPKT3_NS0_19TensorListAddressesEi.num_agpr, 0
	.set _ZN2at6native14lpnorm_cleanupIdLNS0_8NormTypeE0EdLb0EdEEvPKT3_NS0_19TensorListAddressesEi.numbered_sgpr, 16
	.set _ZN2at6native14lpnorm_cleanupIdLNS0_8NormTypeE0EdLb0EdEEvPKT3_NS0_19TensorListAddressesEi.num_named_barrier, 0
	.set _ZN2at6native14lpnorm_cleanupIdLNS0_8NormTypeE0EdLb0EdEEvPKT3_NS0_19TensorListAddressesEi.private_seg_size, 0
	.set _ZN2at6native14lpnorm_cleanupIdLNS0_8NormTypeE0EdLb0EdEEvPKT3_NS0_19TensorListAddressesEi.uses_vcc, 1
	.set _ZN2at6native14lpnorm_cleanupIdLNS0_8NormTypeE0EdLb0EdEEvPKT3_NS0_19TensorListAddressesEi.uses_flat_scratch, 0
	.set _ZN2at6native14lpnorm_cleanupIdLNS0_8NormTypeE0EdLb0EdEEvPKT3_NS0_19TensorListAddressesEi.has_dyn_sized_stack, 0
	.set _ZN2at6native14lpnorm_cleanupIdLNS0_8NormTypeE0EdLb0EdEEvPKT3_NS0_19TensorListAddressesEi.has_recursion, 0
	.set _ZN2at6native14lpnorm_cleanupIdLNS0_8NormTypeE0EdLb0EdEEvPKT3_NS0_19TensorListAddressesEi.has_indirect_call, 0
	.section	.AMDGPU.csdata,"",@progbits
; Kernel info:
; codeLenInByte = 812
; TotalNumSgprs: 22
; NumVgprs: 13
; NumAgprs: 0
; TotalNumVgprs: 13
; ScratchSize: 0
; MemoryBound: 0
; FloatMode: 240
; IeeeMode: 1
; LDSByteSize: 4096 bytes/workgroup (compile time only)
; SGPRBlocks: 2
; VGPRBlocks: 1
; NumSGPRsForWavesPerEU: 22
; NumVGPRsForWavesPerEU: 13
; AccumOffset: 16
; Occupancy: 8
; WaveLimiterHint : 0
; COMPUTE_PGM_RSRC2:SCRATCH_EN: 0
; COMPUTE_PGM_RSRC2:USER_SGPR: 2
; COMPUTE_PGM_RSRC2:TRAP_HANDLER: 0
; COMPUTE_PGM_RSRC2:TGID_X_EN: 1
; COMPUTE_PGM_RSRC2:TGID_Y_EN: 0
; COMPUTE_PGM_RSRC2:TGID_Z_EN: 0
; COMPUTE_PGM_RSRC2:TIDIG_COMP_CNT: 0
; COMPUTE_PGM_RSRC3_GFX90A:ACCUM_OFFSET: 3
; COMPUTE_PGM_RSRC3_GFX90A:TG_SPLIT: 0
	.section	.text._ZN2at6native14lpnorm_cleanupIdLNS0_8NormTypeE1EdLb0EdEEvPKT3_NS0_19TensorListAddressesEi,"axG",@progbits,_ZN2at6native14lpnorm_cleanupIdLNS0_8NormTypeE1EdLb0EdEEvPKT3_NS0_19TensorListAddressesEi,comdat
	.protected	_ZN2at6native14lpnorm_cleanupIdLNS0_8NormTypeE1EdLb0EdEEvPKT3_NS0_19TensorListAddressesEi ; -- Begin function _ZN2at6native14lpnorm_cleanupIdLNS0_8NormTypeE1EdLb0EdEEvPKT3_NS0_19TensorListAddressesEi
	.globl	_ZN2at6native14lpnorm_cleanupIdLNS0_8NormTypeE1EdLb0EdEEvPKT3_NS0_19TensorListAddressesEi
	.p2align	8
	.type	_ZN2at6native14lpnorm_cleanupIdLNS0_8NormTypeE1EdLb0EdEEvPKT3_NS0_19TensorListAddressesEi,@function
_ZN2at6native14lpnorm_cleanupIdLNS0_8NormTypeE1EdLb0EdEEvPKT3_NS0_19TensorListAddressesEi: ; @_ZN2at6native14lpnorm_cleanupIdLNS0_8NormTypeE1EdLb0EdEEvPKT3_NS0_19TensorListAddressesEi
; %bb.0:
	s_load_dword s6, s[0:1], 0xc88
	v_mov_b64_e32 v[2:3], 0
	s_waitcnt lgkmcnt(0)
	v_cmp_gt_u32_e32 vcc, s6, v0
	s_and_saveexec_b64 s[4:5], vcc
	s_cbranch_execz .LBB149_4
; %bb.1:
	s_load_dwordx2 s[12:13], s[0:1], 0x0
	s_load_dword s3, s[0:1], 0xc9c
	s_mul_i32 s8, s6, s2
	s_mov_b32 s9, 0
	s_ashr_i32 s7, s6, 31
	s_lshl_b64 s[14:15], s[8:9], 3
	s_waitcnt lgkmcnt(0)
	s_and_b32 s10, s3, 0xffff
	v_mov_b32_e32 v1, 0
	s_add_u32 s12, s12, s14
	v_lshlrev_b32_e32 v2, 3, v0
	v_mov_b32_e32 v3, v1
	s_addc_u32 s13, s13, s15
	s_mov_b32 s11, s9
	v_lshl_add_u64 v[4:5], s[12:13], 0, v[2:3]
	s_lshl_b32 s8, s10, 3
	v_mov_b64_e32 v[2:3], 0
	s_mov_b64 s[12:13], 0
	v_mov_b64_e32 v[6:7], v[0:1]
.LBB149_2:                              ; =>This Inner Loop Header: Depth=1
	global_load_dwordx2 v[8:9], v[4:5], off
	v_lshl_add_u64 v[6:7], v[6:7], 0, s[10:11]
	v_cmp_le_u64_e32 vcc, s[6:7], v[6:7]
	v_lshl_add_u64 v[4:5], v[4:5], 0, s[8:9]
	s_or_b64 s[12:13], vcc, s[12:13]
	s_waitcnt vmcnt(0)
	v_add_f64 v[2:3], v[2:3], v[8:9]
	s_andn2_b64 exec, exec, s[12:13]
	s_cbranch_execnz .LBB149_2
; %bb.3:
	s_or_b64 exec, exec, s[12:13]
.LBB149_4:
	s_or_b64 exec, exec, s[4:5]
	v_mbcnt_lo_u32_b32 v1, -1, 0
	v_mbcnt_hi_u32_b32 v10, -1, v1
	v_mov_b32_e32 v1, 0x80
	v_lshl_or_b32 v1, v10, 2, v1
	ds_bpermute_b32 v4, v1, v2
	ds_bpermute_b32 v5, v1, v3
	v_and_b32_e32 v12, 63, v10
	v_cmp_gt_u32_e32 vcc, 48, v12
	v_and_b32_e32 v11, 63, v0
	s_waitcnt lgkmcnt(0)
	v_add_f64 v[2:3], v[2:3], v[4:5]
	v_cndmask_b32_e64 v4, 0, 16, vcc
	v_add_lshl_u32 v6, v4, v10, 2
	ds_bpermute_b32 v4, v6, v2
	ds_bpermute_b32 v5, v6, v3
	v_cmp_gt_u32_e32 vcc, 56, v12
	s_barrier
	s_waitcnt lgkmcnt(0)
	v_add_f64 v[2:3], v[2:3], v[4:5]
	v_cndmask_b32_e64 v4, 0, 8, vcc
	v_add_lshl_u32 v7, v4, v10, 2
	ds_bpermute_b32 v4, v7, v2
	ds_bpermute_b32 v5, v7, v3
	v_cmp_gt_u32_e32 vcc, 60, v12
	s_waitcnt lgkmcnt(0)
	v_add_f64 v[2:3], v[2:3], v[4:5]
	v_cndmask_b32_e64 v4, 0, 4, vcc
	v_add_lshl_u32 v8, v4, v10, 2
	ds_bpermute_b32 v4, v8, v2
	ds_bpermute_b32 v5, v8, v3
	v_cmp_gt_u32_e32 vcc, 62, v12
	s_waitcnt lgkmcnt(0)
	v_add_f64 v[2:3], v[2:3], v[4:5]
	v_cndmask_b32_e64 v4, 0, 2, vcc
	v_add_lshl_u32 v9, v4, v10, 2
	ds_bpermute_b32 v4, v9, v2
	ds_bpermute_b32 v5, v9, v3
	v_cmp_ne_u32_e32 vcc, 63, v12
	s_waitcnt lgkmcnt(0)
	v_add_f64 v[2:3], v[2:3], v[4:5]
	v_addc_co_u32_e32 v4, vcc, 0, v10, vcc
	v_lshlrev_b32_e32 v10, 2, v4
	ds_bpermute_b32 v4, v10, v2
	ds_bpermute_b32 v5, v10, v3
	v_cmp_eq_u32_e32 vcc, 0, v11
	s_and_saveexec_b64 s[4:5], vcc
	s_cbranch_execz .LBB149_6
; %bb.5:
	v_lshrrev_b32_e32 v12, 3, v0
	s_waitcnt lgkmcnt(0)
	v_add_f64 v[2:3], v[2:3], v[4:5]
	ds_write_b64 v12, v[2:3]
.LBB149_6:
	s_or_b64 exec, exec, s[4:5]
	s_waitcnt lgkmcnt(0)
	s_barrier
	s_load_dword s3, s[0:1], 0xc9c
	v_mov_b64_e32 v[2:3], 0
	s_waitcnt lgkmcnt(0)
	s_bfe_u32 s3, s3, 0xa0006
	v_cmp_gt_u32_e32 vcc, s3, v0
	s_and_saveexec_b64 s[4:5], vcc
; %bb.7:
	v_lshlrev_b32_e32 v2, 3, v11
	ds_read_b64 v[2:3], v2
; %bb.8:
	s_or_b64 exec, exec, s[4:5]
	v_cmp_gt_u32_e32 vcc, 64, v0
	s_and_saveexec_b64 s[4:5], vcc
	s_cbranch_execz .LBB149_10
; %bb.9:
	s_waitcnt lgkmcnt(0)
	ds_bpermute_b32 v4, v1, v2
	ds_bpermute_b32 v5, v1, v3
	s_waitcnt lgkmcnt(0)
	v_add_f64 v[2:3], v[2:3], v[4:5]
	ds_bpermute_b32 v4, v6, v2
	ds_bpermute_b32 v5, v6, v3
	s_waitcnt lgkmcnt(0)
	v_add_f64 v[2:3], v[2:3], v[4:5]
	;; [unrolled: 4-line block ×6, first 2 shown]
.LBB149_10:
	s_or_b64 exec, exec, s[4:5]
	s_mov_b32 s3, 0
	v_cmp_eq_u32_e32 vcc, 0, v0
	s_and_saveexec_b64 s[4:5], vcc
	s_cbranch_execz .LBB149_12
; %bb.11:
	s_lshl_b64 s[2:3], s[2:3], 3
	s_add_u32 s0, s0, s2
	s_addc_u32 s1, s1, s3
	s_load_dwordx2 s[0:1], s[0:1], 0x8
	v_mov_b32_e32 v0, 0
	s_waitcnt lgkmcnt(0)
	global_store_dwordx2 v0, v[2:3], s[0:1]
.LBB149_12:
	s_endpgm
	.section	.rodata,"a",@progbits
	.p2align	6, 0x0
	.amdhsa_kernel _ZN2at6native14lpnorm_cleanupIdLNS0_8NormTypeE1EdLb0EdEEvPKT3_NS0_19TensorListAddressesEi
		.amdhsa_group_segment_fixed_size 4096
		.amdhsa_private_segment_fixed_size 0
		.amdhsa_kernarg_size 3472
		.amdhsa_user_sgpr_count 2
		.amdhsa_user_sgpr_dispatch_ptr 0
		.amdhsa_user_sgpr_queue_ptr 0
		.amdhsa_user_sgpr_kernarg_segment_ptr 1
		.amdhsa_user_sgpr_dispatch_id 0
		.amdhsa_user_sgpr_kernarg_preload_length 0
		.amdhsa_user_sgpr_kernarg_preload_offset 0
		.amdhsa_user_sgpr_private_segment_size 0
		.amdhsa_uses_dynamic_stack 0
		.amdhsa_enable_private_segment 0
		.amdhsa_system_sgpr_workgroup_id_x 1
		.amdhsa_system_sgpr_workgroup_id_y 0
		.amdhsa_system_sgpr_workgroup_id_z 0
		.amdhsa_system_sgpr_workgroup_info 0
		.amdhsa_system_vgpr_workitem_id 0
		.amdhsa_next_free_vgpr 13
		.amdhsa_next_free_sgpr 16
		.amdhsa_accum_offset 16
		.amdhsa_reserve_vcc 1
		.amdhsa_float_round_mode_32 0
		.amdhsa_float_round_mode_16_64 0
		.amdhsa_float_denorm_mode_32 3
		.amdhsa_float_denorm_mode_16_64 3
		.amdhsa_dx10_clamp 1
		.amdhsa_ieee_mode 1
		.amdhsa_fp16_overflow 0
		.amdhsa_tg_split 0
		.amdhsa_exception_fp_ieee_invalid_op 0
		.amdhsa_exception_fp_denorm_src 0
		.amdhsa_exception_fp_ieee_div_zero 0
		.amdhsa_exception_fp_ieee_overflow 0
		.amdhsa_exception_fp_ieee_underflow 0
		.amdhsa_exception_fp_ieee_inexact 0
		.amdhsa_exception_int_div_zero 0
	.end_amdhsa_kernel
	.section	.text._ZN2at6native14lpnorm_cleanupIdLNS0_8NormTypeE1EdLb0EdEEvPKT3_NS0_19TensorListAddressesEi,"axG",@progbits,_ZN2at6native14lpnorm_cleanupIdLNS0_8NormTypeE1EdLb0EdEEvPKT3_NS0_19TensorListAddressesEi,comdat
.Lfunc_end149:
	.size	_ZN2at6native14lpnorm_cleanupIdLNS0_8NormTypeE1EdLb0EdEEvPKT3_NS0_19TensorListAddressesEi, .Lfunc_end149-_ZN2at6native14lpnorm_cleanupIdLNS0_8NormTypeE1EdLb0EdEEvPKT3_NS0_19TensorListAddressesEi
                                        ; -- End function
	.set _ZN2at6native14lpnorm_cleanupIdLNS0_8NormTypeE1EdLb0EdEEvPKT3_NS0_19TensorListAddressesEi.num_vgpr, 13
	.set _ZN2at6native14lpnorm_cleanupIdLNS0_8NormTypeE1EdLb0EdEEvPKT3_NS0_19TensorListAddressesEi.num_agpr, 0
	.set _ZN2at6native14lpnorm_cleanupIdLNS0_8NormTypeE1EdLb0EdEEvPKT3_NS0_19TensorListAddressesEi.numbered_sgpr, 16
	.set _ZN2at6native14lpnorm_cleanupIdLNS0_8NormTypeE1EdLb0EdEEvPKT3_NS0_19TensorListAddressesEi.num_named_barrier, 0
	.set _ZN2at6native14lpnorm_cleanupIdLNS0_8NormTypeE1EdLb0EdEEvPKT3_NS0_19TensorListAddressesEi.private_seg_size, 0
	.set _ZN2at6native14lpnorm_cleanupIdLNS0_8NormTypeE1EdLb0EdEEvPKT3_NS0_19TensorListAddressesEi.uses_vcc, 1
	.set _ZN2at6native14lpnorm_cleanupIdLNS0_8NormTypeE1EdLb0EdEEvPKT3_NS0_19TensorListAddressesEi.uses_flat_scratch, 0
	.set _ZN2at6native14lpnorm_cleanupIdLNS0_8NormTypeE1EdLb0EdEEvPKT3_NS0_19TensorListAddressesEi.has_dyn_sized_stack, 0
	.set _ZN2at6native14lpnorm_cleanupIdLNS0_8NormTypeE1EdLb0EdEEvPKT3_NS0_19TensorListAddressesEi.has_recursion, 0
	.set _ZN2at6native14lpnorm_cleanupIdLNS0_8NormTypeE1EdLb0EdEEvPKT3_NS0_19TensorListAddressesEi.has_indirect_call, 0
	.section	.AMDGPU.csdata,"",@progbits
; Kernel info:
; codeLenInByte = 812
; TotalNumSgprs: 22
; NumVgprs: 13
; NumAgprs: 0
; TotalNumVgprs: 13
; ScratchSize: 0
; MemoryBound: 0
; FloatMode: 240
; IeeeMode: 1
; LDSByteSize: 4096 bytes/workgroup (compile time only)
; SGPRBlocks: 2
; VGPRBlocks: 1
; NumSGPRsForWavesPerEU: 22
; NumVGPRsForWavesPerEU: 13
; AccumOffset: 16
; Occupancy: 8
; WaveLimiterHint : 0
; COMPUTE_PGM_RSRC2:SCRATCH_EN: 0
; COMPUTE_PGM_RSRC2:USER_SGPR: 2
; COMPUTE_PGM_RSRC2:TRAP_HANDLER: 0
; COMPUTE_PGM_RSRC2:TGID_X_EN: 1
; COMPUTE_PGM_RSRC2:TGID_Y_EN: 0
; COMPUTE_PGM_RSRC2:TGID_Z_EN: 0
; COMPUTE_PGM_RSRC2:TIDIG_COMP_CNT: 0
; COMPUTE_PGM_RSRC3_GFX90A:ACCUM_OFFSET: 3
; COMPUTE_PGM_RSRC3_GFX90A:TG_SPLIT: 0
	.section	.text._ZN2at6native14lpnorm_cleanupIdLNS0_8NormTypeE2EdLb0EdEEvPKT3_NS0_19TensorListAddressesEi,"axG",@progbits,_ZN2at6native14lpnorm_cleanupIdLNS0_8NormTypeE2EdLb0EdEEvPKT3_NS0_19TensorListAddressesEi,comdat
	.protected	_ZN2at6native14lpnorm_cleanupIdLNS0_8NormTypeE2EdLb0EdEEvPKT3_NS0_19TensorListAddressesEi ; -- Begin function _ZN2at6native14lpnorm_cleanupIdLNS0_8NormTypeE2EdLb0EdEEvPKT3_NS0_19TensorListAddressesEi
	.globl	_ZN2at6native14lpnorm_cleanupIdLNS0_8NormTypeE2EdLb0EdEEvPKT3_NS0_19TensorListAddressesEi
	.p2align	8
	.type	_ZN2at6native14lpnorm_cleanupIdLNS0_8NormTypeE2EdLb0EdEEvPKT3_NS0_19TensorListAddressesEi,@function
_ZN2at6native14lpnorm_cleanupIdLNS0_8NormTypeE2EdLb0EdEEvPKT3_NS0_19TensorListAddressesEi: ; @_ZN2at6native14lpnorm_cleanupIdLNS0_8NormTypeE2EdLb0EdEEvPKT3_NS0_19TensorListAddressesEi
; %bb.0:
	s_load_dword s6, s[0:1], 0xc88
	v_mov_b64_e32 v[2:3], 0
	s_waitcnt lgkmcnt(0)
	v_cmp_gt_u32_e32 vcc, s6, v0
	s_and_saveexec_b64 s[4:5], vcc
	s_cbranch_execz .LBB150_4
; %bb.1:
	s_load_dwordx2 s[12:13], s[0:1], 0x0
	s_load_dword s3, s[0:1], 0xc9c
	s_mul_i32 s8, s6, s2
	s_mov_b32 s9, 0
	s_ashr_i32 s7, s6, 31
	s_lshl_b64 s[14:15], s[8:9], 3
	s_waitcnt lgkmcnt(0)
	s_and_b32 s10, s3, 0xffff
	v_mov_b32_e32 v1, 0
	s_add_u32 s12, s12, s14
	v_lshlrev_b32_e32 v2, 3, v0
	v_mov_b32_e32 v3, v1
	s_addc_u32 s13, s13, s15
	s_mov_b32 s11, s9
	v_lshl_add_u64 v[4:5], s[12:13], 0, v[2:3]
	s_lshl_b32 s8, s10, 3
	v_mov_b64_e32 v[2:3], 0
	s_mov_b64 s[12:13], 0
	v_mov_b64_e32 v[6:7], v[0:1]
.LBB150_2:                              ; =>This Inner Loop Header: Depth=1
	global_load_dwordx2 v[8:9], v[4:5], off
	v_lshl_add_u64 v[6:7], v[6:7], 0, s[10:11]
	v_cmp_le_u64_e32 vcc, s[6:7], v[6:7]
	v_lshl_add_u64 v[4:5], v[4:5], 0, s[8:9]
	s_or_b64 s[12:13], vcc, s[12:13]
	s_waitcnt vmcnt(0)
	v_add_f64 v[2:3], v[2:3], v[8:9]
	s_andn2_b64 exec, exec, s[12:13]
	s_cbranch_execnz .LBB150_2
; %bb.3:
	s_or_b64 exec, exec, s[12:13]
.LBB150_4:
	s_or_b64 exec, exec, s[4:5]
	v_mbcnt_lo_u32_b32 v1, -1, 0
	v_mbcnt_hi_u32_b32 v10, -1, v1
	v_mov_b32_e32 v1, 0x80
	v_lshl_or_b32 v1, v10, 2, v1
	ds_bpermute_b32 v4, v1, v2
	ds_bpermute_b32 v5, v1, v3
	v_and_b32_e32 v12, 63, v10
	v_cmp_gt_u32_e32 vcc, 48, v12
	v_and_b32_e32 v11, 63, v0
	s_waitcnt lgkmcnt(0)
	v_add_f64 v[2:3], v[2:3], v[4:5]
	v_cndmask_b32_e64 v4, 0, 16, vcc
	v_add_lshl_u32 v6, v4, v10, 2
	ds_bpermute_b32 v4, v6, v2
	ds_bpermute_b32 v5, v6, v3
	v_cmp_gt_u32_e32 vcc, 56, v12
	s_barrier
	s_waitcnt lgkmcnt(0)
	v_add_f64 v[2:3], v[2:3], v[4:5]
	v_cndmask_b32_e64 v4, 0, 8, vcc
	v_add_lshl_u32 v7, v4, v10, 2
	ds_bpermute_b32 v4, v7, v2
	ds_bpermute_b32 v5, v7, v3
	v_cmp_gt_u32_e32 vcc, 60, v12
	s_waitcnt lgkmcnt(0)
	v_add_f64 v[2:3], v[2:3], v[4:5]
	v_cndmask_b32_e64 v4, 0, 4, vcc
	v_add_lshl_u32 v8, v4, v10, 2
	ds_bpermute_b32 v4, v8, v2
	ds_bpermute_b32 v5, v8, v3
	v_cmp_gt_u32_e32 vcc, 62, v12
	s_waitcnt lgkmcnt(0)
	v_add_f64 v[2:3], v[2:3], v[4:5]
	v_cndmask_b32_e64 v4, 0, 2, vcc
	v_add_lshl_u32 v9, v4, v10, 2
	ds_bpermute_b32 v4, v9, v2
	ds_bpermute_b32 v5, v9, v3
	v_cmp_ne_u32_e32 vcc, 63, v12
	s_waitcnt lgkmcnt(0)
	v_add_f64 v[2:3], v[2:3], v[4:5]
	v_addc_co_u32_e32 v4, vcc, 0, v10, vcc
	v_lshlrev_b32_e32 v10, 2, v4
	ds_bpermute_b32 v4, v10, v2
	ds_bpermute_b32 v5, v10, v3
	v_cmp_eq_u32_e32 vcc, 0, v11
	s_and_saveexec_b64 s[4:5], vcc
	s_cbranch_execz .LBB150_6
; %bb.5:
	v_lshrrev_b32_e32 v12, 3, v0
	s_waitcnt lgkmcnt(0)
	v_add_f64 v[2:3], v[2:3], v[4:5]
	ds_write_b64 v12, v[2:3]
.LBB150_6:
	s_or_b64 exec, exec, s[4:5]
	s_waitcnt lgkmcnt(0)
	s_barrier
	s_load_dword s3, s[0:1], 0xc9c
	v_mov_b64_e32 v[2:3], 0
	s_waitcnt lgkmcnt(0)
	s_bfe_u32 s3, s3, 0xa0006
	v_cmp_gt_u32_e32 vcc, s3, v0
	s_and_saveexec_b64 s[4:5], vcc
; %bb.7:
	v_lshlrev_b32_e32 v2, 3, v11
	ds_read_b64 v[2:3], v2
; %bb.8:
	s_or_b64 exec, exec, s[4:5]
	v_cmp_gt_u32_e32 vcc, 64, v0
	s_and_saveexec_b64 s[4:5], vcc
	s_cbranch_execz .LBB150_10
; %bb.9:
	s_waitcnt lgkmcnt(0)
	ds_bpermute_b32 v4, v1, v2
	ds_bpermute_b32 v5, v1, v3
	s_waitcnt lgkmcnt(0)
	v_add_f64 v[2:3], v[2:3], v[4:5]
	ds_bpermute_b32 v4, v6, v2
	ds_bpermute_b32 v5, v6, v3
	s_waitcnt lgkmcnt(0)
	v_add_f64 v[2:3], v[2:3], v[4:5]
	;; [unrolled: 4-line block ×6, first 2 shown]
.LBB150_10:
	s_or_b64 exec, exec, s[4:5]
	s_mov_b32 s3, 0
	v_cmp_eq_u32_e32 vcc, 0, v0
	s_and_saveexec_b64 s[4:5], vcc
	s_cbranch_execz .LBB150_12
; %bb.11:
	s_lshl_b64 s[2:3], s[2:3], 3
	s_add_u32 s0, s0, s2
	s_addc_u32 s1, s1, s3
	s_load_dwordx2 s[0:1], s[0:1], 0x8
	v_mov_b32_e32 v0, 0
	s_waitcnt lgkmcnt(0)
	global_store_dwordx2 v0, v[2:3], s[0:1]
.LBB150_12:
	s_endpgm
	.section	.rodata,"a",@progbits
	.p2align	6, 0x0
	.amdhsa_kernel _ZN2at6native14lpnorm_cleanupIdLNS0_8NormTypeE2EdLb0EdEEvPKT3_NS0_19TensorListAddressesEi
		.amdhsa_group_segment_fixed_size 4096
		.amdhsa_private_segment_fixed_size 0
		.amdhsa_kernarg_size 3472
		.amdhsa_user_sgpr_count 2
		.amdhsa_user_sgpr_dispatch_ptr 0
		.amdhsa_user_sgpr_queue_ptr 0
		.amdhsa_user_sgpr_kernarg_segment_ptr 1
		.amdhsa_user_sgpr_dispatch_id 0
		.amdhsa_user_sgpr_kernarg_preload_length 0
		.amdhsa_user_sgpr_kernarg_preload_offset 0
		.amdhsa_user_sgpr_private_segment_size 0
		.amdhsa_uses_dynamic_stack 0
		.amdhsa_enable_private_segment 0
		.amdhsa_system_sgpr_workgroup_id_x 1
		.amdhsa_system_sgpr_workgroup_id_y 0
		.amdhsa_system_sgpr_workgroup_id_z 0
		.amdhsa_system_sgpr_workgroup_info 0
		.amdhsa_system_vgpr_workitem_id 0
		.amdhsa_next_free_vgpr 13
		.amdhsa_next_free_sgpr 16
		.amdhsa_accum_offset 16
		.amdhsa_reserve_vcc 1
		.amdhsa_float_round_mode_32 0
		.amdhsa_float_round_mode_16_64 0
		.amdhsa_float_denorm_mode_32 3
		.amdhsa_float_denorm_mode_16_64 3
		.amdhsa_dx10_clamp 1
		.amdhsa_ieee_mode 1
		.amdhsa_fp16_overflow 0
		.amdhsa_tg_split 0
		.amdhsa_exception_fp_ieee_invalid_op 0
		.amdhsa_exception_fp_denorm_src 0
		.amdhsa_exception_fp_ieee_div_zero 0
		.amdhsa_exception_fp_ieee_overflow 0
		.amdhsa_exception_fp_ieee_underflow 0
		.amdhsa_exception_fp_ieee_inexact 0
		.amdhsa_exception_int_div_zero 0
	.end_amdhsa_kernel
	.section	.text._ZN2at6native14lpnorm_cleanupIdLNS0_8NormTypeE2EdLb0EdEEvPKT3_NS0_19TensorListAddressesEi,"axG",@progbits,_ZN2at6native14lpnorm_cleanupIdLNS0_8NormTypeE2EdLb0EdEEvPKT3_NS0_19TensorListAddressesEi,comdat
.Lfunc_end150:
	.size	_ZN2at6native14lpnorm_cleanupIdLNS0_8NormTypeE2EdLb0EdEEvPKT3_NS0_19TensorListAddressesEi, .Lfunc_end150-_ZN2at6native14lpnorm_cleanupIdLNS0_8NormTypeE2EdLb0EdEEvPKT3_NS0_19TensorListAddressesEi
                                        ; -- End function
	.set _ZN2at6native14lpnorm_cleanupIdLNS0_8NormTypeE2EdLb0EdEEvPKT3_NS0_19TensorListAddressesEi.num_vgpr, 13
	.set _ZN2at6native14lpnorm_cleanupIdLNS0_8NormTypeE2EdLb0EdEEvPKT3_NS0_19TensorListAddressesEi.num_agpr, 0
	.set _ZN2at6native14lpnorm_cleanupIdLNS0_8NormTypeE2EdLb0EdEEvPKT3_NS0_19TensorListAddressesEi.numbered_sgpr, 16
	.set _ZN2at6native14lpnorm_cleanupIdLNS0_8NormTypeE2EdLb0EdEEvPKT3_NS0_19TensorListAddressesEi.num_named_barrier, 0
	.set _ZN2at6native14lpnorm_cleanupIdLNS0_8NormTypeE2EdLb0EdEEvPKT3_NS0_19TensorListAddressesEi.private_seg_size, 0
	.set _ZN2at6native14lpnorm_cleanupIdLNS0_8NormTypeE2EdLb0EdEEvPKT3_NS0_19TensorListAddressesEi.uses_vcc, 1
	.set _ZN2at6native14lpnorm_cleanupIdLNS0_8NormTypeE2EdLb0EdEEvPKT3_NS0_19TensorListAddressesEi.uses_flat_scratch, 0
	.set _ZN2at6native14lpnorm_cleanupIdLNS0_8NormTypeE2EdLb0EdEEvPKT3_NS0_19TensorListAddressesEi.has_dyn_sized_stack, 0
	.set _ZN2at6native14lpnorm_cleanupIdLNS0_8NormTypeE2EdLb0EdEEvPKT3_NS0_19TensorListAddressesEi.has_recursion, 0
	.set _ZN2at6native14lpnorm_cleanupIdLNS0_8NormTypeE2EdLb0EdEEvPKT3_NS0_19TensorListAddressesEi.has_indirect_call, 0
	.section	.AMDGPU.csdata,"",@progbits
; Kernel info:
; codeLenInByte = 812
; TotalNumSgprs: 22
; NumVgprs: 13
; NumAgprs: 0
; TotalNumVgprs: 13
; ScratchSize: 0
; MemoryBound: 0
; FloatMode: 240
; IeeeMode: 1
; LDSByteSize: 4096 bytes/workgroup (compile time only)
; SGPRBlocks: 2
; VGPRBlocks: 1
; NumSGPRsForWavesPerEU: 22
; NumVGPRsForWavesPerEU: 13
; AccumOffset: 16
; Occupancy: 8
; WaveLimiterHint : 0
; COMPUTE_PGM_RSRC2:SCRATCH_EN: 0
; COMPUTE_PGM_RSRC2:USER_SGPR: 2
; COMPUTE_PGM_RSRC2:TRAP_HANDLER: 0
; COMPUTE_PGM_RSRC2:TGID_X_EN: 1
; COMPUTE_PGM_RSRC2:TGID_Y_EN: 0
; COMPUTE_PGM_RSRC2:TGID_Z_EN: 0
; COMPUTE_PGM_RSRC2:TIDIG_COMP_CNT: 0
; COMPUTE_PGM_RSRC3_GFX90A:ACCUM_OFFSET: 3
; COMPUTE_PGM_RSRC3_GFX90A:TG_SPLIT: 0
	.section	.text._ZN2at6native14lpnorm_cleanupIdLNS0_8NormTypeE0EfLb0EfEEvPKT3_NS0_19TensorListAddressesEi,"axG",@progbits,_ZN2at6native14lpnorm_cleanupIdLNS0_8NormTypeE0EfLb0EfEEvPKT3_NS0_19TensorListAddressesEi,comdat
	.protected	_ZN2at6native14lpnorm_cleanupIdLNS0_8NormTypeE0EfLb0EfEEvPKT3_NS0_19TensorListAddressesEi ; -- Begin function _ZN2at6native14lpnorm_cleanupIdLNS0_8NormTypeE0EfLb0EfEEvPKT3_NS0_19TensorListAddressesEi
	.globl	_ZN2at6native14lpnorm_cleanupIdLNS0_8NormTypeE0EfLb0EfEEvPKT3_NS0_19TensorListAddressesEi
	.p2align	8
	.type	_ZN2at6native14lpnorm_cleanupIdLNS0_8NormTypeE0EfLb0EfEEvPKT3_NS0_19TensorListAddressesEi,@function
_ZN2at6native14lpnorm_cleanupIdLNS0_8NormTypeE0EfLb0EfEEvPKT3_NS0_19TensorListAddressesEi: ; @_ZN2at6native14lpnorm_cleanupIdLNS0_8NormTypeE0EfLb0EfEEvPKT3_NS0_19TensorListAddressesEi
; %bb.0:
	s_load_dword s6, s[0:1], 0xc88
	v_mov_b32_e32 v1, 0
	s_waitcnt lgkmcnt(0)
	v_cmp_gt_u32_e32 vcc, s6, v0
	s_and_saveexec_b64 s[4:5], vcc
	s_cbranch_execz .LBB151_4
; %bb.1:
	s_load_dwordx2 s[12:13], s[0:1], 0x0
	s_load_dword s3, s[0:1], 0xc9c
	s_mul_i32 s8, s6, s2
	s_mov_b32 s9, 0
	s_ashr_i32 s7, s6, 31
	s_lshl_b64 s[14:15], s[8:9], 2
	s_waitcnt lgkmcnt(0)
	s_and_b32 s10, s3, 0xffff
	v_mov_b32_e32 v1, 0
	s_add_u32 s12, s12, s14
	v_lshlrev_b32_e32 v2, 2, v0
	v_mov_b32_e32 v3, v1
	s_addc_u32 s13, s13, s15
	s_mov_b32 s11, s9
	v_lshl_add_u64 v[2:3], s[12:13], 0, v[2:3]
	s_lshl_b32 s8, s10, 2
	s_mov_b64 s[12:13], 0
	v_mov_b64_e32 v[4:5], v[0:1]
.LBB151_2:                              ; =>This Inner Loop Header: Depth=1
	global_load_dword v6, v[2:3], off
	v_lshl_add_u64 v[4:5], v[4:5], 0, s[10:11]
	v_cmp_le_u64_e32 vcc, s[6:7], v[4:5]
	v_lshl_add_u64 v[2:3], v[2:3], 0, s[8:9]
	s_or_b64 s[12:13], vcc, s[12:13]
	s_waitcnt vmcnt(0)
	v_add_f32_e32 v1, v1, v6
	s_andn2_b64 exec, exec, s[12:13]
	s_cbranch_execnz .LBB151_2
; %bb.3:
	s_or_b64 exec, exec, s[12:13]
.LBB151_4:
	s_or_b64 exec, exec, s[4:5]
	v_mbcnt_lo_u32_b32 v2, -1, 0
	v_mbcnt_hi_u32_b32 v6, -1, v2
	v_mov_b32_e32 v2, 0x80
	v_lshl_or_b32 v2, v6, 2, v2
	ds_bpermute_b32 v3, v2, v1
	v_and_b32_e32 v7, 63, v6
	v_cmp_gt_u32_e32 vcc, 48, v7
	s_waitcnt lgkmcnt(0)
	s_barrier
	v_cndmask_b32_e64 v4, 0, 16, vcc
	v_add_f32_e32 v5, v1, v3
	v_add_lshl_u32 v1, v4, v6, 2
	ds_bpermute_b32 v4, v1, v5
	v_cmp_gt_u32_e32 vcc, 56, v7
	s_waitcnt lgkmcnt(0)
	v_add_f32_e32 v5, v5, v4
	v_cndmask_b32_e64 v3, 0, 8, vcc
	v_add_lshl_u32 v3, v3, v6, 2
	ds_bpermute_b32 v8, v3, v5
	v_cmp_gt_u32_e32 vcc, 60, v7
	s_waitcnt lgkmcnt(0)
	v_add_f32_e32 v8, v5, v8
	v_cndmask_b32_e64 v4, 0, 4, vcc
	;; [unrolled: 6-line block ×3, first 2 shown]
	v_add_lshl_u32 v5, v5, v6, 2
	ds_bpermute_b32 v10, v5, v9
	v_cmp_ne_u32_e32 vcc, 63, v7
	v_and_b32_e32 v8, 63, v0
	s_waitcnt lgkmcnt(0)
	v_add_f32_e32 v7, v9, v10
	v_addc_co_u32_e32 v6, vcc, 0, v6, vcc
	v_lshlrev_b32_e32 v6, 2, v6
	ds_bpermute_b32 v9, v6, v7
	v_cmp_eq_u32_e32 vcc, 0, v8
	s_and_saveexec_b64 s[4:5], vcc
	s_cbranch_execz .LBB151_6
; %bb.5:
	s_waitcnt lgkmcnt(0)
	v_add_f32_e32 v7, v7, v9
	v_lshrrev_b32_e32 v9, 4, v0
	ds_write_b32 v9, v7
.LBB151_6:
	s_or_b64 exec, exec, s[4:5]
	s_waitcnt lgkmcnt(0)
	s_barrier
	s_load_dword s3, s[0:1], 0xc9c
	v_mov_b32_e32 v7, 0
	s_waitcnt lgkmcnt(0)
	s_bfe_u32 s3, s3, 0xa0006
	v_cmp_gt_u32_e32 vcc, s3, v0
	s_and_saveexec_b64 s[4:5], vcc
; %bb.7:
	v_lshlrev_b32_e32 v7, 2, v8
	ds_read_b32 v7, v7
; %bb.8:
	s_or_b64 exec, exec, s[4:5]
	v_cmp_gt_u32_e32 vcc, 64, v0
	s_and_saveexec_b64 s[4:5], vcc
	s_cbranch_execz .LBB151_10
; %bb.9:
	s_waitcnt lgkmcnt(0)
	ds_bpermute_b32 v2, v2, v7
	s_waitcnt lgkmcnt(0)
	v_add_f32_e32 v2, v7, v2
	ds_bpermute_b32 v1, v1, v2
	s_waitcnt lgkmcnt(0)
	v_add_f32_e32 v1, v2, v1
	;; [unrolled: 3-line block ×6, first 2 shown]
.LBB151_10:
	s_or_b64 exec, exec, s[4:5]
	s_mov_b32 s3, 0
	v_cmp_eq_u32_e32 vcc, 0, v0
	s_and_saveexec_b64 s[4:5], vcc
	s_cbranch_execz .LBB151_12
; %bb.11:
	s_lshl_b64 s[2:3], s[2:3], 3
	s_add_u32 s0, s0, s2
	s_addc_u32 s1, s1, s3
	s_load_dwordx2 s[0:1], s[0:1], 0x8
	v_mov_b32_e32 v0, 0
	s_waitcnt lgkmcnt(0)
	global_store_dword v0, v7, s[0:1]
.LBB151_12:
	s_endpgm
	.section	.rodata,"a",@progbits
	.p2align	6, 0x0
	.amdhsa_kernel _ZN2at6native14lpnorm_cleanupIdLNS0_8NormTypeE0EfLb0EfEEvPKT3_NS0_19TensorListAddressesEi
		.amdhsa_group_segment_fixed_size 2048
		.amdhsa_private_segment_fixed_size 0
		.amdhsa_kernarg_size 3472
		.amdhsa_user_sgpr_count 2
		.amdhsa_user_sgpr_dispatch_ptr 0
		.amdhsa_user_sgpr_queue_ptr 0
		.amdhsa_user_sgpr_kernarg_segment_ptr 1
		.amdhsa_user_sgpr_dispatch_id 0
		.amdhsa_user_sgpr_kernarg_preload_length 0
		.amdhsa_user_sgpr_kernarg_preload_offset 0
		.amdhsa_user_sgpr_private_segment_size 0
		.amdhsa_uses_dynamic_stack 0
		.amdhsa_enable_private_segment 0
		.amdhsa_system_sgpr_workgroup_id_x 1
		.amdhsa_system_sgpr_workgroup_id_y 0
		.amdhsa_system_sgpr_workgroup_id_z 0
		.amdhsa_system_sgpr_workgroup_info 0
		.amdhsa_system_vgpr_workitem_id 0
		.amdhsa_next_free_vgpr 11
		.amdhsa_next_free_sgpr 16
		.amdhsa_accum_offset 12
		.amdhsa_reserve_vcc 1
		.amdhsa_float_round_mode_32 0
		.amdhsa_float_round_mode_16_64 0
		.amdhsa_float_denorm_mode_32 3
		.amdhsa_float_denorm_mode_16_64 3
		.amdhsa_dx10_clamp 1
		.amdhsa_ieee_mode 1
		.amdhsa_fp16_overflow 0
		.amdhsa_tg_split 0
		.amdhsa_exception_fp_ieee_invalid_op 0
		.amdhsa_exception_fp_denorm_src 0
		.amdhsa_exception_fp_ieee_div_zero 0
		.amdhsa_exception_fp_ieee_overflow 0
		.amdhsa_exception_fp_ieee_underflow 0
		.amdhsa_exception_fp_ieee_inexact 0
		.amdhsa_exception_int_div_zero 0
	.end_amdhsa_kernel
	.section	.text._ZN2at6native14lpnorm_cleanupIdLNS0_8NormTypeE0EfLb0EfEEvPKT3_NS0_19TensorListAddressesEi,"axG",@progbits,_ZN2at6native14lpnorm_cleanupIdLNS0_8NormTypeE0EfLb0EfEEvPKT3_NS0_19TensorListAddressesEi,comdat
.Lfunc_end151:
	.size	_ZN2at6native14lpnorm_cleanupIdLNS0_8NormTypeE0EfLb0EfEEvPKT3_NS0_19TensorListAddressesEi, .Lfunc_end151-_ZN2at6native14lpnorm_cleanupIdLNS0_8NormTypeE0EfLb0EfEEvPKT3_NS0_19TensorListAddressesEi
                                        ; -- End function
	.set _ZN2at6native14lpnorm_cleanupIdLNS0_8NormTypeE0EfLb0EfEEvPKT3_NS0_19TensorListAddressesEi.num_vgpr, 11
	.set _ZN2at6native14lpnorm_cleanupIdLNS0_8NormTypeE0EfLb0EfEEvPKT3_NS0_19TensorListAddressesEi.num_agpr, 0
	.set _ZN2at6native14lpnorm_cleanupIdLNS0_8NormTypeE0EfLb0EfEEvPKT3_NS0_19TensorListAddressesEi.numbered_sgpr, 16
	.set _ZN2at6native14lpnorm_cleanupIdLNS0_8NormTypeE0EfLb0EfEEvPKT3_NS0_19TensorListAddressesEi.num_named_barrier, 0
	.set _ZN2at6native14lpnorm_cleanupIdLNS0_8NormTypeE0EfLb0EfEEvPKT3_NS0_19TensorListAddressesEi.private_seg_size, 0
	.set _ZN2at6native14lpnorm_cleanupIdLNS0_8NormTypeE0EfLb0EfEEvPKT3_NS0_19TensorListAddressesEi.uses_vcc, 1
	.set _ZN2at6native14lpnorm_cleanupIdLNS0_8NormTypeE0EfLb0EfEEvPKT3_NS0_19TensorListAddressesEi.uses_flat_scratch, 0
	.set _ZN2at6native14lpnorm_cleanupIdLNS0_8NormTypeE0EfLb0EfEEvPKT3_NS0_19TensorListAddressesEi.has_dyn_sized_stack, 0
	.set _ZN2at6native14lpnorm_cleanupIdLNS0_8NormTypeE0EfLb0EfEEvPKT3_NS0_19TensorListAddressesEi.has_recursion, 0
	.set _ZN2at6native14lpnorm_cleanupIdLNS0_8NormTypeE0EfLb0EfEEvPKT3_NS0_19TensorListAddressesEi.has_indirect_call, 0
	.section	.AMDGPU.csdata,"",@progbits
; Kernel info:
; codeLenInByte = 660
; TotalNumSgprs: 22
; NumVgprs: 11
; NumAgprs: 0
; TotalNumVgprs: 11
; ScratchSize: 0
; MemoryBound: 0
; FloatMode: 240
; IeeeMode: 1
; LDSByteSize: 2048 bytes/workgroup (compile time only)
; SGPRBlocks: 2
; VGPRBlocks: 1
; NumSGPRsForWavesPerEU: 22
; NumVGPRsForWavesPerEU: 11
; AccumOffset: 12
; Occupancy: 8
; WaveLimiterHint : 0
; COMPUTE_PGM_RSRC2:SCRATCH_EN: 0
; COMPUTE_PGM_RSRC2:USER_SGPR: 2
; COMPUTE_PGM_RSRC2:TRAP_HANDLER: 0
; COMPUTE_PGM_RSRC2:TGID_X_EN: 1
; COMPUTE_PGM_RSRC2:TGID_Y_EN: 0
; COMPUTE_PGM_RSRC2:TGID_Z_EN: 0
; COMPUTE_PGM_RSRC2:TIDIG_COMP_CNT: 0
; COMPUTE_PGM_RSRC3_GFX90A:ACCUM_OFFSET: 2
; COMPUTE_PGM_RSRC3_GFX90A:TG_SPLIT: 0
	.section	.text._ZN2at6native14lpnorm_cleanupIdLNS0_8NormTypeE1EfLb0EfEEvPKT3_NS0_19TensorListAddressesEi,"axG",@progbits,_ZN2at6native14lpnorm_cleanupIdLNS0_8NormTypeE1EfLb0EfEEvPKT3_NS0_19TensorListAddressesEi,comdat
	.protected	_ZN2at6native14lpnorm_cleanupIdLNS0_8NormTypeE1EfLb0EfEEvPKT3_NS0_19TensorListAddressesEi ; -- Begin function _ZN2at6native14lpnorm_cleanupIdLNS0_8NormTypeE1EfLb0EfEEvPKT3_NS0_19TensorListAddressesEi
	.globl	_ZN2at6native14lpnorm_cleanupIdLNS0_8NormTypeE1EfLb0EfEEvPKT3_NS0_19TensorListAddressesEi
	.p2align	8
	.type	_ZN2at6native14lpnorm_cleanupIdLNS0_8NormTypeE1EfLb0EfEEvPKT3_NS0_19TensorListAddressesEi,@function
_ZN2at6native14lpnorm_cleanupIdLNS0_8NormTypeE1EfLb0EfEEvPKT3_NS0_19TensorListAddressesEi: ; @_ZN2at6native14lpnorm_cleanupIdLNS0_8NormTypeE1EfLb0EfEEvPKT3_NS0_19TensorListAddressesEi
; %bb.0:
	s_load_dword s6, s[0:1], 0xc88
	v_mov_b32_e32 v1, 0
	s_waitcnt lgkmcnt(0)
	v_cmp_gt_u32_e32 vcc, s6, v0
	s_and_saveexec_b64 s[4:5], vcc
	s_cbranch_execz .LBB152_4
; %bb.1:
	s_load_dwordx2 s[12:13], s[0:1], 0x0
	s_load_dword s3, s[0:1], 0xc9c
	s_mul_i32 s8, s6, s2
	s_mov_b32 s9, 0
	s_ashr_i32 s7, s6, 31
	s_lshl_b64 s[14:15], s[8:9], 2
	s_waitcnt lgkmcnt(0)
	s_and_b32 s10, s3, 0xffff
	v_mov_b32_e32 v1, 0
	s_add_u32 s12, s12, s14
	v_lshlrev_b32_e32 v2, 2, v0
	v_mov_b32_e32 v3, v1
	s_addc_u32 s13, s13, s15
	s_mov_b32 s11, s9
	v_lshl_add_u64 v[2:3], s[12:13], 0, v[2:3]
	s_lshl_b32 s8, s10, 2
	s_mov_b64 s[12:13], 0
	v_mov_b64_e32 v[4:5], v[0:1]
.LBB152_2:                              ; =>This Inner Loop Header: Depth=1
	global_load_dword v6, v[2:3], off
	v_lshl_add_u64 v[4:5], v[4:5], 0, s[10:11]
	v_cmp_le_u64_e32 vcc, s[6:7], v[4:5]
	v_lshl_add_u64 v[2:3], v[2:3], 0, s[8:9]
	s_or_b64 s[12:13], vcc, s[12:13]
	s_waitcnt vmcnt(0)
	v_add_f32_e32 v1, v1, v6
	s_andn2_b64 exec, exec, s[12:13]
	s_cbranch_execnz .LBB152_2
; %bb.3:
	s_or_b64 exec, exec, s[12:13]
.LBB152_4:
	s_or_b64 exec, exec, s[4:5]
	v_mbcnt_lo_u32_b32 v2, -1, 0
	v_mbcnt_hi_u32_b32 v6, -1, v2
	v_mov_b32_e32 v2, 0x80
	v_lshl_or_b32 v2, v6, 2, v2
	ds_bpermute_b32 v3, v2, v1
	v_and_b32_e32 v7, 63, v6
	v_cmp_gt_u32_e32 vcc, 48, v7
	s_waitcnt lgkmcnt(0)
	s_barrier
	v_cndmask_b32_e64 v4, 0, 16, vcc
	v_add_f32_e32 v5, v1, v3
	v_add_lshl_u32 v1, v4, v6, 2
	ds_bpermute_b32 v4, v1, v5
	v_cmp_gt_u32_e32 vcc, 56, v7
	s_waitcnt lgkmcnt(0)
	v_add_f32_e32 v5, v5, v4
	v_cndmask_b32_e64 v3, 0, 8, vcc
	v_add_lshl_u32 v3, v3, v6, 2
	ds_bpermute_b32 v8, v3, v5
	v_cmp_gt_u32_e32 vcc, 60, v7
	s_waitcnt lgkmcnt(0)
	v_add_f32_e32 v8, v5, v8
	v_cndmask_b32_e64 v4, 0, 4, vcc
	;; [unrolled: 6-line block ×3, first 2 shown]
	v_add_lshl_u32 v5, v5, v6, 2
	ds_bpermute_b32 v10, v5, v9
	v_cmp_ne_u32_e32 vcc, 63, v7
	v_and_b32_e32 v8, 63, v0
	s_waitcnt lgkmcnt(0)
	v_add_f32_e32 v7, v9, v10
	v_addc_co_u32_e32 v6, vcc, 0, v6, vcc
	v_lshlrev_b32_e32 v6, 2, v6
	ds_bpermute_b32 v9, v6, v7
	v_cmp_eq_u32_e32 vcc, 0, v8
	s_and_saveexec_b64 s[4:5], vcc
	s_cbranch_execz .LBB152_6
; %bb.5:
	s_waitcnt lgkmcnt(0)
	v_add_f32_e32 v7, v7, v9
	v_lshrrev_b32_e32 v9, 4, v0
	ds_write_b32 v9, v7
.LBB152_6:
	s_or_b64 exec, exec, s[4:5]
	s_waitcnt lgkmcnt(0)
	s_barrier
	s_load_dword s3, s[0:1], 0xc9c
	v_mov_b32_e32 v7, 0
	s_waitcnt lgkmcnt(0)
	s_bfe_u32 s3, s3, 0xa0006
	v_cmp_gt_u32_e32 vcc, s3, v0
	s_and_saveexec_b64 s[4:5], vcc
; %bb.7:
	v_lshlrev_b32_e32 v7, 2, v8
	ds_read_b32 v7, v7
; %bb.8:
	s_or_b64 exec, exec, s[4:5]
	v_cmp_gt_u32_e32 vcc, 64, v0
	s_and_saveexec_b64 s[4:5], vcc
	s_cbranch_execz .LBB152_10
; %bb.9:
	s_waitcnt lgkmcnt(0)
	ds_bpermute_b32 v2, v2, v7
	s_waitcnt lgkmcnt(0)
	v_add_f32_e32 v2, v7, v2
	ds_bpermute_b32 v1, v1, v2
	s_waitcnt lgkmcnt(0)
	v_add_f32_e32 v1, v2, v1
	;; [unrolled: 3-line block ×6, first 2 shown]
.LBB152_10:
	s_or_b64 exec, exec, s[4:5]
	s_mov_b32 s3, 0
	v_cmp_eq_u32_e32 vcc, 0, v0
	s_and_saveexec_b64 s[4:5], vcc
	s_cbranch_execz .LBB152_12
; %bb.11:
	s_lshl_b64 s[2:3], s[2:3], 3
	s_add_u32 s0, s0, s2
	s_addc_u32 s1, s1, s3
	s_load_dwordx2 s[0:1], s[0:1], 0x8
	v_mov_b32_e32 v0, 0
	s_waitcnt lgkmcnt(0)
	global_store_dword v0, v7, s[0:1]
.LBB152_12:
	s_endpgm
	.section	.rodata,"a",@progbits
	.p2align	6, 0x0
	.amdhsa_kernel _ZN2at6native14lpnorm_cleanupIdLNS0_8NormTypeE1EfLb0EfEEvPKT3_NS0_19TensorListAddressesEi
		.amdhsa_group_segment_fixed_size 2048
		.amdhsa_private_segment_fixed_size 0
		.amdhsa_kernarg_size 3472
		.amdhsa_user_sgpr_count 2
		.amdhsa_user_sgpr_dispatch_ptr 0
		.amdhsa_user_sgpr_queue_ptr 0
		.amdhsa_user_sgpr_kernarg_segment_ptr 1
		.amdhsa_user_sgpr_dispatch_id 0
		.amdhsa_user_sgpr_kernarg_preload_length 0
		.amdhsa_user_sgpr_kernarg_preload_offset 0
		.amdhsa_user_sgpr_private_segment_size 0
		.amdhsa_uses_dynamic_stack 0
		.amdhsa_enable_private_segment 0
		.amdhsa_system_sgpr_workgroup_id_x 1
		.amdhsa_system_sgpr_workgroup_id_y 0
		.amdhsa_system_sgpr_workgroup_id_z 0
		.amdhsa_system_sgpr_workgroup_info 0
		.amdhsa_system_vgpr_workitem_id 0
		.amdhsa_next_free_vgpr 11
		.amdhsa_next_free_sgpr 16
		.amdhsa_accum_offset 12
		.amdhsa_reserve_vcc 1
		.amdhsa_float_round_mode_32 0
		.amdhsa_float_round_mode_16_64 0
		.amdhsa_float_denorm_mode_32 3
		.amdhsa_float_denorm_mode_16_64 3
		.amdhsa_dx10_clamp 1
		.amdhsa_ieee_mode 1
		.amdhsa_fp16_overflow 0
		.amdhsa_tg_split 0
		.amdhsa_exception_fp_ieee_invalid_op 0
		.amdhsa_exception_fp_denorm_src 0
		.amdhsa_exception_fp_ieee_div_zero 0
		.amdhsa_exception_fp_ieee_overflow 0
		.amdhsa_exception_fp_ieee_underflow 0
		.amdhsa_exception_fp_ieee_inexact 0
		.amdhsa_exception_int_div_zero 0
	.end_amdhsa_kernel
	.section	.text._ZN2at6native14lpnorm_cleanupIdLNS0_8NormTypeE1EfLb0EfEEvPKT3_NS0_19TensorListAddressesEi,"axG",@progbits,_ZN2at6native14lpnorm_cleanupIdLNS0_8NormTypeE1EfLb0EfEEvPKT3_NS0_19TensorListAddressesEi,comdat
.Lfunc_end152:
	.size	_ZN2at6native14lpnorm_cleanupIdLNS0_8NormTypeE1EfLb0EfEEvPKT3_NS0_19TensorListAddressesEi, .Lfunc_end152-_ZN2at6native14lpnorm_cleanupIdLNS0_8NormTypeE1EfLb0EfEEvPKT3_NS0_19TensorListAddressesEi
                                        ; -- End function
	.set _ZN2at6native14lpnorm_cleanupIdLNS0_8NormTypeE1EfLb0EfEEvPKT3_NS0_19TensorListAddressesEi.num_vgpr, 11
	.set _ZN2at6native14lpnorm_cleanupIdLNS0_8NormTypeE1EfLb0EfEEvPKT3_NS0_19TensorListAddressesEi.num_agpr, 0
	.set _ZN2at6native14lpnorm_cleanupIdLNS0_8NormTypeE1EfLb0EfEEvPKT3_NS0_19TensorListAddressesEi.numbered_sgpr, 16
	.set _ZN2at6native14lpnorm_cleanupIdLNS0_8NormTypeE1EfLb0EfEEvPKT3_NS0_19TensorListAddressesEi.num_named_barrier, 0
	.set _ZN2at6native14lpnorm_cleanupIdLNS0_8NormTypeE1EfLb0EfEEvPKT3_NS0_19TensorListAddressesEi.private_seg_size, 0
	.set _ZN2at6native14lpnorm_cleanupIdLNS0_8NormTypeE1EfLb0EfEEvPKT3_NS0_19TensorListAddressesEi.uses_vcc, 1
	.set _ZN2at6native14lpnorm_cleanupIdLNS0_8NormTypeE1EfLb0EfEEvPKT3_NS0_19TensorListAddressesEi.uses_flat_scratch, 0
	.set _ZN2at6native14lpnorm_cleanupIdLNS0_8NormTypeE1EfLb0EfEEvPKT3_NS0_19TensorListAddressesEi.has_dyn_sized_stack, 0
	.set _ZN2at6native14lpnorm_cleanupIdLNS0_8NormTypeE1EfLb0EfEEvPKT3_NS0_19TensorListAddressesEi.has_recursion, 0
	.set _ZN2at6native14lpnorm_cleanupIdLNS0_8NormTypeE1EfLb0EfEEvPKT3_NS0_19TensorListAddressesEi.has_indirect_call, 0
	.section	.AMDGPU.csdata,"",@progbits
; Kernel info:
; codeLenInByte = 660
; TotalNumSgprs: 22
; NumVgprs: 11
; NumAgprs: 0
; TotalNumVgprs: 11
; ScratchSize: 0
; MemoryBound: 0
; FloatMode: 240
; IeeeMode: 1
; LDSByteSize: 2048 bytes/workgroup (compile time only)
; SGPRBlocks: 2
; VGPRBlocks: 1
; NumSGPRsForWavesPerEU: 22
; NumVGPRsForWavesPerEU: 11
; AccumOffset: 12
; Occupancy: 8
; WaveLimiterHint : 0
; COMPUTE_PGM_RSRC2:SCRATCH_EN: 0
; COMPUTE_PGM_RSRC2:USER_SGPR: 2
; COMPUTE_PGM_RSRC2:TRAP_HANDLER: 0
; COMPUTE_PGM_RSRC2:TGID_X_EN: 1
; COMPUTE_PGM_RSRC2:TGID_Y_EN: 0
; COMPUTE_PGM_RSRC2:TGID_Z_EN: 0
; COMPUTE_PGM_RSRC2:TIDIG_COMP_CNT: 0
; COMPUTE_PGM_RSRC3_GFX90A:ACCUM_OFFSET: 2
; COMPUTE_PGM_RSRC3_GFX90A:TG_SPLIT: 0
	.section	.text._ZN2at6native14lpnorm_cleanupIdLNS0_8NormTypeE2EfLb0EfEEvPKT3_NS0_19TensorListAddressesEi,"axG",@progbits,_ZN2at6native14lpnorm_cleanupIdLNS0_8NormTypeE2EfLb0EfEEvPKT3_NS0_19TensorListAddressesEi,comdat
	.protected	_ZN2at6native14lpnorm_cleanupIdLNS0_8NormTypeE2EfLb0EfEEvPKT3_NS0_19TensorListAddressesEi ; -- Begin function _ZN2at6native14lpnorm_cleanupIdLNS0_8NormTypeE2EfLb0EfEEvPKT3_NS0_19TensorListAddressesEi
	.globl	_ZN2at6native14lpnorm_cleanupIdLNS0_8NormTypeE2EfLb0EfEEvPKT3_NS0_19TensorListAddressesEi
	.p2align	8
	.type	_ZN2at6native14lpnorm_cleanupIdLNS0_8NormTypeE2EfLb0EfEEvPKT3_NS0_19TensorListAddressesEi,@function
_ZN2at6native14lpnorm_cleanupIdLNS0_8NormTypeE2EfLb0EfEEvPKT3_NS0_19TensorListAddressesEi: ; @_ZN2at6native14lpnorm_cleanupIdLNS0_8NormTypeE2EfLb0EfEEvPKT3_NS0_19TensorListAddressesEi
; %bb.0:
	s_load_dword s6, s[0:1], 0xc88
	v_mov_b32_e32 v1, 0
	s_waitcnt lgkmcnt(0)
	v_cmp_gt_u32_e32 vcc, s6, v0
	s_and_saveexec_b64 s[4:5], vcc
	s_cbranch_execz .LBB153_4
; %bb.1:
	s_load_dwordx2 s[12:13], s[0:1], 0x0
	s_load_dword s3, s[0:1], 0xc9c
	s_mul_i32 s8, s6, s2
	s_mov_b32 s9, 0
	s_ashr_i32 s7, s6, 31
	s_lshl_b64 s[14:15], s[8:9], 2
	s_waitcnt lgkmcnt(0)
	s_and_b32 s10, s3, 0xffff
	v_mov_b32_e32 v1, 0
	s_add_u32 s12, s12, s14
	v_lshlrev_b32_e32 v2, 2, v0
	v_mov_b32_e32 v3, v1
	s_addc_u32 s13, s13, s15
	s_mov_b32 s11, s9
	v_lshl_add_u64 v[2:3], s[12:13], 0, v[2:3]
	s_lshl_b32 s8, s10, 2
	s_mov_b64 s[12:13], 0
	v_mov_b64_e32 v[4:5], v[0:1]
.LBB153_2:                              ; =>This Inner Loop Header: Depth=1
	global_load_dword v6, v[2:3], off
	v_lshl_add_u64 v[4:5], v[4:5], 0, s[10:11]
	v_cmp_le_u64_e32 vcc, s[6:7], v[4:5]
	v_lshl_add_u64 v[2:3], v[2:3], 0, s[8:9]
	s_or_b64 s[12:13], vcc, s[12:13]
	s_waitcnt vmcnt(0)
	v_add_f32_e32 v1, v1, v6
	s_andn2_b64 exec, exec, s[12:13]
	s_cbranch_execnz .LBB153_2
; %bb.3:
	s_or_b64 exec, exec, s[12:13]
.LBB153_4:
	s_or_b64 exec, exec, s[4:5]
	v_mbcnt_lo_u32_b32 v2, -1, 0
	v_mbcnt_hi_u32_b32 v6, -1, v2
	v_mov_b32_e32 v2, 0x80
	v_lshl_or_b32 v2, v6, 2, v2
	ds_bpermute_b32 v3, v2, v1
	v_and_b32_e32 v7, 63, v6
	v_cmp_gt_u32_e32 vcc, 48, v7
	s_waitcnt lgkmcnt(0)
	s_barrier
	v_cndmask_b32_e64 v4, 0, 16, vcc
	v_add_f32_e32 v5, v1, v3
	v_add_lshl_u32 v1, v4, v6, 2
	ds_bpermute_b32 v4, v1, v5
	v_cmp_gt_u32_e32 vcc, 56, v7
	s_waitcnt lgkmcnt(0)
	v_add_f32_e32 v5, v5, v4
	v_cndmask_b32_e64 v3, 0, 8, vcc
	v_add_lshl_u32 v3, v3, v6, 2
	ds_bpermute_b32 v8, v3, v5
	v_cmp_gt_u32_e32 vcc, 60, v7
	s_waitcnt lgkmcnt(0)
	v_add_f32_e32 v8, v5, v8
	v_cndmask_b32_e64 v4, 0, 4, vcc
	v_add_lshl_u32 v4, v4, v6, 2
	ds_bpermute_b32 v9, v4, v8
	v_cmp_gt_u32_e32 vcc, 62, v7
	s_waitcnt lgkmcnt(0)
	v_add_f32_e32 v9, v8, v9
	v_cndmask_b32_e64 v5, 0, 2, vcc
	v_add_lshl_u32 v5, v5, v6, 2
	ds_bpermute_b32 v10, v5, v9
	v_cmp_ne_u32_e32 vcc, 63, v7
	v_and_b32_e32 v8, 63, v0
	s_waitcnt lgkmcnt(0)
	v_add_f32_e32 v7, v9, v10
	v_addc_co_u32_e32 v6, vcc, 0, v6, vcc
	v_lshlrev_b32_e32 v6, 2, v6
	ds_bpermute_b32 v9, v6, v7
	v_cmp_eq_u32_e32 vcc, 0, v8
	s_and_saveexec_b64 s[4:5], vcc
	s_cbranch_execz .LBB153_6
; %bb.5:
	s_waitcnt lgkmcnt(0)
	v_add_f32_e32 v7, v7, v9
	v_lshrrev_b32_e32 v9, 4, v0
	ds_write_b32 v9, v7
.LBB153_6:
	s_or_b64 exec, exec, s[4:5]
	s_waitcnt lgkmcnt(0)
	s_barrier
	s_load_dword s3, s[0:1], 0xc9c
	v_mov_b32_e32 v7, 0
	s_waitcnt lgkmcnt(0)
	s_bfe_u32 s3, s3, 0xa0006
	v_cmp_gt_u32_e32 vcc, s3, v0
	s_and_saveexec_b64 s[4:5], vcc
; %bb.7:
	v_lshlrev_b32_e32 v7, 2, v8
	ds_read_b32 v7, v7
; %bb.8:
	s_or_b64 exec, exec, s[4:5]
	v_cmp_gt_u32_e32 vcc, 64, v0
	s_and_saveexec_b64 s[4:5], vcc
	s_cbranch_execz .LBB153_10
; %bb.9:
	s_waitcnt lgkmcnt(0)
	ds_bpermute_b32 v2, v2, v7
	s_waitcnt lgkmcnt(0)
	v_add_f32_e32 v2, v7, v2
	ds_bpermute_b32 v1, v1, v2
	s_waitcnt lgkmcnt(0)
	v_add_f32_e32 v1, v2, v1
	;; [unrolled: 3-line block ×6, first 2 shown]
.LBB153_10:
	s_or_b64 exec, exec, s[4:5]
	s_mov_b32 s3, 0
	v_cmp_eq_u32_e32 vcc, 0, v0
	s_and_saveexec_b64 s[4:5], vcc
	s_cbranch_execz .LBB153_12
; %bb.11:
	s_lshl_b64 s[2:3], s[2:3], 3
	s_add_u32 s0, s0, s2
	s_addc_u32 s1, s1, s3
	s_load_dwordx2 s[0:1], s[0:1], 0x8
	v_mov_b32_e32 v0, 0
	s_waitcnt lgkmcnt(0)
	global_store_dword v0, v7, s[0:1]
.LBB153_12:
	s_endpgm
	.section	.rodata,"a",@progbits
	.p2align	6, 0x0
	.amdhsa_kernel _ZN2at6native14lpnorm_cleanupIdLNS0_8NormTypeE2EfLb0EfEEvPKT3_NS0_19TensorListAddressesEi
		.amdhsa_group_segment_fixed_size 2048
		.amdhsa_private_segment_fixed_size 0
		.amdhsa_kernarg_size 3472
		.amdhsa_user_sgpr_count 2
		.amdhsa_user_sgpr_dispatch_ptr 0
		.amdhsa_user_sgpr_queue_ptr 0
		.amdhsa_user_sgpr_kernarg_segment_ptr 1
		.amdhsa_user_sgpr_dispatch_id 0
		.amdhsa_user_sgpr_kernarg_preload_length 0
		.amdhsa_user_sgpr_kernarg_preload_offset 0
		.amdhsa_user_sgpr_private_segment_size 0
		.amdhsa_uses_dynamic_stack 0
		.amdhsa_enable_private_segment 0
		.amdhsa_system_sgpr_workgroup_id_x 1
		.amdhsa_system_sgpr_workgroup_id_y 0
		.amdhsa_system_sgpr_workgroup_id_z 0
		.amdhsa_system_sgpr_workgroup_info 0
		.amdhsa_system_vgpr_workitem_id 0
		.amdhsa_next_free_vgpr 11
		.amdhsa_next_free_sgpr 16
		.amdhsa_accum_offset 12
		.amdhsa_reserve_vcc 1
		.amdhsa_float_round_mode_32 0
		.amdhsa_float_round_mode_16_64 0
		.amdhsa_float_denorm_mode_32 3
		.amdhsa_float_denorm_mode_16_64 3
		.amdhsa_dx10_clamp 1
		.amdhsa_ieee_mode 1
		.amdhsa_fp16_overflow 0
		.amdhsa_tg_split 0
		.amdhsa_exception_fp_ieee_invalid_op 0
		.amdhsa_exception_fp_denorm_src 0
		.amdhsa_exception_fp_ieee_div_zero 0
		.amdhsa_exception_fp_ieee_overflow 0
		.amdhsa_exception_fp_ieee_underflow 0
		.amdhsa_exception_fp_ieee_inexact 0
		.amdhsa_exception_int_div_zero 0
	.end_amdhsa_kernel
	.section	.text._ZN2at6native14lpnorm_cleanupIdLNS0_8NormTypeE2EfLb0EfEEvPKT3_NS0_19TensorListAddressesEi,"axG",@progbits,_ZN2at6native14lpnorm_cleanupIdLNS0_8NormTypeE2EfLb0EfEEvPKT3_NS0_19TensorListAddressesEi,comdat
.Lfunc_end153:
	.size	_ZN2at6native14lpnorm_cleanupIdLNS0_8NormTypeE2EfLb0EfEEvPKT3_NS0_19TensorListAddressesEi, .Lfunc_end153-_ZN2at6native14lpnorm_cleanupIdLNS0_8NormTypeE2EfLb0EfEEvPKT3_NS0_19TensorListAddressesEi
                                        ; -- End function
	.set _ZN2at6native14lpnorm_cleanupIdLNS0_8NormTypeE2EfLb0EfEEvPKT3_NS0_19TensorListAddressesEi.num_vgpr, 11
	.set _ZN2at6native14lpnorm_cleanupIdLNS0_8NormTypeE2EfLb0EfEEvPKT3_NS0_19TensorListAddressesEi.num_agpr, 0
	.set _ZN2at6native14lpnorm_cleanupIdLNS0_8NormTypeE2EfLb0EfEEvPKT3_NS0_19TensorListAddressesEi.numbered_sgpr, 16
	.set _ZN2at6native14lpnorm_cleanupIdLNS0_8NormTypeE2EfLb0EfEEvPKT3_NS0_19TensorListAddressesEi.num_named_barrier, 0
	.set _ZN2at6native14lpnorm_cleanupIdLNS0_8NormTypeE2EfLb0EfEEvPKT3_NS0_19TensorListAddressesEi.private_seg_size, 0
	.set _ZN2at6native14lpnorm_cleanupIdLNS0_8NormTypeE2EfLb0EfEEvPKT3_NS0_19TensorListAddressesEi.uses_vcc, 1
	.set _ZN2at6native14lpnorm_cleanupIdLNS0_8NormTypeE2EfLb0EfEEvPKT3_NS0_19TensorListAddressesEi.uses_flat_scratch, 0
	.set _ZN2at6native14lpnorm_cleanupIdLNS0_8NormTypeE2EfLb0EfEEvPKT3_NS0_19TensorListAddressesEi.has_dyn_sized_stack, 0
	.set _ZN2at6native14lpnorm_cleanupIdLNS0_8NormTypeE2EfLb0EfEEvPKT3_NS0_19TensorListAddressesEi.has_recursion, 0
	.set _ZN2at6native14lpnorm_cleanupIdLNS0_8NormTypeE2EfLb0EfEEvPKT3_NS0_19TensorListAddressesEi.has_indirect_call, 0
	.section	.AMDGPU.csdata,"",@progbits
; Kernel info:
; codeLenInByte = 660
; TotalNumSgprs: 22
; NumVgprs: 11
; NumAgprs: 0
; TotalNumVgprs: 11
; ScratchSize: 0
; MemoryBound: 0
; FloatMode: 240
; IeeeMode: 1
; LDSByteSize: 2048 bytes/workgroup (compile time only)
; SGPRBlocks: 2
; VGPRBlocks: 1
; NumSGPRsForWavesPerEU: 22
; NumVGPRsForWavesPerEU: 11
; AccumOffset: 12
; Occupancy: 8
; WaveLimiterHint : 0
; COMPUTE_PGM_RSRC2:SCRATCH_EN: 0
; COMPUTE_PGM_RSRC2:USER_SGPR: 2
; COMPUTE_PGM_RSRC2:TRAP_HANDLER: 0
; COMPUTE_PGM_RSRC2:TGID_X_EN: 1
; COMPUTE_PGM_RSRC2:TGID_Y_EN: 0
; COMPUTE_PGM_RSRC2:TGID_Z_EN: 0
; COMPUTE_PGM_RSRC2:TIDIG_COMP_CNT: 0
; COMPUTE_PGM_RSRC3_GFX90A:ACCUM_OFFSET: 2
; COMPUTE_PGM_RSRC3_GFX90A:TG_SPLIT: 0
	.section	.text._ZN2at6native14lpnorm_cleanupIdLNS0_8NormTypeE0EN3c104HalfELb0EfEEvPKT3_NS0_19TensorListAddressesEi,"axG",@progbits,_ZN2at6native14lpnorm_cleanupIdLNS0_8NormTypeE0EN3c104HalfELb0EfEEvPKT3_NS0_19TensorListAddressesEi,comdat
	.protected	_ZN2at6native14lpnorm_cleanupIdLNS0_8NormTypeE0EN3c104HalfELb0EfEEvPKT3_NS0_19TensorListAddressesEi ; -- Begin function _ZN2at6native14lpnorm_cleanupIdLNS0_8NormTypeE0EN3c104HalfELb0EfEEvPKT3_NS0_19TensorListAddressesEi
	.globl	_ZN2at6native14lpnorm_cleanupIdLNS0_8NormTypeE0EN3c104HalfELb0EfEEvPKT3_NS0_19TensorListAddressesEi
	.p2align	8
	.type	_ZN2at6native14lpnorm_cleanupIdLNS0_8NormTypeE0EN3c104HalfELb0EfEEvPKT3_NS0_19TensorListAddressesEi,@function
_ZN2at6native14lpnorm_cleanupIdLNS0_8NormTypeE0EN3c104HalfELb0EfEEvPKT3_NS0_19TensorListAddressesEi: ; @_ZN2at6native14lpnorm_cleanupIdLNS0_8NormTypeE0EN3c104HalfELb0EfEEvPKT3_NS0_19TensorListAddressesEi
; %bb.0:
	s_load_dword s6, s[0:1], 0xc88
	v_mov_b32_e32 v1, 0
	s_waitcnt lgkmcnt(0)
	v_cmp_gt_u32_e32 vcc, s6, v0
	s_and_saveexec_b64 s[4:5], vcc
	s_cbranch_execz .LBB154_4
; %bb.1:
	s_load_dwordx2 s[12:13], s[0:1], 0x0
	s_load_dword s3, s[0:1], 0xc9c
	s_mul_i32 s8, s6, s2
	s_mov_b32 s9, 0
	s_ashr_i32 s7, s6, 31
	s_lshl_b64 s[14:15], s[8:9], 2
	s_waitcnt lgkmcnt(0)
	s_and_b32 s10, s3, 0xffff
	v_mov_b32_e32 v1, 0
	s_add_u32 s12, s12, s14
	v_lshlrev_b32_e32 v2, 2, v0
	v_mov_b32_e32 v3, v1
	s_addc_u32 s13, s13, s15
	s_mov_b32 s11, s9
	v_lshl_add_u64 v[2:3], s[12:13], 0, v[2:3]
	s_lshl_b32 s8, s10, 2
	s_mov_b64 s[12:13], 0
	v_mov_b64_e32 v[4:5], v[0:1]
.LBB154_2:                              ; =>This Inner Loop Header: Depth=1
	global_load_dword v6, v[2:3], off
	v_lshl_add_u64 v[4:5], v[4:5], 0, s[10:11]
	v_cmp_le_u64_e32 vcc, s[6:7], v[4:5]
	v_lshl_add_u64 v[2:3], v[2:3], 0, s[8:9]
	s_or_b64 s[12:13], vcc, s[12:13]
	s_waitcnt vmcnt(0)
	v_add_f32_e32 v1, v1, v6
	s_andn2_b64 exec, exec, s[12:13]
	s_cbranch_execnz .LBB154_2
; %bb.3:
	s_or_b64 exec, exec, s[12:13]
.LBB154_4:
	s_or_b64 exec, exec, s[4:5]
	v_mbcnt_lo_u32_b32 v2, -1, 0
	v_mbcnt_hi_u32_b32 v6, -1, v2
	v_mov_b32_e32 v2, 0x80
	v_lshl_or_b32 v2, v6, 2, v2
	ds_bpermute_b32 v3, v2, v1
	v_and_b32_e32 v7, 63, v6
	v_cmp_gt_u32_e32 vcc, 48, v7
	s_waitcnt lgkmcnt(0)
	s_barrier
	v_cndmask_b32_e64 v4, 0, 16, vcc
	v_add_f32_e32 v5, v1, v3
	v_add_lshl_u32 v1, v4, v6, 2
	ds_bpermute_b32 v4, v1, v5
	v_cmp_gt_u32_e32 vcc, 56, v7
	s_waitcnt lgkmcnt(0)
	v_add_f32_e32 v5, v5, v4
	v_cndmask_b32_e64 v3, 0, 8, vcc
	v_add_lshl_u32 v3, v3, v6, 2
	ds_bpermute_b32 v8, v3, v5
	v_cmp_gt_u32_e32 vcc, 60, v7
	s_waitcnt lgkmcnt(0)
	v_add_f32_e32 v8, v5, v8
	v_cndmask_b32_e64 v4, 0, 4, vcc
	;; [unrolled: 6-line block ×3, first 2 shown]
	v_add_lshl_u32 v5, v5, v6, 2
	ds_bpermute_b32 v10, v5, v9
	v_cmp_ne_u32_e32 vcc, 63, v7
	v_and_b32_e32 v8, 63, v0
	s_waitcnt lgkmcnt(0)
	v_add_f32_e32 v7, v9, v10
	v_addc_co_u32_e32 v6, vcc, 0, v6, vcc
	v_lshlrev_b32_e32 v6, 2, v6
	ds_bpermute_b32 v9, v6, v7
	v_cmp_eq_u32_e32 vcc, 0, v8
	s_and_saveexec_b64 s[4:5], vcc
	s_cbranch_execz .LBB154_6
; %bb.5:
	s_waitcnt lgkmcnt(0)
	v_add_f32_e32 v7, v7, v9
	v_lshrrev_b32_e32 v9, 4, v0
	ds_write_b32 v9, v7
.LBB154_6:
	s_or_b64 exec, exec, s[4:5]
	s_waitcnt lgkmcnt(0)
	s_barrier
	s_load_dword s3, s[0:1], 0xc9c
	v_mov_b32_e32 v7, 0
	s_waitcnt lgkmcnt(0)
	s_bfe_u32 s3, s3, 0xa0006
	v_cmp_gt_u32_e32 vcc, s3, v0
	s_and_saveexec_b64 s[4:5], vcc
; %bb.7:
	v_lshlrev_b32_e32 v7, 2, v8
	ds_read_b32 v7, v7
; %bb.8:
	s_or_b64 exec, exec, s[4:5]
	v_cmp_gt_u32_e32 vcc, 64, v0
	s_and_saveexec_b64 s[4:5], vcc
	s_cbranch_execz .LBB154_10
; %bb.9:
	s_waitcnt lgkmcnt(0)
	ds_bpermute_b32 v2, v2, v7
	s_waitcnt lgkmcnt(0)
	v_add_f32_e32 v2, v7, v2
	ds_bpermute_b32 v1, v1, v2
	s_waitcnt lgkmcnt(0)
	v_add_f32_e32 v1, v2, v1
	;; [unrolled: 3-line block ×6, first 2 shown]
.LBB154_10:
	s_or_b64 exec, exec, s[4:5]
	s_mov_b32 s3, 0
	v_cmp_eq_u32_e32 vcc, 0, v0
	s_and_saveexec_b64 s[4:5], vcc
	s_cbranch_execz .LBB154_12
; %bb.11:
	s_lshl_b64 s[2:3], s[2:3], 3
	s_add_u32 s0, s0, s2
	s_addc_u32 s1, s1, s3
	s_load_dwordx2 s[0:1], s[0:1], 0x8
	s_waitcnt lgkmcnt(0)
	v_cvt_f16_f32_e32 v0, v7
	v_mov_b32_e32 v1, 0
	global_store_short v1, v0, s[0:1]
.LBB154_12:
	s_endpgm
	.section	.rodata,"a",@progbits
	.p2align	6, 0x0
	.amdhsa_kernel _ZN2at6native14lpnorm_cleanupIdLNS0_8NormTypeE0EN3c104HalfELb0EfEEvPKT3_NS0_19TensorListAddressesEi
		.amdhsa_group_segment_fixed_size 2048
		.amdhsa_private_segment_fixed_size 0
		.amdhsa_kernarg_size 3472
		.amdhsa_user_sgpr_count 2
		.amdhsa_user_sgpr_dispatch_ptr 0
		.amdhsa_user_sgpr_queue_ptr 0
		.amdhsa_user_sgpr_kernarg_segment_ptr 1
		.amdhsa_user_sgpr_dispatch_id 0
		.amdhsa_user_sgpr_kernarg_preload_length 0
		.amdhsa_user_sgpr_kernarg_preload_offset 0
		.amdhsa_user_sgpr_private_segment_size 0
		.amdhsa_uses_dynamic_stack 0
		.amdhsa_enable_private_segment 0
		.amdhsa_system_sgpr_workgroup_id_x 1
		.amdhsa_system_sgpr_workgroup_id_y 0
		.amdhsa_system_sgpr_workgroup_id_z 0
		.amdhsa_system_sgpr_workgroup_info 0
		.amdhsa_system_vgpr_workitem_id 0
		.amdhsa_next_free_vgpr 11
		.amdhsa_next_free_sgpr 16
		.amdhsa_accum_offset 12
		.amdhsa_reserve_vcc 1
		.amdhsa_float_round_mode_32 0
		.amdhsa_float_round_mode_16_64 0
		.amdhsa_float_denorm_mode_32 3
		.amdhsa_float_denorm_mode_16_64 3
		.amdhsa_dx10_clamp 1
		.amdhsa_ieee_mode 1
		.amdhsa_fp16_overflow 0
		.amdhsa_tg_split 0
		.amdhsa_exception_fp_ieee_invalid_op 0
		.amdhsa_exception_fp_denorm_src 0
		.amdhsa_exception_fp_ieee_div_zero 0
		.amdhsa_exception_fp_ieee_overflow 0
		.amdhsa_exception_fp_ieee_underflow 0
		.amdhsa_exception_fp_ieee_inexact 0
		.amdhsa_exception_int_div_zero 0
	.end_amdhsa_kernel
	.section	.text._ZN2at6native14lpnorm_cleanupIdLNS0_8NormTypeE0EN3c104HalfELb0EfEEvPKT3_NS0_19TensorListAddressesEi,"axG",@progbits,_ZN2at6native14lpnorm_cleanupIdLNS0_8NormTypeE0EN3c104HalfELb0EfEEvPKT3_NS0_19TensorListAddressesEi,comdat
.Lfunc_end154:
	.size	_ZN2at6native14lpnorm_cleanupIdLNS0_8NormTypeE0EN3c104HalfELb0EfEEvPKT3_NS0_19TensorListAddressesEi, .Lfunc_end154-_ZN2at6native14lpnorm_cleanupIdLNS0_8NormTypeE0EN3c104HalfELb0EfEEvPKT3_NS0_19TensorListAddressesEi
                                        ; -- End function
	.set _ZN2at6native14lpnorm_cleanupIdLNS0_8NormTypeE0EN3c104HalfELb0EfEEvPKT3_NS0_19TensorListAddressesEi.num_vgpr, 11
	.set _ZN2at6native14lpnorm_cleanupIdLNS0_8NormTypeE0EN3c104HalfELb0EfEEvPKT3_NS0_19TensorListAddressesEi.num_agpr, 0
	.set _ZN2at6native14lpnorm_cleanupIdLNS0_8NormTypeE0EN3c104HalfELb0EfEEvPKT3_NS0_19TensorListAddressesEi.numbered_sgpr, 16
	.set _ZN2at6native14lpnorm_cleanupIdLNS0_8NormTypeE0EN3c104HalfELb0EfEEvPKT3_NS0_19TensorListAddressesEi.num_named_barrier, 0
	.set _ZN2at6native14lpnorm_cleanupIdLNS0_8NormTypeE0EN3c104HalfELb0EfEEvPKT3_NS0_19TensorListAddressesEi.private_seg_size, 0
	.set _ZN2at6native14lpnorm_cleanupIdLNS0_8NormTypeE0EN3c104HalfELb0EfEEvPKT3_NS0_19TensorListAddressesEi.uses_vcc, 1
	.set _ZN2at6native14lpnorm_cleanupIdLNS0_8NormTypeE0EN3c104HalfELb0EfEEvPKT3_NS0_19TensorListAddressesEi.uses_flat_scratch, 0
	.set _ZN2at6native14lpnorm_cleanupIdLNS0_8NormTypeE0EN3c104HalfELb0EfEEvPKT3_NS0_19TensorListAddressesEi.has_dyn_sized_stack, 0
	.set _ZN2at6native14lpnorm_cleanupIdLNS0_8NormTypeE0EN3c104HalfELb0EfEEvPKT3_NS0_19TensorListAddressesEi.has_recursion, 0
	.set _ZN2at6native14lpnorm_cleanupIdLNS0_8NormTypeE0EN3c104HalfELb0EfEEvPKT3_NS0_19TensorListAddressesEi.has_indirect_call, 0
	.section	.AMDGPU.csdata,"",@progbits
; Kernel info:
; codeLenInByte = 664
; TotalNumSgprs: 22
; NumVgprs: 11
; NumAgprs: 0
; TotalNumVgprs: 11
; ScratchSize: 0
; MemoryBound: 0
; FloatMode: 240
; IeeeMode: 1
; LDSByteSize: 2048 bytes/workgroup (compile time only)
; SGPRBlocks: 2
; VGPRBlocks: 1
; NumSGPRsForWavesPerEU: 22
; NumVGPRsForWavesPerEU: 11
; AccumOffset: 12
; Occupancy: 8
; WaveLimiterHint : 0
; COMPUTE_PGM_RSRC2:SCRATCH_EN: 0
; COMPUTE_PGM_RSRC2:USER_SGPR: 2
; COMPUTE_PGM_RSRC2:TRAP_HANDLER: 0
; COMPUTE_PGM_RSRC2:TGID_X_EN: 1
; COMPUTE_PGM_RSRC2:TGID_Y_EN: 0
; COMPUTE_PGM_RSRC2:TGID_Z_EN: 0
; COMPUTE_PGM_RSRC2:TIDIG_COMP_CNT: 0
; COMPUTE_PGM_RSRC3_GFX90A:ACCUM_OFFSET: 2
; COMPUTE_PGM_RSRC3_GFX90A:TG_SPLIT: 0
	.section	.text._ZN2at6native14lpnorm_cleanupIdLNS0_8NormTypeE1EN3c104HalfELb0EfEEvPKT3_NS0_19TensorListAddressesEi,"axG",@progbits,_ZN2at6native14lpnorm_cleanupIdLNS0_8NormTypeE1EN3c104HalfELb0EfEEvPKT3_NS0_19TensorListAddressesEi,comdat
	.protected	_ZN2at6native14lpnorm_cleanupIdLNS0_8NormTypeE1EN3c104HalfELb0EfEEvPKT3_NS0_19TensorListAddressesEi ; -- Begin function _ZN2at6native14lpnorm_cleanupIdLNS0_8NormTypeE1EN3c104HalfELb0EfEEvPKT3_NS0_19TensorListAddressesEi
	.globl	_ZN2at6native14lpnorm_cleanupIdLNS0_8NormTypeE1EN3c104HalfELb0EfEEvPKT3_NS0_19TensorListAddressesEi
	.p2align	8
	.type	_ZN2at6native14lpnorm_cleanupIdLNS0_8NormTypeE1EN3c104HalfELb0EfEEvPKT3_NS0_19TensorListAddressesEi,@function
_ZN2at6native14lpnorm_cleanupIdLNS0_8NormTypeE1EN3c104HalfELb0EfEEvPKT3_NS0_19TensorListAddressesEi: ; @_ZN2at6native14lpnorm_cleanupIdLNS0_8NormTypeE1EN3c104HalfELb0EfEEvPKT3_NS0_19TensorListAddressesEi
; %bb.0:
	s_load_dword s6, s[0:1], 0xc88
	v_mov_b32_e32 v1, 0
	s_waitcnt lgkmcnt(0)
	v_cmp_gt_u32_e32 vcc, s6, v0
	s_and_saveexec_b64 s[4:5], vcc
	s_cbranch_execz .LBB155_4
; %bb.1:
	s_load_dwordx2 s[12:13], s[0:1], 0x0
	s_load_dword s3, s[0:1], 0xc9c
	s_mul_i32 s8, s6, s2
	s_mov_b32 s9, 0
	s_ashr_i32 s7, s6, 31
	s_lshl_b64 s[14:15], s[8:9], 2
	s_waitcnt lgkmcnt(0)
	s_and_b32 s10, s3, 0xffff
	v_mov_b32_e32 v1, 0
	s_add_u32 s12, s12, s14
	v_lshlrev_b32_e32 v2, 2, v0
	v_mov_b32_e32 v3, v1
	s_addc_u32 s13, s13, s15
	s_mov_b32 s11, s9
	v_lshl_add_u64 v[2:3], s[12:13], 0, v[2:3]
	s_lshl_b32 s8, s10, 2
	s_mov_b64 s[12:13], 0
	v_mov_b64_e32 v[4:5], v[0:1]
.LBB155_2:                              ; =>This Inner Loop Header: Depth=1
	global_load_dword v6, v[2:3], off
	v_lshl_add_u64 v[4:5], v[4:5], 0, s[10:11]
	v_cmp_le_u64_e32 vcc, s[6:7], v[4:5]
	v_lshl_add_u64 v[2:3], v[2:3], 0, s[8:9]
	s_or_b64 s[12:13], vcc, s[12:13]
	s_waitcnt vmcnt(0)
	v_add_f32_e32 v1, v1, v6
	s_andn2_b64 exec, exec, s[12:13]
	s_cbranch_execnz .LBB155_2
; %bb.3:
	s_or_b64 exec, exec, s[12:13]
.LBB155_4:
	s_or_b64 exec, exec, s[4:5]
	v_mbcnt_lo_u32_b32 v2, -1, 0
	v_mbcnt_hi_u32_b32 v6, -1, v2
	v_mov_b32_e32 v2, 0x80
	v_lshl_or_b32 v2, v6, 2, v2
	ds_bpermute_b32 v3, v2, v1
	v_and_b32_e32 v7, 63, v6
	v_cmp_gt_u32_e32 vcc, 48, v7
	s_waitcnt lgkmcnt(0)
	s_barrier
	v_cndmask_b32_e64 v4, 0, 16, vcc
	v_add_f32_e32 v5, v1, v3
	v_add_lshl_u32 v1, v4, v6, 2
	ds_bpermute_b32 v4, v1, v5
	v_cmp_gt_u32_e32 vcc, 56, v7
	s_waitcnt lgkmcnt(0)
	v_add_f32_e32 v5, v5, v4
	v_cndmask_b32_e64 v3, 0, 8, vcc
	v_add_lshl_u32 v3, v3, v6, 2
	ds_bpermute_b32 v8, v3, v5
	v_cmp_gt_u32_e32 vcc, 60, v7
	s_waitcnt lgkmcnt(0)
	v_add_f32_e32 v8, v5, v8
	v_cndmask_b32_e64 v4, 0, 4, vcc
	;; [unrolled: 6-line block ×3, first 2 shown]
	v_add_lshl_u32 v5, v5, v6, 2
	ds_bpermute_b32 v10, v5, v9
	v_cmp_ne_u32_e32 vcc, 63, v7
	v_and_b32_e32 v8, 63, v0
	s_waitcnt lgkmcnt(0)
	v_add_f32_e32 v7, v9, v10
	v_addc_co_u32_e32 v6, vcc, 0, v6, vcc
	v_lshlrev_b32_e32 v6, 2, v6
	ds_bpermute_b32 v9, v6, v7
	v_cmp_eq_u32_e32 vcc, 0, v8
	s_and_saveexec_b64 s[4:5], vcc
	s_cbranch_execz .LBB155_6
; %bb.5:
	s_waitcnt lgkmcnt(0)
	v_add_f32_e32 v7, v7, v9
	v_lshrrev_b32_e32 v9, 4, v0
	ds_write_b32 v9, v7
.LBB155_6:
	s_or_b64 exec, exec, s[4:5]
	s_waitcnt lgkmcnt(0)
	s_barrier
	s_load_dword s3, s[0:1], 0xc9c
	v_mov_b32_e32 v7, 0
	s_waitcnt lgkmcnt(0)
	s_bfe_u32 s3, s3, 0xa0006
	v_cmp_gt_u32_e32 vcc, s3, v0
	s_and_saveexec_b64 s[4:5], vcc
; %bb.7:
	v_lshlrev_b32_e32 v7, 2, v8
	ds_read_b32 v7, v7
; %bb.8:
	s_or_b64 exec, exec, s[4:5]
	v_cmp_gt_u32_e32 vcc, 64, v0
	s_and_saveexec_b64 s[4:5], vcc
	s_cbranch_execz .LBB155_10
; %bb.9:
	s_waitcnt lgkmcnt(0)
	ds_bpermute_b32 v2, v2, v7
	s_waitcnt lgkmcnt(0)
	v_add_f32_e32 v2, v7, v2
	ds_bpermute_b32 v1, v1, v2
	s_waitcnt lgkmcnt(0)
	v_add_f32_e32 v1, v2, v1
	;; [unrolled: 3-line block ×6, first 2 shown]
.LBB155_10:
	s_or_b64 exec, exec, s[4:5]
	s_mov_b32 s3, 0
	v_cmp_eq_u32_e32 vcc, 0, v0
	s_and_saveexec_b64 s[4:5], vcc
	s_cbranch_execz .LBB155_12
; %bb.11:
	s_lshl_b64 s[2:3], s[2:3], 3
	s_add_u32 s0, s0, s2
	s_addc_u32 s1, s1, s3
	s_load_dwordx2 s[0:1], s[0:1], 0x8
	s_waitcnt lgkmcnt(0)
	v_cvt_f16_f32_e32 v0, v7
	v_mov_b32_e32 v1, 0
	global_store_short v1, v0, s[0:1]
.LBB155_12:
	s_endpgm
	.section	.rodata,"a",@progbits
	.p2align	6, 0x0
	.amdhsa_kernel _ZN2at6native14lpnorm_cleanupIdLNS0_8NormTypeE1EN3c104HalfELb0EfEEvPKT3_NS0_19TensorListAddressesEi
		.amdhsa_group_segment_fixed_size 2048
		.amdhsa_private_segment_fixed_size 0
		.amdhsa_kernarg_size 3472
		.amdhsa_user_sgpr_count 2
		.amdhsa_user_sgpr_dispatch_ptr 0
		.amdhsa_user_sgpr_queue_ptr 0
		.amdhsa_user_sgpr_kernarg_segment_ptr 1
		.amdhsa_user_sgpr_dispatch_id 0
		.amdhsa_user_sgpr_kernarg_preload_length 0
		.amdhsa_user_sgpr_kernarg_preload_offset 0
		.amdhsa_user_sgpr_private_segment_size 0
		.amdhsa_uses_dynamic_stack 0
		.amdhsa_enable_private_segment 0
		.amdhsa_system_sgpr_workgroup_id_x 1
		.amdhsa_system_sgpr_workgroup_id_y 0
		.amdhsa_system_sgpr_workgroup_id_z 0
		.amdhsa_system_sgpr_workgroup_info 0
		.amdhsa_system_vgpr_workitem_id 0
		.amdhsa_next_free_vgpr 11
		.amdhsa_next_free_sgpr 16
		.amdhsa_accum_offset 12
		.amdhsa_reserve_vcc 1
		.amdhsa_float_round_mode_32 0
		.amdhsa_float_round_mode_16_64 0
		.amdhsa_float_denorm_mode_32 3
		.amdhsa_float_denorm_mode_16_64 3
		.amdhsa_dx10_clamp 1
		.amdhsa_ieee_mode 1
		.amdhsa_fp16_overflow 0
		.amdhsa_tg_split 0
		.amdhsa_exception_fp_ieee_invalid_op 0
		.amdhsa_exception_fp_denorm_src 0
		.amdhsa_exception_fp_ieee_div_zero 0
		.amdhsa_exception_fp_ieee_overflow 0
		.amdhsa_exception_fp_ieee_underflow 0
		.amdhsa_exception_fp_ieee_inexact 0
		.amdhsa_exception_int_div_zero 0
	.end_amdhsa_kernel
	.section	.text._ZN2at6native14lpnorm_cleanupIdLNS0_8NormTypeE1EN3c104HalfELb0EfEEvPKT3_NS0_19TensorListAddressesEi,"axG",@progbits,_ZN2at6native14lpnorm_cleanupIdLNS0_8NormTypeE1EN3c104HalfELb0EfEEvPKT3_NS0_19TensorListAddressesEi,comdat
.Lfunc_end155:
	.size	_ZN2at6native14lpnorm_cleanupIdLNS0_8NormTypeE1EN3c104HalfELb0EfEEvPKT3_NS0_19TensorListAddressesEi, .Lfunc_end155-_ZN2at6native14lpnorm_cleanupIdLNS0_8NormTypeE1EN3c104HalfELb0EfEEvPKT3_NS0_19TensorListAddressesEi
                                        ; -- End function
	.set _ZN2at6native14lpnorm_cleanupIdLNS0_8NormTypeE1EN3c104HalfELb0EfEEvPKT3_NS0_19TensorListAddressesEi.num_vgpr, 11
	.set _ZN2at6native14lpnorm_cleanupIdLNS0_8NormTypeE1EN3c104HalfELb0EfEEvPKT3_NS0_19TensorListAddressesEi.num_agpr, 0
	.set _ZN2at6native14lpnorm_cleanupIdLNS0_8NormTypeE1EN3c104HalfELb0EfEEvPKT3_NS0_19TensorListAddressesEi.numbered_sgpr, 16
	.set _ZN2at6native14lpnorm_cleanupIdLNS0_8NormTypeE1EN3c104HalfELb0EfEEvPKT3_NS0_19TensorListAddressesEi.num_named_barrier, 0
	.set _ZN2at6native14lpnorm_cleanupIdLNS0_8NormTypeE1EN3c104HalfELb0EfEEvPKT3_NS0_19TensorListAddressesEi.private_seg_size, 0
	.set _ZN2at6native14lpnorm_cleanupIdLNS0_8NormTypeE1EN3c104HalfELb0EfEEvPKT3_NS0_19TensorListAddressesEi.uses_vcc, 1
	.set _ZN2at6native14lpnorm_cleanupIdLNS0_8NormTypeE1EN3c104HalfELb0EfEEvPKT3_NS0_19TensorListAddressesEi.uses_flat_scratch, 0
	.set _ZN2at6native14lpnorm_cleanupIdLNS0_8NormTypeE1EN3c104HalfELb0EfEEvPKT3_NS0_19TensorListAddressesEi.has_dyn_sized_stack, 0
	.set _ZN2at6native14lpnorm_cleanupIdLNS0_8NormTypeE1EN3c104HalfELb0EfEEvPKT3_NS0_19TensorListAddressesEi.has_recursion, 0
	.set _ZN2at6native14lpnorm_cleanupIdLNS0_8NormTypeE1EN3c104HalfELb0EfEEvPKT3_NS0_19TensorListAddressesEi.has_indirect_call, 0
	.section	.AMDGPU.csdata,"",@progbits
; Kernel info:
; codeLenInByte = 664
; TotalNumSgprs: 22
; NumVgprs: 11
; NumAgprs: 0
; TotalNumVgprs: 11
; ScratchSize: 0
; MemoryBound: 0
; FloatMode: 240
; IeeeMode: 1
; LDSByteSize: 2048 bytes/workgroup (compile time only)
; SGPRBlocks: 2
; VGPRBlocks: 1
; NumSGPRsForWavesPerEU: 22
; NumVGPRsForWavesPerEU: 11
; AccumOffset: 12
; Occupancy: 8
; WaveLimiterHint : 0
; COMPUTE_PGM_RSRC2:SCRATCH_EN: 0
; COMPUTE_PGM_RSRC2:USER_SGPR: 2
; COMPUTE_PGM_RSRC2:TRAP_HANDLER: 0
; COMPUTE_PGM_RSRC2:TGID_X_EN: 1
; COMPUTE_PGM_RSRC2:TGID_Y_EN: 0
; COMPUTE_PGM_RSRC2:TGID_Z_EN: 0
; COMPUTE_PGM_RSRC2:TIDIG_COMP_CNT: 0
; COMPUTE_PGM_RSRC3_GFX90A:ACCUM_OFFSET: 2
; COMPUTE_PGM_RSRC3_GFX90A:TG_SPLIT: 0
	.section	.text._ZN2at6native14lpnorm_cleanupIdLNS0_8NormTypeE2EN3c104HalfELb0EfEEvPKT3_NS0_19TensorListAddressesEi,"axG",@progbits,_ZN2at6native14lpnorm_cleanupIdLNS0_8NormTypeE2EN3c104HalfELb0EfEEvPKT3_NS0_19TensorListAddressesEi,comdat
	.protected	_ZN2at6native14lpnorm_cleanupIdLNS0_8NormTypeE2EN3c104HalfELb0EfEEvPKT3_NS0_19TensorListAddressesEi ; -- Begin function _ZN2at6native14lpnorm_cleanupIdLNS0_8NormTypeE2EN3c104HalfELb0EfEEvPKT3_NS0_19TensorListAddressesEi
	.globl	_ZN2at6native14lpnorm_cleanupIdLNS0_8NormTypeE2EN3c104HalfELb0EfEEvPKT3_NS0_19TensorListAddressesEi
	.p2align	8
	.type	_ZN2at6native14lpnorm_cleanupIdLNS0_8NormTypeE2EN3c104HalfELb0EfEEvPKT3_NS0_19TensorListAddressesEi,@function
_ZN2at6native14lpnorm_cleanupIdLNS0_8NormTypeE2EN3c104HalfELb0EfEEvPKT3_NS0_19TensorListAddressesEi: ; @_ZN2at6native14lpnorm_cleanupIdLNS0_8NormTypeE2EN3c104HalfELb0EfEEvPKT3_NS0_19TensorListAddressesEi
; %bb.0:
	s_load_dword s6, s[0:1], 0xc88
	v_mov_b32_e32 v1, 0
	s_waitcnt lgkmcnt(0)
	v_cmp_gt_u32_e32 vcc, s6, v0
	s_and_saveexec_b64 s[4:5], vcc
	s_cbranch_execz .LBB156_4
; %bb.1:
	s_load_dwordx2 s[12:13], s[0:1], 0x0
	s_load_dword s3, s[0:1], 0xc9c
	s_mul_i32 s8, s6, s2
	s_mov_b32 s9, 0
	s_ashr_i32 s7, s6, 31
	s_lshl_b64 s[14:15], s[8:9], 2
	s_waitcnt lgkmcnt(0)
	s_and_b32 s10, s3, 0xffff
	v_mov_b32_e32 v1, 0
	s_add_u32 s12, s12, s14
	v_lshlrev_b32_e32 v2, 2, v0
	v_mov_b32_e32 v3, v1
	s_addc_u32 s13, s13, s15
	s_mov_b32 s11, s9
	v_lshl_add_u64 v[2:3], s[12:13], 0, v[2:3]
	s_lshl_b32 s8, s10, 2
	s_mov_b64 s[12:13], 0
	v_mov_b64_e32 v[4:5], v[0:1]
.LBB156_2:                              ; =>This Inner Loop Header: Depth=1
	global_load_dword v6, v[2:3], off
	v_lshl_add_u64 v[4:5], v[4:5], 0, s[10:11]
	v_cmp_le_u64_e32 vcc, s[6:7], v[4:5]
	v_lshl_add_u64 v[2:3], v[2:3], 0, s[8:9]
	s_or_b64 s[12:13], vcc, s[12:13]
	s_waitcnt vmcnt(0)
	v_add_f32_e32 v1, v1, v6
	s_andn2_b64 exec, exec, s[12:13]
	s_cbranch_execnz .LBB156_2
; %bb.3:
	s_or_b64 exec, exec, s[12:13]
.LBB156_4:
	s_or_b64 exec, exec, s[4:5]
	v_mbcnt_lo_u32_b32 v2, -1, 0
	v_mbcnt_hi_u32_b32 v6, -1, v2
	v_mov_b32_e32 v2, 0x80
	v_lshl_or_b32 v2, v6, 2, v2
	ds_bpermute_b32 v3, v2, v1
	v_and_b32_e32 v7, 63, v6
	v_cmp_gt_u32_e32 vcc, 48, v7
	s_waitcnt lgkmcnt(0)
	s_barrier
	v_cndmask_b32_e64 v4, 0, 16, vcc
	v_add_f32_e32 v5, v1, v3
	v_add_lshl_u32 v1, v4, v6, 2
	ds_bpermute_b32 v4, v1, v5
	v_cmp_gt_u32_e32 vcc, 56, v7
	s_waitcnt lgkmcnt(0)
	v_add_f32_e32 v5, v5, v4
	v_cndmask_b32_e64 v3, 0, 8, vcc
	v_add_lshl_u32 v3, v3, v6, 2
	ds_bpermute_b32 v8, v3, v5
	v_cmp_gt_u32_e32 vcc, 60, v7
	s_waitcnt lgkmcnt(0)
	v_add_f32_e32 v8, v5, v8
	v_cndmask_b32_e64 v4, 0, 4, vcc
	;; [unrolled: 6-line block ×3, first 2 shown]
	v_add_lshl_u32 v5, v5, v6, 2
	ds_bpermute_b32 v10, v5, v9
	v_cmp_ne_u32_e32 vcc, 63, v7
	v_and_b32_e32 v8, 63, v0
	s_waitcnt lgkmcnt(0)
	v_add_f32_e32 v7, v9, v10
	v_addc_co_u32_e32 v6, vcc, 0, v6, vcc
	v_lshlrev_b32_e32 v6, 2, v6
	ds_bpermute_b32 v9, v6, v7
	v_cmp_eq_u32_e32 vcc, 0, v8
	s_and_saveexec_b64 s[4:5], vcc
	s_cbranch_execz .LBB156_6
; %bb.5:
	s_waitcnt lgkmcnt(0)
	v_add_f32_e32 v7, v7, v9
	v_lshrrev_b32_e32 v9, 4, v0
	ds_write_b32 v9, v7
.LBB156_6:
	s_or_b64 exec, exec, s[4:5]
	s_waitcnt lgkmcnt(0)
	s_barrier
	s_load_dword s3, s[0:1], 0xc9c
	v_mov_b32_e32 v7, 0
	s_waitcnt lgkmcnt(0)
	s_bfe_u32 s3, s3, 0xa0006
	v_cmp_gt_u32_e32 vcc, s3, v0
	s_and_saveexec_b64 s[4:5], vcc
; %bb.7:
	v_lshlrev_b32_e32 v7, 2, v8
	ds_read_b32 v7, v7
; %bb.8:
	s_or_b64 exec, exec, s[4:5]
	v_cmp_gt_u32_e32 vcc, 64, v0
	s_and_saveexec_b64 s[4:5], vcc
	s_cbranch_execz .LBB156_10
; %bb.9:
	s_waitcnt lgkmcnt(0)
	ds_bpermute_b32 v2, v2, v7
	s_waitcnt lgkmcnt(0)
	v_add_f32_e32 v2, v7, v2
	ds_bpermute_b32 v1, v1, v2
	s_waitcnt lgkmcnt(0)
	v_add_f32_e32 v1, v2, v1
	;; [unrolled: 3-line block ×6, first 2 shown]
.LBB156_10:
	s_or_b64 exec, exec, s[4:5]
	s_mov_b32 s3, 0
	v_cmp_eq_u32_e32 vcc, 0, v0
	s_and_saveexec_b64 s[4:5], vcc
	s_cbranch_execz .LBB156_12
; %bb.11:
	s_lshl_b64 s[2:3], s[2:3], 3
	s_add_u32 s0, s0, s2
	s_addc_u32 s1, s1, s3
	s_load_dwordx2 s[0:1], s[0:1], 0x8
	s_waitcnt lgkmcnt(0)
	v_cvt_f16_f32_e32 v0, v7
	v_mov_b32_e32 v1, 0
	global_store_short v1, v0, s[0:1]
.LBB156_12:
	s_endpgm
	.section	.rodata,"a",@progbits
	.p2align	6, 0x0
	.amdhsa_kernel _ZN2at6native14lpnorm_cleanupIdLNS0_8NormTypeE2EN3c104HalfELb0EfEEvPKT3_NS0_19TensorListAddressesEi
		.amdhsa_group_segment_fixed_size 2048
		.amdhsa_private_segment_fixed_size 0
		.amdhsa_kernarg_size 3472
		.amdhsa_user_sgpr_count 2
		.amdhsa_user_sgpr_dispatch_ptr 0
		.amdhsa_user_sgpr_queue_ptr 0
		.amdhsa_user_sgpr_kernarg_segment_ptr 1
		.amdhsa_user_sgpr_dispatch_id 0
		.amdhsa_user_sgpr_kernarg_preload_length 0
		.amdhsa_user_sgpr_kernarg_preload_offset 0
		.amdhsa_user_sgpr_private_segment_size 0
		.amdhsa_uses_dynamic_stack 0
		.amdhsa_enable_private_segment 0
		.amdhsa_system_sgpr_workgroup_id_x 1
		.amdhsa_system_sgpr_workgroup_id_y 0
		.amdhsa_system_sgpr_workgroup_id_z 0
		.amdhsa_system_sgpr_workgroup_info 0
		.amdhsa_system_vgpr_workitem_id 0
		.amdhsa_next_free_vgpr 11
		.amdhsa_next_free_sgpr 16
		.amdhsa_accum_offset 12
		.amdhsa_reserve_vcc 1
		.amdhsa_float_round_mode_32 0
		.amdhsa_float_round_mode_16_64 0
		.amdhsa_float_denorm_mode_32 3
		.amdhsa_float_denorm_mode_16_64 3
		.amdhsa_dx10_clamp 1
		.amdhsa_ieee_mode 1
		.amdhsa_fp16_overflow 0
		.amdhsa_tg_split 0
		.amdhsa_exception_fp_ieee_invalid_op 0
		.amdhsa_exception_fp_denorm_src 0
		.amdhsa_exception_fp_ieee_div_zero 0
		.amdhsa_exception_fp_ieee_overflow 0
		.amdhsa_exception_fp_ieee_underflow 0
		.amdhsa_exception_fp_ieee_inexact 0
		.amdhsa_exception_int_div_zero 0
	.end_amdhsa_kernel
	.section	.text._ZN2at6native14lpnorm_cleanupIdLNS0_8NormTypeE2EN3c104HalfELb0EfEEvPKT3_NS0_19TensorListAddressesEi,"axG",@progbits,_ZN2at6native14lpnorm_cleanupIdLNS0_8NormTypeE2EN3c104HalfELb0EfEEvPKT3_NS0_19TensorListAddressesEi,comdat
.Lfunc_end156:
	.size	_ZN2at6native14lpnorm_cleanupIdLNS0_8NormTypeE2EN3c104HalfELb0EfEEvPKT3_NS0_19TensorListAddressesEi, .Lfunc_end156-_ZN2at6native14lpnorm_cleanupIdLNS0_8NormTypeE2EN3c104HalfELb0EfEEvPKT3_NS0_19TensorListAddressesEi
                                        ; -- End function
	.set _ZN2at6native14lpnorm_cleanupIdLNS0_8NormTypeE2EN3c104HalfELb0EfEEvPKT3_NS0_19TensorListAddressesEi.num_vgpr, 11
	.set _ZN2at6native14lpnorm_cleanupIdLNS0_8NormTypeE2EN3c104HalfELb0EfEEvPKT3_NS0_19TensorListAddressesEi.num_agpr, 0
	.set _ZN2at6native14lpnorm_cleanupIdLNS0_8NormTypeE2EN3c104HalfELb0EfEEvPKT3_NS0_19TensorListAddressesEi.numbered_sgpr, 16
	.set _ZN2at6native14lpnorm_cleanupIdLNS0_8NormTypeE2EN3c104HalfELb0EfEEvPKT3_NS0_19TensorListAddressesEi.num_named_barrier, 0
	.set _ZN2at6native14lpnorm_cleanupIdLNS0_8NormTypeE2EN3c104HalfELb0EfEEvPKT3_NS0_19TensorListAddressesEi.private_seg_size, 0
	.set _ZN2at6native14lpnorm_cleanupIdLNS0_8NormTypeE2EN3c104HalfELb0EfEEvPKT3_NS0_19TensorListAddressesEi.uses_vcc, 1
	.set _ZN2at6native14lpnorm_cleanupIdLNS0_8NormTypeE2EN3c104HalfELb0EfEEvPKT3_NS0_19TensorListAddressesEi.uses_flat_scratch, 0
	.set _ZN2at6native14lpnorm_cleanupIdLNS0_8NormTypeE2EN3c104HalfELb0EfEEvPKT3_NS0_19TensorListAddressesEi.has_dyn_sized_stack, 0
	.set _ZN2at6native14lpnorm_cleanupIdLNS0_8NormTypeE2EN3c104HalfELb0EfEEvPKT3_NS0_19TensorListAddressesEi.has_recursion, 0
	.set _ZN2at6native14lpnorm_cleanupIdLNS0_8NormTypeE2EN3c104HalfELb0EfEEvPKT3_NS0_19TensorListAddressesEi.has_indirect_call, 0
	.section	.AMDGPU.csdata,"",@progbits
; Kernel info:
; codeLenInByte = 664
; TotalNumSgprs: 22
; NumVgprs: 11
; NumAgprs: 0
; TotalNumVgprs: 11
; ScratchSize: 0
; MemoryBound: 0
; FloatMode: 240
; IeeeMode: 1
; LDSByteSize: 2048 bytes/workgroup (compile time only)
; SGPRBlocks: 2
; VGPRBlocks: 1
; NumSGPRsForWavesPerEU: 22
; NumVGPRsForWavesPerEU: 11
; AccumOffset: 12
; Occupancy: 8
; WaveLimiterHint : 0
; COMPUTE_PGM_RSRC2:SCRATCH_EN: 0
; COMPUTE_PGM_RSRC2:USER_SGPR: 2
; COMPUTE_PGM_RSRC2:TRAP_HANDLER: 0
; COMPUTE_PGM_RSRC2:TGID_X_EN: 1
; COMPUTE_PGM_RSRC2:TGID_Y_EN: 0
; COMPUTE_PGM_RSRC2:TGID_Z_EN: 0
; COMPUTE_PGM_RSRC2:TIDIG_COMP_CNT: 0
; COMPUTE_PGM_RSRC3_GFX90A:ACCUM_OFFSET: 2
; COMPUTE_PGM_RSRC3_GFX90A:TG_SPLIT: 0
	.section	.text._ZN2at6native14lpnorm_cleanupIdLNS0_8NormTypeE0EN3c108BFloat16ELb0EfEEvPKT3_NS0_19TensorListAddressesEi,"axG",@progbits,_ZN2at6native14lpnorm_cleanupIdLNS0_8NormTypeE0EN3c108BFloat16ELb0EfEEvPKT3_NS0_19TensorListAddressesEi,comdat
	.protected	_ZN2at6native14lpnorm_cleanupIdLNS0_8NormTypeE0EN3c108BFloat16ELb0EfEEvPKT3_NS0_19TensorListAddressesEi ; -- Begin function _ZN2at6native14lpnorm_cleanupIdLNS0_8NormTypeE0EN3c108BFloat16ELb0EfEEvPKT3_NS0_19TensorListAddressesEi
	.globl	_ZN2at6native14lpnorm_cleanupIdLNS0_8NormTypeE0EN3c108BFloat16ELb0EfEEvPKT3_NS0_19TensorListAddressesEi
	.p2align	8
	.type	_ZN2at6native14lpnorm_cleanupIdLNS0_8NormTypeE0EN3c108BFloat16ELb0EfEEvPKT3_NS0_19TensorListAddressesEi,@function
_ZN2at6native14lpnorm_cleanupIdLNS0_8NormTypeE0EN3c108BFloat16ELb0EfEEvPKT3_NS0_19TensorListAddressesEi: ; @_ZN2at6native14lpnorm_cleanupIdLNS0_8NormTypeE0EN3c108BFloat16ELb0EfEEvPKT3_NS0_19TensorListAddressesEi
; %bb.0:
	s_load_dword s6, s[0:1], 0xc88
	v_mov_b32_e32 v1, 0
	s_waitcnt lgkmcnt(0)
	v_cmp_gt_u32_e32 vcc, s6, v0
	s_and_saveexec_b64 s[4:5], vcc
	s_cbranch_execz .LBB157_4
; %bb.1:
	s_load_dwordx2 s[12:13], s[0:1], 0x0
	s_load_dword s3, s[0:1], 0xc9c
	s_mul_i32 s8, s6, s2
	s_mov_b32 s9, 0
	s_ashr_i32 s7, s6, 31
	s_lshl_b64 s[14:15], s[8:9], 2
	s_waitcnt lgkmcnt(0)
	s_and_b32 s10, s3, 0xffff
	v_mov_b32_e32 v1, 0
	s_add_u32 s12, s12, s14
	v_lshlrev_b32_e32 v2, 2, v0
	v_mov_b32_e32 v3, v1
	s_addc_u32 s13, s13, s15
	s_mov_b32 s11, s9
	v_lshl_add_u64 v[2:3], s[12:13], 0, v[2:3]
	s_lshl_b32 s8, s10, 2
	s_mov_b64 s[12:13], 0
	v_mov_b64_e32 v[4:5], v[0:1]
.LBB157_2:                              ; =>This Inner Loop Header: Depth=1
	global_load_dword v6, v[2:3], off
	v_lshl_add_u64 v[4:5], v[4:5], 0, s[10:11]
	v_cmp_le_u64_e32 vcc, s[6:7], v[4:5]
	v_lshl_add_u64 v[2:3], v[2:3], 0, s[8:9]
	s_or_b64 s[12:13], vcc, s[12:13]
	s_waitcnt vmcnt(0)
	v_add_f32_e32 v1, v1, v6
	s_andn2_b64 exec, exec, s[12:13]
	s_cbranch_execnz .LBB157_2
; %bb.3:
	s_or_b64 exec, exec, s[12:13]
.LBB157_4:
	s_or_b64 exec, exec, s[4:5]
	v_mbcnt_lo_u32_b32 v2, -1, 0
	v_mbcnt_hi_u32_b32 v6, -1, v2
	v_mov_b32_e32 v2, 0x80
	v_lshl_or_b32 v2, v6, 2, v2
	ds_bpermute_b32 v3, v2, v1
	v_and_b32_e32 v7, 63, v6
	v_cmp_gt_u32_e32 vcc, 48, v7
	s_waitcnt lgkmcnt(0)
	s_barrier
	v_cndmask_b32_e64 v4, 0, 16, vcc
	v_add_f32_e32 v5, v1, v3
	v_add_lshl_u32 v1, v4, v6, 2
	ds_bpermute_b32 v4, v1, v5
	v_cmp_gt_u32_e32 vcc, 56, v7
	s_waitcnt lgkmcnt(0)
	v_add_f32_e32 v5, v5, v4
	v_cndmask_b32_e64 v3, 0, 8, vcc
	v_add_lshl_u32 v3, v3, v6, 2
	ds_bpermute_b32 v8, v3, v5
	v_cmp_gt_u32_e32 vcc, 60, v7
	s_waitcnt lgkmcnt(0)
	v_add_f32_e32 v8, v5, v8
	v_cndmask_b32_e64 v4, 0, 4, vcc
	;; [unrolled: 6-line block ×3, first 2 shown]
	v_add_lshl_u32 v5, v5, v6, 2
	ds_bpermute_b32 v10, v5, v9
	v_cmp_ne_u32_e32 vcc, 63, v7
	v_and_b32_e32 v8, 63, v0
	s_waitcnt lgkmcnt(0)
	v_add_f32_e32 v7, v9, v10
	v_addc_co_u32_e32 v6, vcc, 0, v6, vcc
	v_lshlrev_b32_e32 v6, 2, v6
	ds_bpermute_b32 v9, v6, v7
	v_cmp_eq_u32_e32 vcc, 0, v8
	s_and_saveexec_b64 s[4:5], vcc
	s_cbranch_execz .LBB157_6
; %bb.5:
	s_waitcnt lgkmcnt(0)
	v_add_f32_e32 v7, v7, v9
	v_lshrrev_b32_e32 v9, 4, v0
	ds_write_b32 v9, v7
.LBB157_6:
	s_or_b64 exec, exec, s[4:5]
	s_waitcnt lgkmcnt(0)
	s_barrier
	s_load_dword s3, s[0:1], 0xc9c
	v_mov_b32_e32 v7, 0
	s_waitcnt lgkmcnt(0)
	s_bfe_u32 s3, s3, 0xa0006
	v_cmp_gt_u32_e32 vcc, s3, v0
	s_and_saveexec_b64 s[4:5], vcc
; %bb.7:
	v_lshlrev_b32_e32 v7, 2, v8
	ds_read_b32 v7, v7
; %bb.8:
	s_or_b64 exec, exec, s[4:5]
	v_cmp_gt_u32_e32 vcc, 64, v0
	s_and_saveexec_b64 s[4:5], vcc
	s_cbranch_execz .LBB157_10
; %bb.9:
	s_waitcnt lgkmcnt(0)
	ds_bpermute_b32 v2, v2, v7
	s_waitcnt lgkmcnt(0)
	v_add_f32_e32 v2, v7, v2
	ds_bpermute_b32 v1, v1, v2
	s_waitcnt lgkmcnt(0)
	v_add_f32_e32 v1, v2, v1
	ds_bpermute_b32 v2, v3, v1
	s_waitcnt lgkmcnt(0)
	v_add_f32_e32 v1, v1, v2
	ds_bpermute_b32 v2, v4, v1
	s_waitcnt lgkmcnt(0)
	v_add_f32_e32 v1, v1, v2
	ds_bpermute_b32 v2, v5, v1
	s_waitcnt lgkmcnt(0)
	v_add_f32_e32 v1, v1, v2
	ds_bpermute_b32 v2, v6, v1
	s_waitcnt lgkmcnt(0)
	v_add_f32_e32 v7, v1, v2
.LBB157_10:
	s_or_b64 exec, exec, s[4:5]
	s_mov_b32 s3, 0
	v_cmp_eq_u32_e32 vcc, 0, v0
	s_and_saveexec_b64 s[4:5], vcc
	s_cbranch_execz .LBB157_12
; %bb.11:
	s_lshl_b64 s[2:3], s[2:3], 3
	s_add_u32 s0, s0, s2
	s_addc_u32 s1, s1, s3
	s_load_dwordx2 s[0:1], s[0:1], 0x8
	s_waitcnt lgkmcnt(0)
	v_bfe_u32 v0, v7, 16, 1
	s_movk_i32 s4, 0x7fff
	v_add3_u32 v0, v7, v0, s4
	v_cmp_o_f32_e32 vcc, v7, v7
	v_mov_b32_e32 v1, 0x7fc0
	s_nop 0
	v_cndmask_b32_sdwa v0, v1, v0, vcc dst_sel:DWORD dst_unused:UNUSED_PAD src0_sel:DWORD src1_sel:WORD_1
	v_mov_b32_e32 v1, 0
	global_store_short v1, v0, s[0:1]
.LBB157_12:
	s_endpgm
	.section	.rodata,"a",@progbits
	.p2align	6, 0x0
	.amdhsa_kernel _ZN2at6native14lpnorm_cleanupIdLNS0_8NormTypeE0EN3c108BFloat16ELb0EfEEvPKT3_NS0_19TensorListAddressesEi
		.amdhsa_group_segment_fixed_size 2048
		.amdhsa_private_segment_fixed_size 0
		.amdhsa_kernarg_size 3472
		.amdhsa_user_sgpr_count 2
		.amdhsa_user_sgpr_dispatch_ptr 0
		.amdhsa_user_sgpr_queue_ptr 0
		.amdhsa_user_sgpr_kernarg_segment_ptr 1
		.amdhsa_user_sgpr_dispatch_id 0
		.amdhsa_user_sgpr_kernarg_preload_length 0
		.amdhsa_user_sgpr_kernarg_preload_offset 0
		.amdhsa_user_sgpr_private_segment_size 0
		.amdhsa_uses_dynamic_stack 0
		.amdhsa_enable_private_segment 0
		.amdhsa_system_sgpr_workgroup_id_x 1
		.amdhsa_system_sgpr_workgroup_id_y 0
		.amdhsa_system_sgpr_workgroup_id_z 0
		.amdhsa_system_sgpr_workgroup_info 0
		.amdhsa_system_vgpr_workitem_id 0
		.amdhsa_next_free_vgpr 11
		.amdhsa_next_free_sgpr 16
		.amdhsa_accum_offset 12
		.amdhsa_reserve_vcc 1
		.amdhsa_float_round_mode_32 0
		.amdhsa_float_round_mode_16_64 0
		.amdhsa_float_denorm_mode_32 3
		.amdhsa_float_denorm_mode_16_64 3
		.amdhsa_dx10_clamp 1
		.amdhsa_ieee_mode 1
		.amdhsa_fp16_overflow 0
		.amdhsa_tg_split 0
		.amdhsa_exception_fp_ieee_invalid_op 0
		.amdhsa_exception_fp_denorm_src 0
		.amdhsa_exception_fp_ieee_div_zero 0
		.amdhsa_exception_fp_ieee_overflow 0
		.amdhsa_exception_fp_ieee_underflow 0
		.amdhsa_exception_fp_ieee_inexact 0
		.amdhsa_exception_int_div_zero 0
	.end_amdhsa_kernel
	.section	.text._ZN2at6native14lpnorm_cleanupIdLNS0_8NormTypeE0EN3c108BFloat16ELb0EfEEvPKT3_NS0_19TensorListAddressesEi,"axG",@progbits,_ZN2at6native14lpnorm_cleanupIdLNS0_8NormTypeE0EN3c108BFloat16ELb0EfEEvPKT3_NS0_19TensorListAddressesEi,comdat
.Lfunc_end157:
	.size	_ZN2at6native14lpnorm_cleanupIdLNS0_8NormTypeE0EN3c108BFloat16ELb0EfEEvPKT3_NS0_19TensorListAddressesEi, .Lfunc_end157-_ZN2at6native14lpnorm_cleanupIdLNS0_8NormTypeE0EN3c108BFloat16ELb0EfEEvPKT3_NS0_19TensorListAddressesEi
                                        ; -- End function
	.set _ZN2at6native14lpnorm_cleanupIdLNS0_8NormTypeE0EN3c108BFloat16ELb0EfEEvPKT3_NS0_19TensorListAddressesEi.num_vgpr, 11
	.set _ZN2at6native14lpnorm_cleanupIdLNS0_8NormTypeE0EN3c108BFloat16ELb0EfEEvPKT3_NS0_19TensorListAddressesEi.num_agpr, 0
	.set _ZN2at6native14lpnorm_cleanupIdLNS0_8NormTypeE0EN3c108BFloat16ELb0EfEEvPKT3_NS0_19TensorListAddressesEi.numbered_sgpr, 16
	.set _ZN2at6native14lpnorm_cleanupIdLNS0_8NormTypeE0EN3c108BFloat16ELb0EfEEvPKT3_NS0_19TensorListAddressesEi.num_named_barrier, 0
	.set _ZN2at6native14lpnorm_cleanupIdLNS0_8NormTypeE0EN3c108BFloat16ELb0EfEEvPKT3_NS0_19TensorListAddressesEi.private_seg_size, 0
	.set _ZN2at6native14lpnorm_cleanupIdLNS0_8NormTypeE0EN3c108BFloat16ELb0EfEEvPKT3_NS0_19TensorListAddressesEi.uses_vcc, 1
	.set _ZN2at6native14lpnorm_cleanupIdLNS0_8NormTypeE0EN3c108BFloat16ELb0EfEEvPKT3_NS0_19TensorListAddressesEi.uses_flat_scratch, 0
	.set _ZN2at6native14lpnorm_cleanupIdLNS0_8NormTypeE0EN3c108BFloat16ELb0EfEEvPKT3_NS0_19TensorListAddressesEi.has_dyn_sized_stack, 0
	.set _ZN2at6native14lpnorm_cleanupIdLNS0_8NormTypeE0EN3c108BFloat16ELb0EfEEvPKT3_NS0_19TensorListAddressesEi.has_recursion, 0
	.set _ZN2at6native14lpnorm_cleanupIdLNS0_8NormTypeE0EN3c108BFloat16ELb0EfEEvPKT3_NS0_19TensorListAddressesEi.has_indirect_call, 0
	.section	.AMDGPU.csdata,"",@progbits
; Kernel info:
; codeLenInByte = 704
; TotalNumSgprs: 22
; NumVgprs: 11
; NumAgprs: 0
; TotalNumVgprs: 11
; ScratchSize: 0
; MemoryBound: 0
; FloatMode: 240
; IeeeMode: 1
; LDSByteSize: 2048 bytes/workgroup (compile time only)
; SGPRBlocks: 2
; VGPRBlocks: 1
; NumSGPRsForWavesPerEU: 22
; NumVGPRsForWavesPerEU: 11
; AccumOffset: 12
; Occupancy: 8
; WaveLimiterHint : 0
; COMPUTE_PGM_RSRC2:SCRATCH_EN: 0
; COMPUTE_PGM_RSRC2:USER_SGPR: 2
; COMPUTE_PGM_RSRC2:TRAP_HANDLER: 0
; COMPUTE_PGM_RSRC2:TGID_X_EN: 1
; COMPUTE_PGM_RSRC2:TGID_Y_EN: 0
; COMPUTE_PGM_RSRC2:TGID_Z_EN: 0
; COMPUTE_PGM_RSRC2:TIDIG_COMP_CNT: 0
; COMPUTE_PGM_RSRC3_GFX90A:ACCUM_OFFSET: 2
; COMPUTE_PGM_RSRC3_GFX90A:TG_SPLIT: 0
	.section	.text._ZN2at6native14lpnorm_cleanupIdLNS0_8NormTypeE1EN3c108BFloat16ELb0EfEEvPKT3_NS0_19TensorListAddressesEi,"axG",@progbits,_ZN2at6native14lpnorm_cleanupIdLNS0_8NormTypeE1EN3c108BFloat16ELb0EfEEvPKT3_NS0_19TensorListAddressesEi,comdat
	.protected	_ZN2at6native14lpnorm_cleanupIdLNS0_8NormTypeE1EN3c108BFloat16ELb0EfEEvPKT3_NS0_19TensorListAddressesEi ; -- Begin function _ZN2at6native14lpnorm_cleanupIdLNS0_8NormTypeE1EN3c108BFloat16ELb0EfEEvPKT3_NS0_19TensorListAddressesEi
	.globl	_ZN2at6native14lpnorm_cleanupIdLNS0_8NormTypeE1EN3c108BFloat16ELb0EfEEvPKT3_NS0_19TensorListAddressesEi
	.p2align	8
	.type	_ZN2at6native14lpnorm_cleanupIdLNS0_8NormTypeE1EN3c108BFloat16ELb0EfEEvPKT3_NS0_19TensorListAddressesEi,@function
_ZN2at6native14lpnorm_cleanupIdLNS0_8NormTypeE1EN3c108BFloat16ELb0EfEEvPKT3_NS0_19TensorListAddressesEi: ; @_ZN2at6native14lpnorm_cleanupIdLNS0_8NormTypeE1EN3c108BFloat16ELb0EfEEvPKT3_NS0_19TensorListAddressesEi
; %bb.0:
	s_load_dword s6, s[0:1], 0xc88
	v_mov_b32_e32 v1, 0
	s_waitcnt lgkmcnt(0)
	v_cmp_gt_u32_e32 vcc, s6, v0
	s_and_saveexec_b64 s[4:5], vcc
	s_cbranch_execz .LBB158_4
; %bb.1:
	s_load_dwordx2 s[12:13], s[0:1], 0x0
	s_load_dword s3, s[0:1], 0xc9c
	s_mul_i32 s8, s6, s2
	s_mov_b32 s9, 0
	s_ashr_i32 s7, s6, 31
	s_lshl_b64 s[14:15], s[8:9], 2
	s_waitcnt lgkmcnt(0)
	s_and_b32 s10, s3, 0xffff
	v_mov_b32_e32 v1, 0
	s_add_u32 s12, s12, s14
	v_lshlrev_b32_e32 v2, 2, v0
	v_mov_b32_e32 v3, v1
	s_addc_u32 s13, s13, s15
	s_mov_b32 s11, s9
	v_lshl_add_u64 v[2:3], s[12:13], 0, v[2:3]
	s_lshl_b32 s8, s10, 2
	s_mov_b64 s[12:13], 0
	v_mov_b64_e32 v[4:5], v[0:1]
.LBB158_2:                              ; =>This Inner Loop Header: Depth=1
	global_load_dword v6, v[2:3], off
	v_lshl_add_u64 v[4:5], v[4:5], 0, s[10:11]
	v_cmp_le_u64_e32 vcc, s[6:7], v[4:5]
	v_lshl_add_u64 v[2:3], v[2:3], 0, s[8:9]
	s_or_b64 s[12:13], vcc, s[12:13]
	s_waitcnt vmcnt(0)
	v_add_f32_e32 v1, v1, v6
	s_andn2_b64 exec, exec, s[12:13]
	s_cbranch_execnz .LBB158_2
; %bb.3:
	s_or_b64 exec, exec, s[12:13]
.LBB158_4:
	s_or_b64 exec, exec, s[4:5]
	v_mbcnt_lo_u32_b32 v2, -1, 0
	v_mbcnt_hi_u32_b32 v6, -1, v2
	v_mov_b32_e32 v2, 0x80
	v_lshl_or_b32 v2, v6, 2, v2
	ds_bpermute_b32 v3, v2, v1
	v_and_b32_e32 v7, 63, v6
	v_cmp_gt_u32_e32 vcc, 48, v7
	s_waitcnt lgkmcnt(0)
	s_barrier
	v_cndmask_b32_e64 v4, 0, 16, vcc
	v_add_f32_e32 v5, v1, v3
	v_add_lshl_u32 v1, v4, v6, 2
	ds_bpermute_b32 v4, v1, v5
	v_cmp_gt_u32_e32 vcc, 56, v7
	s_waitcnt lgkmcnt(0)
	v_add_f32_e32 v5, v5, v4
	v_cndmask_b32_e64 v3, 0, 8, vcc
	v_add_lshl_u32 v3, v3, v6, 2
	ds_bpermute_b32 v8, v3, v5
	v_cmp_gt_u32_e32 vcc, 60, v7
	s_waitcnt lgkmcnt(0)
	v_add_f32_e32 v8, v5, v8
	v_cndmask_b32_e64 v4, 0, 4, vcc
	;; [unrolled: 6-line block ×3, first 2 shown]
	v_add_lshl_u32 v5, v5, v6, 2
	ds_bpermute_b32 v10, v5, v9
	v_cmp_ne_u32_e32 vcc, 63, v7
	v_and_b32_e32 v8, 63, v0
	s_waitcnt lgkmcnt(0)
	v_add_f32_e32 v7, v9, v10
	v_addc_co_u32_e32 v6, vcc, 0, v6, vcc
	v_lshlrev_b32_e32 v6, 2, v6
	ds_bpermute_b32 v9, v6, v7
	v_cmp_eq_u32_e32 vcc, 0, v8
	s_and_saveexec_b64 s[4:5], vcc
	s_cbranch_execz .LBB158_6
; %bb.5:
	s_waitcnt lgkmcnt(0)
	v_add_f32_e32 v7, v7, v9
	v_lshrrev_b32_e32 v9, 4, v0
	ds_write_b32 v9, v7
.LBB158_6:
	s_or_b64 exec, exec, s[4:5]
	s_waitcnt lgkmcnt(0)
	s_barrier
	s_load_dword s3, s[0:1], 0xc9c
	v_mov_b32_e32 v7, 0
	s_waitcnt lgkmcnt(0)
	s_bfe_u32 s3, s3, 0xa0006
	v_cmp_gt_u32_e32 vcc, s3, v0
	s_and_saveexec_b64 s[4:5], vcc
; %bb.7:
	v_lshlrev_b32_e32 v7, 2, v8
	ds_read_b32 v7, v7
; %bb.8:
	s_or_b64 exec, exec, s[4:5]
	v_cmp_gt_u32_e32 vcc, 64, v0
	s_and_saveexec_b64 s[4:5], vcc
	s_cbranch_execz .LBB158_10
; %bb.9:
	s_waitcnt lgkmcnt(0)
	ds_bpermute_b32 v2, v2, v7
	s_waitcnt lgkmcnt(0)
	v_add_f32_e32 v2, v7, v2
	ds_bpermute_b32 v1, v1, v2
	s_waitcnt lgkmcnt(0)
	v_add_f32_e32 v1, v2, v1
	;; [unrolled: 3-line block ×6, first 2 shown]
.LBB158_10:
	s_or_b64 exec, exec, s[4:5]
	s_mov_b32 s3, 0
	v_cmp_eq_u32_e32 vcc, 0, v0
	s_and_saveexec_b64 s[4:5], vcc
	s_cbranch_execz .LBB158_12
; %bb.11:
	s_lshl_b64 s[2:3], s[2:3], 3
	s_add_u32 s0, s0, s2
	s_addc_u32 s1, s1, s3
	s_load_dwordx2 s[0:1], s[0:1], 0x8
	s_waitcnt lgkmcnt(0)
	v_bfe_u32 v0, v7, 16, 1
	s_movk_i32 s4, 0x7fff
	v_add3_u32 v0, v7, v0, s4
	v_cmp_o_f32_e32 vcc, v7, v7
	v_mov_b32_e32 v1, 0x7fc0
	s_nop 0
	v_cndmask_b32_sdwa v0, v1, v0, vcc dst_sel:DWORD dst_unused:UNUSED_PAD src0_sel:DWORD src1_sel:WORD_1
	v_mov_b32_e32 v1, 0
	global_store_short v1, v0, s[0:1]
.LBB158_12:
	s_endpgm
	.section	.rodata,"a",@progbits
	.p2align	6, 0x0
	.amdhsa_kernel _ZN2at6native14lpnorm_cleanupIdLNS0_8NormTypeE1EN3c108BFloat16ELb0EfEEvPKT3_NS0_19TensorListAddressesEi
		.amdhsa_group_segment_fixed_size 2048
		.amdhsa_private_segment_fixed_size 0
		.amdhsa_kernarg_size 3472
		.amdhsa_user_sgpr_count 2
		.amdhsa_user_sgpr_dispatch_ptr 0
		.amdhsa_user_sgpr_queue_ptr 0
		.amdhsa_user_sgpr_kernarg_segment_ptr 1
		.amdhsa_user_sgpr_dispatch_id 0
		.amdhsa_user_sgpr_kernarg_preload_length 0
		.amdhsa_user_sgpr_kernarg_preload_offset 0
		.amdhsa_user_sgpr_private_segment_size 0
		.amdhsa_uses_dynamic_stack 0
		.amdhsa_enable_private_segment 0
		.amdhsa_system_sgpr_workgroup_id_x 1
		.amdhsa_system_sgpr_workgroup_id_y 0
		.amdhsa_system_sgpr_workgroup_id_z 0
		.amdhsa_system_sgpr_workgroup_info 0
		.amdhsa_system_vgpr_workitem_id 0
		.amdhsa_next_free_vgpr 11
		.amdhsa_next_free_sgpr 16
		.amdhsa_accum_offset 12
		.amdhsa_reserve_vcc 1
		.amdhsa_float_round_mode_32 0
		.amdhsa_float_round_mode_16_64 0
		.amdhsa_float_denorm_mode_32 3
		.amdhsa_float_denorm_mode_16_64 3
		.amdhsa_dx10_clamp 1
		.amdhsa_ieee_mode 1
		.amdhsa_fp16_overflow 0
		.amdhsa_tg_split 0
		.amdhsa_exception_fp_ieee_invalid_op 0
		.amdhsa_exception_fp_denorm_src 0
		.amdhsa_exception_fp_ieee_div_zero 0
		.amdhsa_exception_fp_ieee_overflow 0
		.amdhsa_exception_fp_ieee_underflow 0
		.amdhsa_exception_fp_ieee_inexact 0
		.amdhsa_exception_int_div_zero 0
	.end_amdhsa_kernel
	.section	.text._ZN2at6native14lpnorm_cleanupIdLNS0_8NormTypeE1EN3c108BFloat16ELb0EfEEvPKT3_NS0_19TensorListAddressesEi,"axG",@progbits,_ZN2at6native14lpnorm_cleanupIdLNS0_8NormTypeE1EN3c108BFloat16ELb0EfEEvPKT3_NS0_19TensorListAddressesEi,comdat
.Lfunc_end158:
	.size	_ZN2at6native14lpnorm_cleanupIdLNS0_8NormTypeE1EN3c108BFloat16ELb0EfEEvPKT3_NS0_19TensorListAddressesEi, .Lfunc_end158-_ZN2at6native14lpnorm_cleanupIdLNS0_8NormTypeE1EN3c108BFloat16ELb0EfEEvPKT3_NS0_19TensorListAddressesEi
                                        ; -- End function
	.set _ZN2at6native14lpnorm_cleanupIdLNS0_8NormTypeE1EN3c108BFloat16ELb0EfEEvPKT3_NS0_19TensorListAddressesEi.num_vgpr, 11
	.set _ZN2at6native14lpnorm_cleanupIdLNS0_8NormTypeE1EN3c108BFloat16ELb0EfEEvPKT3_NS0_19TensorListAddressesEi.num_agpr, 0
	.set _ZN2at6native14lpnorm_cleanupIdLNS0_8NormTypeE1EN3c108BFloat16ELb0EfEEvPKT3_NS0_19TensorListAddressesEi.numbered_sgpr, 16
	.set _ZN2at6native14lpnorm_cleanupIdLNS0_8NormTypeE1EN3c108BFloat16ELb0EfEEvPKT3_NS0_19TensorListAddressesEi.num_named_barrier, 0
	.set _ZN2at6native14lpnorm_cleanupIdLNS0_8NormTypeE1EN3c108BFloat16ELb0EfEEvPKT3_NS0_19TensorListAddressesEi.private_seg_size, 0
	.set _ZN2at6native14lpnorm_cleanupIdLNS0_8NormTypeE1EN3c108BFloat16ELb0EfEEvPKT3_NS0_19TensorListAddressesEi.uses_vcc, 1
	.set _ZN2at6native14lpnorm_cleanupIdLNS0_8NormTypeE1EN3c108BFloat16ELb0EfEEvPKT3_NS0_19TensorListAddressesEi.uses_flat_scratch, 0
	.set _ZN2at6native14lpnorm_cleanupIdLNS0_8NormTypeE1EN3c108BFloat16ELb0EfEEvPKT3_NS0_19TensorListAddressesEi.has_dyn_sized_stack, 0
	.set _ZN2at6native14lpnorm_cleanupIdLNS0_8NormTypeE1EN3c108BFloat16ELb0EfEEvPKT3_NS0_19TensorListAddressesEi.has_recursion, 0
	.set _ZN2at6native14lpnorm_cleanupIdLNS0_8NormTypeE1EN3c108BFloat16ELb0EfEEvPKT3_NS0_19TensorListAddressesEi.has_indirect_call, 0
	.section	.AMDGPU.csdata,"",@progbits
; Kernel info:
; codeLenInByte = 704
; TotalNumSgprs: 22
; NumVgprs: 11
; NumAgprs: 0
; TotalNumVgprs: 11
; ScratchSize: 0
; MemoryBound: 0
; FloatMode: 240
; IeeeMode: 1
; LDSByteSize: 2048 bytes/workgroup (compile time only)
; SGPRBlocks: 2
; VGPRBlocks: 1
; NumSGPRsForWavesPerEU: 22
; NumVGPRsForWavesPerEU: 11
; AccumOffset: 12
; Occupancy: 8
; WaveLimiterHint : 0
; COMPUTE_PGM_RSRC2:SCRATCH_EN: 0
; COMPUTE_PGM_RSRC2:USER_SGPR: 2
; COMPUTE_PGM_RSRC2:TRAP_HANDLER: 0
; COMPUTE_PGM_RSRC2:TGID_X_EN: 1
; COMPUTE_PGM_RSRC2:TGID_Y_EN: 0
; COMPUTE_PGM_RSRC2:TGID_Z_EN: 0
; COMPUTE_PGM_RSRC2:TIDIG_COMP_CNT: 0
; COMPUTE_PGM_RSRC3_GFX90A:ACCUM_OFFSET: 2
; COMPUTE_PGM_RSRC3_GFX90A:TG_SPLIT: 0
	.section	.text._ZN2at6native14lpnorm_cleanupIdLNS0_8NormTypeE2EN3c108BFloat16ELb0EfEEvPKT3_NS0_19TensorListAddressesEi,"axG",@progbits,_ZN2at6native14lpnorm_cleanupIdLNS0_8NormTypeE2EN3c108BFloat16ELb0EfEEvPKT3_NS0_19TensorListAddressesEi,comdat
	.protected	_ZN2at6native14lpnorm_cleanupIdLNS0_8NormTypeE2EN3c108BFloat16ELb0EfEEvPKT3_NS0_19TensorListAddressesEi ; -- Begin function _ZN2at6native14lpnorm_cleanupIdLNS0_8NormTypeE2EN3c108BFloat16ELb0EfEEvPKT3_NS0_19TensorListAddressesEi
	.globl	_ZN2at6native14lpnorm_cleanupIdLNS0_8NormTypeE2EN3c108BFloat16ELb0EfEEvPKT3_NS0_19TensorListAddressesEi
	.p2align	8
	.type	_ZN2at6native14lpnorm_cleanupIdLNS0_8NormTypeE2EN3c108BFloat16ELb0EfEEvPKT3_NS0_19TensorListAddressesEi,@function
_ZN2at6native14lpnorm_cleanupIdLNS0_8NormTypeE2EN3c108BFloat16ELb0EfEEvPKT3_NS0_19TensorListAddressesEi: ; @_ZN2at6native14lpnorm_cleanupIdLNS0_8NormTypeE2EN3c108BFloat16ELb0EfEEvPKT3_NS0_19TensorListAddressesEi
; %bb.0:
	s_load_dword s6, s[0:1], 0xc88
	v_mov_b32_e32 v1, 0
	s_waitcnt lgkmcnt(0)
	v_cmp_gt_u32_e32 vcc, s6, v0
	s_and_saveexec_b64 s[4:5], vcc
	s_cbranch_execz .LBB159_4
; %bb.1:
	s_load_dwordx2 s[12:13], s[0:1], 0x0
	s_load_dword s3, s[0:1], 0xc9c
	s_mul_i32 s8, s6, s2
	s_mov_b32 s9, 0
	s_ashr_i32 s7, s6, 31
	s_lshl_b64 s[14:15], s[8:9], 2
	s_waitcnt lgkmcnt(0)
	s_and_b32 s10, s3, 0xffff
	v_mov_b32_e32 v1, 0
	s_add_u32 s12, s12, s14
	v_lshlrev_b32_e32 v2, 2, v0
	v_mov_b32_e32 v3, v1
	s_addc_u32 s13, s13, s15
	s_mov_b32 s11, s9
	v_lshl_add_u64 v[2:3], s[12:13], 0, v[2:3]
	s_lshl_b32 s8, s10, 2
	s_mov_b64 s[12:13], 0
	v_mov_b64_e32 v[4:5], v[0:1]
.LBB159_2:                              ; =>This Inner Loop Header: Depth=1
	global_load_dword v6, v[2:3], off
	v_lshl_add_u64 v[4:5], v[4:5], 0, s[10:11]
	v_cmp_le_u64_e32 vcc, s[6:7], v[4:5]
	v_lshl_add_u64 v[2:3], v[2:3], 0, s[8:9]
	s_or_b64 s[12:13], vcc, s[12:13]
	s_waitcnt vmcnt(0)
	v_add_f32_e32 v1, v1, v6
	s_andn2_b64 exec, exec, s[12:13]
	s_cbranch_execnz .LBB159_2
; %bb.3:
	s_or_b64 exec, exec, s[12:13]
.LBB159_4:
	s_or_b64 exec, exec, s[4:5]
	v_mbcnt_lo_u32_b32 v2, -1, 0
	v_mbcnt_hi_u32_b32 v6, -1, v2
	v_mov_b32_e32 v2, 0x80
	v_lshl_or_b32 v2, v6, 2, v2
	ds_bpermute_b32 v3, v2, v1
	v_and_b32_e32 v7, 63, v6
	v_cmp_gt_u32_e32 vcc, 48, v7
	s_waitcnt lgkmcnt(0)
	s_barrier
	v_cndmask_b32_e64 v4, 0, 16, vcc
	v_add_f32_e32 v5, v1, v3
	v_add_lshl_u32 v1, v4, v6, 2
	ds_bpermute_b32 v4, v1, v5
	v_cmp_gt_u32_e32 vcc, 56, v7
	s_waitcnt lgkmcnt(0)
	v_add_f32_e32 v5, v5, v4
	v_cndmask_b32_e64 v3, 0, 8, vcc
	v_add_lshl_u32 v3, v3, v6, 2
	ds_bpermute_b32 v8, v3, v5
	v_cmp_gt_u32_e32 vcc, 60, v7
	s_waitcnt lgkmcnt(0)
	v_add_f32_e32 v8, v5, v8
	v_cndmask_b32_e64 v4, 0, 4, vcc
	;; [unrolled: 6-line block ×3, first 2 shown]
	v_add_lshl_u32 v5, v5, v6, 2
	ds_bpermute_b32 v10, v5, v9
	v_cmp_ne_u32_e32 vcc, 63, v7
	v_and_b32_e32 v8, 63, v0
	s_waitcnt lgkmcnt(0)
	v_add_f32_e32 v7, v9, v10
	v_addc_co_u32_e32 v6, vcc, 0, v6, vcc
	v_lshlrev_b32_e32 v6, 2, v6
	ds_bpermute_b32 v9, v6, v7
	v_cmp_eq_u32_e32 vcc, 0, v8
	s_and_saveexec_b64 s[4:5], vcc
	s_cbranch_execz .LBB159_6
; %bb.5:
	s_waitcnt lgkmcnt(0)
	v_add_f32_e32 v7, v7, v9
	v_lshrrev_b32_e32 v9, 4, v0
	ds_write_b32 v9, v7
.LBB159_6:
	s_or_b64 exec, exec, s[4:5]
	s_waitcnt lgkmcnt(0)
	s_barrier
	s_load_dword s3, s[0:1], 0xc9c
	v_mov_b32_e32 v7, 0
	s_waitcnt lgkmcnt(0)
	s_bfe_u32 s3, s3, 0xa0006
	v_cmp_gt_u32_e32 vcc, s3, v0
	s_and_saveexec_b64 s[4:5], vcc
; %bb.7:
	v_lshlrev_b32_e32 v7, 2, v8
	ds_read_b32 v7, v7
; %bb.8:
	s_or_b64 exec, exec, s[4:5]
	v_cmp_gt_u32_e32 vcc, 64, v0
	s_and_saveexec_b64 s[4:5], vcc
	s_cbranch_execz .LBB159_10
; %bb.9:
	s_waitcnt lgkmcnt(0)
	ds_bpermute_b32 v2, v2, v7
	s_waitcnt lgkmcnt(0)
	v_add_f32_e32 v2, v7, v2
	ds_bpermute_b32 v1, v1, v2
	s_waitcnt lgkmcnt(0)
	v_add_f32_e32 v1, v2, v1
	;; [unrolled: 3-line block ×6, first 2 shown]
.LBB159_10:
	s_or_b64 exec, exec, s[4:5]
	s_mov_b32 s3, 0
	v_cmp_eq_u32_e32 vcc, 0, v0
	s_and_saveexec_b64 s[4:5], vcc
	s_cbranch_execz .LBB159_12
; %bb.11:
	s_lshl_b64 s[2:3], s[2:3], 3
	s_add_u32 s0, s0, s2
	s_addc_u32 s1, s1, s3
	s_load_dwordx2 s[0:1], s[0:1], 0x8
	s_waitcnt lgkmcnt(0)
	v_bfe_u32 v0, v7, 16, 1
	s_movk_i32 s4, 0x7fff
	v_add3_u32 v0, v7, v0, s4
	v_cmp_o_f32_e32 vcc, v7, v7
	v_mov_b32_e32 v1, 0x7fc0
	s_nop 0
	v_cndmask_b32_sdwa v0, v1, v0, vcc dst_sel:DWORD dst_unused:UNUSED_PAD src0_sel:DWORD src1_sel:WORD_1
	v_mov_b32_e32 v1, 0
	global_store_short v1, v0, s[0:1]
.LBB159_12:
	s_endpgm
	.section	.rodata,"a",@progbits
	.p2align	6, 0x0
	.amdhsa_kernel _ZN2at6native14lpnorm_cleanupIdLNS0_8NormTypeE2EN3c108BFloat16ELb0EfEEvPKT3_NS0_19TensorListAddressesEi
		.amdhsa_group_segment_fixed_size 2048
		.amdhsa_private_segment_fixed_size 0
		.amdhsa_kernarg_size 3472
		.amdhsa_user_sgpr_count 2
		.amdhsa_user_sgpr_dispatch_ptr 0
		.amdhsa_user_sgpr_queue_ptr 0
		.amdhsa_user_sgpr_kernarg_segment_ptr 1
		.amdhsa_user_sgpr_dispatch_id 0
		.amdhsa_user_sgpr_kernarg_preload_length 0
		.amdhsa_user_sgpr_kernarg_preload_offset 0
		.amdhsa_user_sgpr_private_segment_size 0
		.amdhsa_uses_dynamic_stack 0
		.amdhsa_enable_private_segment 0
		.amdhsa_system_sgpr_workgroup_id_x 1
		.amdhsa_system_sgpr_workgroup_id_y 0
		.amdhsa_system_sgpr_workgroup_id_z 0
		.amdhsa_system_sgpr_workgroup_info 0
		.amdhsa_system_vgpr_workitem_id 0
		.amdhsa_next_free_vgpr 11
		.amdhsa_next_free_sgpr 16
		.amdhsa_accum_offset 12
		.amdhsa_reserve_vcc 1
		.amdhsa_float_round_mode_32 0
		.amdhsa_float_round_mode_16_64 0
		.amdhsa_float_denorm_mode_32 3
		.amdhsa_float_denorm_mode_16_64 3
		.amdhsa_dx10_clamp 1
		.amdhsa_ieee_mode 1
		.amdhsa_fp16_overflow 0
		.amdhsa_tg_split 0
		.amdhsa_exception_fp_ieee_invalid_op 0
		.amdhsa_exception_fp_denorm_src 0
		.amdhsa_exception_fp_ieee_div_zero 0
		.amdhsa_exception_fp_ieee_overflow 0
		.amdhsa_exception_fp_ieee_underflow 0
		.amdhsa_exception_fp_ieee_inexact 0
		.amdhsa_exception_int_div_zero 0
	.end_amdhsa_kernel
	.section	.text._ZN2at6native14lpnorm_cleanupIdLNS0_8NormTypeE2EN3c108BFloat16ELb0EfEEvPKT3_NS0_19TensorListAddressesEi,"axG",@progbits,_ZN2at6native14lpnorm_cleanupIdLNS0_8NormTypeE2EN3c108BFloat16ELb0EfEEvPKT3_NS0_19TensorListAddressesEi,comdat
.Lfunc_end159:
	.size	_ZN2at6native14lpnorm_cleanupIdLNS0_8NormTypeE2EN3c108BFloat16ELb0EfEEvPKT3_NS0_19TensorListAddressesEi, .Lfunc_end159-_ZN2at6native14lpnorm_cleanupIdLNS0_8NormTypeE2EN3c108BFloat16ELb0EfEEvPKT3_NS0_19TensorListAddressesEi
                                        ; -- End function
	.set _ZN2at6native14lpnorm_cleanupIdLNS0_8NormTypeE2EN3c108BFloat16ELb0EfEEvPKT3_NS0_19TensorListAddressesEi.num_vgpr, 11
	.set _ZN2at6native14lpnorm_cleanupIdLNS0_8NormTypeE2EN3c108BFloat16ELb0EfEEvPKT3_NS0_19TensorListAddressesEi.num_agpr, 0
	.set _ZN2at6native14lpnorm_cleanupIdLNS0_8NormTypeE2EN3c108BFloat16ELb0EfEEvPKT3_NS0_19TensorListAddressesEi.numbered_sgpr, 16
	.set _ZN2at6native14lpnorm_cleanupIdLNS0_8NormTypeE2EN3c108BFloat16ELb0EfEEvPKT3_NS0_19TensorListAddressesEi.num_named_barrier, 0
	.set _ZN2at6native14lpnorm_cleanupIdLNS0_8NormTypeE2EN3c108BFloat16ELb0EfEEvPKT3_NS0_19TensorListAddressesEi.private_seg_size, 0
	.set _ZN2at6native14lpnorm_cleanupIdLNS0_8NormTypeE2EN3c108BFloat16ELb0EfEEvPKT3_NS0_19TensorListAddressesEi.uses_vcc, 1
	.set _ZN2at6native14lpnorm_cleanupIdLNS0_8NormTypeE2EN3c108BFloat16ELb0EfEEvPKT3_NS0_19TensorListAddressesEi.uses_flat_scratch, 0
	.set _ZN2at6native14lpnorm_cleanupIdLNS0_8NormTypeE2EN3c108BFloat16ELb0EfEEvPKT3_NS0_19TensorListAddressesEi.has_dyn_sized_stack, 0
	.set _ZN2at6native14lpnorm_cleanupIdLNS0_8NormTypeE2EN3c108BFloat16ELb0EfEEvPKT3_NS0_19TensorListAddressesEi.has_recursion, 0
	.set _ZN2at6native14lpnorm_cleanupIdLNS0_8NormTypeE2EN3c108BFloat16ELb0EfEEvPKT3_NS0_19TensorListAddressesEi.has_indirect_call, 0
	.section	.AMDGPU.csdata,"",@progbits
; Kernel info:
; codeLenInByte = 704
; TotalNumSgprs: 22
; NumVgprs: 11
; NumAgprs: 0
; TotalNumVgprs: 11
; ScratchSize: 0
; MemoryBound: 0
; FloatMode: 240
; IeeeMode: 1
; LDSByteSize: 2048 bytes/workgroup (compile time only)
; SGPRBlocks: 2
; VGPRBlocks: 1
; NumSGPRsForWavesPerEU: 22
; NumVGPRsForWavesPerEU: 11
; AccumOffset: 12
; Occupancy: 8
; WaveLimiterHint : 0
; COMPUTE_PGM_RSRC2:SCRATCH_EN: 0
; COMPUTE_PGM_RSRC2:USER_SGPR: 2
; COMPUTE_PGM_RSRC2:TRAP_HANDLER: 0
; COMPUTE_PGM_RSRC2:TGID_X_EN: 1
; COMPUTE_PGM_RSRC2:TGID_Y_EN: 0
; COMPUTE_PGM_RSRC2:TGID_Z_EN: 0
; COMPUTE_PGM_RSRC2:TIDIG_COMP_CNT: 0
; COMPUTE_PGM_RSRC3_GFX90A:ACCUM_OFFSET: 2
; COMPUTE_PGM_RSRC3_GFX90A:TG_SPLIT: 0
	.section	.text._ZN2at6native14lpnorm_cleanupIfLNS0_8NormTypeE0EdLb0EdEEvPKT3_NS0_19TensorListAddressesEi,"axG",@progbits,_ZN2at6native14lpnorm_cleanupIfLNS0_8NormTypeE0EdLb0EdEEvPKT3_NS0_19TensorListAddressesEi,comdat
	.protected	_ZN2at6native14lpnorm_cleanupIfLNS0_8NormTypeE0EdLb0EdEEvPKT3_NS0_19TensorListAddressesEi ; -- Begin function _ZN2at6native14lpnorm_cleanupIfLNS0_8NormTypeE0EdLb0EdEEvPKT3_NS0_19TensorListAddressesEi
	.globl	_ZN2at6native14lpnorm_cleanupIfLNS0_8NormTypeE0EdLb0EdEEvPKT3_NS0_19TensorListAddressesEi
	.p2align	8
	.type	_ZN2at6native14lpnorm_cleanupIfLNS0_8NormTypeE0EdLb0EdEEvPKT3_NS0_19TensorListAddressesEi,@function
_ZN2at6native14lpnorm_cleanupIfLNS0_8NormTypeE0EdLb0EdEEvPKT3_NS0_19TensorListAddressesEi: ; @_ZN2at6native14lpnorm_cleanupIfLNS0_8NormTypeE0EdLb0EdEEvPKT3_NS0_19TensorListAddressesEi
; %bb.0:
	s_load_dword s6, s[0:1], 0xc88
	v_mov_b64_e32 v[2:3], 0
	s_waitcnt lgkmcnt(0)
	v_cmp_gt_u32_e32 vcc, s6, v0
	s_and_saveexec_b64 s[4:5], vcc
	s_cbranch_execz .LBB160_4
; %bb.1:
	s_load_dwordx2 s[12:13], s[0:1], 0x0
	s_load_dword s3, s[0:1], 0xc9c
	s_mul_i32 s8, s6, s2
	s_mov_b32 s9, 0
	s_ashr_i32 s7, s6, 31
	s_lshl_b64 s[14:15], s[8:9], 3
	s_waitcnt lgkmcnt(0)
	s_and_b32 s10, s3, 0xffff
	v_mov_b32_e32 v1, 0
	s_add_u32 s12, s12, s14
	v_lshlrev_b32_e32 v2, 3, v0
	v_mov_b32_e32 v3, v1
	s_addc_u32 s13, s13, s15
	s_mov_b32 s11, s9
	v_lshl_add_u64 v[4:5], s[12:13], 0, v[2:3]
	s_lshl_b32 s8, s10, 3
	v_mov_b64_e32 v[2:3], 0
	s_mov_b64 s[12:13], 0
	v_mov_b64_e32 v[6:7], v[0:1]
.LBB160_2:                              ; =>This Inner Loop Header: Depth=1
	global_load_dwordx2 v[8:9], v[4:5], off
	v_lshl_add_u64 v[6:7], v[6:7], 0, s[10:11]
	v_cmp_le_u64_e32 vcc, s[6:7], v[6:7]
	v_lshl_add_u64 v[4:5], v[4:5], 0, s[8:9]
	s_or_b64 s[12:13], vcc, s[12:13]
	s_waitcnt vmcnt(0)
	v_add_f64 v[2:3], v[2:3], v[8:9]
	s_andn2_b64 exec, exec, s[12:13]
	s_cbranch_execnz .LBB160_2
; %bb.3:
	s_or_b64 exec, exec, s[12:13]
.LBB160_4:
	s_or_b64 exec, exec, s[4:5]
	v_mbcnt_lo_u32_b32 v1, -1, 0
	v_mbcnt_hi_u32_b32 v10, -1, v1
	v_mov_b32_e32 v1, 0x80
	v_lshl_or_b32 v1, v10, 2, v1
	ds_bpermute_b32 v4, v1, v2
	ds_bpermute_b32 v5, v1, v3
	v_and_b32_e32 v12, 63, v10
	v_cmp_gt_u32_e32 vcc, 48, v12
	v_and_b32_e32 v11, 63, v0
	s_waitcnt lgkmcnt(0)
	v_add_f64 v[2:3], v[2:3], v[4:5]
	v_cndmask_b32_e64 v4, 0, 16, vcc
	v_add_lshl_u32 v6, v4, v10, 2
	ds_bpermute_b32 v4, v6, v2
	ds_bpermute_b32 v5, v6, v3
	v_cmp_gt_u32_e32 vcc, 56, v12
	s_barrier
	s_waitcnt lgkmcnt(0)
	v_add_f64 v[2:3], v[2:3], v[4:5]
	v_cndmask_b32_e64 v4, 0, 8, vcc
	v_add_lshl_u32 v7, v4, v10, 2
	ds_bpermute_b32 v4, v7, v2
	ds_bpermute_b32 v5, v7, v3
	v_cmp_gt_u32_e32 vcc, 60, v12
	s_waitcnt lgkmcnt(0)
	v_add_f64 v[2:3], v[2:3], v[4:5]
	v_cndmask_b32_e64 v4, 0, 4, vcc
	v_add_lshl_u32 v8, v4, v10, 2
	ds_bpermute_b32 v4, v8, v2
	ds_bpermute_b32 v5, v8, v3
	v_cmp_gt_u32_e32 vcc, 62, v12
	s_waitcnt lgkmcnt(0)
	v_add_f64 v[2:3], v[2:3], v[4:5]
	v_cndmask_b32_e64 v4, 0, 2, vcc
	v_add_lshl_u32 v9, v4, v10, 2
	ds_bpermute_b32 v4, v9, v2
	ds_bpermute_b32 v5, v9, v3
	v_cmp_ne_u32_e32 vcc, 63, v12
	s_waitcnt lgkmcnt(0)
	v_add_f64 v[2:3], v[2:3], v[4:5]
	v_addc_co_u32_e32 v4, vcc, 0, v10, vcc
	v_lshlrev_b32_e32 v10, 2, v4
	ds_bpermute_b32 v4, v10, v2
	ds_bpermute_b32 v5, v10, v3
	v_cmp_eq_u32_e32 vcc, 0, v11
	s_and_saveexec_b64 s[4:5], vcc
	s_cbranch_execz .LBB160_6
; %bb.5:
	v_lshrrev_b32_e32 v12, 3, v0
	s_waitcnt lgkmcnt(0)
	v_add_f64 v[2:3], v[2:3], v[4:5]
	ds_write_b64 v12, v[2:3]
.LBB160_6:
	s_or_b64 exec, exec, s[4:5]
	s_waitcnt lgkmcnt(0)
	s_barrier
	s_load_dword s3, s[0:1], 0xc9c
	v_mov_b64_e32 v[2:3], 0
	s_waitcnt lgkmcnt(0)
	s_bfe_u32 s3, s3, 0xa0006
	v_cmp_gt_u32_e32 vcc, s3, v0
	s_and_saveexec_b64 s[4:5], vcc
; %bb.7:
	v_lshlrev_b32_e32 v2, 3, v11
	ds_read_b64 v[2:3], v2
; %bb.8:
	s_or_b64 exec, exec, s[4:5]
	v_cmp_gt_u32_e32 vcc, 64, v0
	s_and_saveexec_b64 s[4:5], vcc
	s_cbranch_execz .LBB160_10
; %bb.9:
	s_waitcnt lgkmcnt(0)
	ds_bpermute_b32 v4, v1, v2
	ds_bpermute_b32 v5, v1, v3
	s_waitcnt lgkmcnt(0)
	v_add_f64 v[2:3], v[2:3], v[4:5]
	ds_bpermute_b32 v4, v6, v2
	ds_bpermute_b32 v5, v6, v3
	s_waitcnt lgkmcnt(0)
	v_add_f64 v[2:3], v[2:3], v[4:5]
	;; [unrolled: 4-line block ×6, first 2 shown]
.LBB160_10:
	s_or_b64 exec, exec, s[4:5]
	s_mov_b32 s3, 0
	v_cmp_eq_u32_e32 vcc, 0, v0
	s_and_saveexec_b64 s[4:5], vcc
	s_cbranch_execz .LBB160_12
; %bb.11:
	s_lshl_b64 s[2:3], s[2:3], 3
	s_add_u32 s0, s0, s2
	s_addc_u32 s1, s1, s3
	s_load_dwordx2 s[0:1], s[0:1], 0x8
	v_mov_b32_e32 v0, 0
	s_waitcnt lgkmcnt(0)
	global_store_dwordx2 v0, v[2:3], s[0:1]
.LBB160_12:
	s_endpgm
	.section	.rodata,"a",@progbits
	.p2align	6, 0x0
	.amdhsa_kernel _ZN2at6native14lpnorm_cleanupIfLNS0_8NormTypeE0EdLb0EdEEvPKT3_NS0_19TensorListAddressesEi
		.amdhsa_group_segment_fixed_size 4096
		.amdhsa_private_segment_fixed_size 0
		.amdhsa_kernarg_size 3472
		.amdhsa_user_sgpr_count 2
		.amdhsa_user_sgpr_dispatch_ptr 0
		.amdhsa_user_sgpr_queue_ptr 0
		.amdhsa_user_sgpr_kernarg_segment_ptr 1
		.amdhsa_user_sgpr_dispatch_id 0
		.amdhsa_user_sgpr_kernarg_preload_length 0
		.amdhsa_user_sgpr_kernarg_preload_offset 0
		.amdhsa_user_sgpr_private_segment_size 0
		.amdhsa_uses_dynamic_stack 0
		.amdhsa_enable_private_segment 0
		.amdhsa_system_sgpr_workgroup_id_x 1
		.amdhsa_system_sgpr_workgroup_id_y 0
		.amdhsa_system_sgpr_workgroup_id_z 0
		.amdhsa_system_sgpr_workgroup_info 0
		.amdhsa_system_vgpr_workitem_id 0
		.amdhsa_next_free_vgpr 13
		.amdhsa_next_free_sgpr 16
		.amdhsa_accum_offset 16
		.amdhsa_reserve_vcc 1
		.amdhsa_float_round_mode_32 0
		.amdhsa_float_round_mode_16_64 0
		.amdhsa_float_denorm_mode_32 3
		.amdhsa_float_denorm_mode_16_64 3
		.amdhsa_dx10_clamp 1
		.amdhsa_ieee_mode 1
		.amdhsa_fp16_overflow 0
		.amdhsa_tg_split 0
		.amdhsa_exception_fp_ieee_invalid_op 0
		.amdhsa_exception_fp_denorm_src 0
		.amdhsa_exception_fp_ieee_div_zero 0
		.amdhsa_exception_fp_ieee_overflow 0
		.amdhsa_exception_fp_ieee_underflow 0
		.amdhsa_exception_fp_ieee_inexact 0
		.amdhsa_exception_int_div_zero 0
	.end_amdhsa_kernel
	.section	.text._ZN2at6native14lpnorm_cleanupIfLNS0_8NormTypeE0EdLb0EdEEvPKT3_NS0_19TensorListAddressesEi,"axG",@progbits,_ZN2at6native14lpnorm_cleanupIfLNS0_8NormTypeE0EdLb0EdEEvPKT3_NS0_19TensorListAddressesEi,comdat
.Lfunc_end160:
	.size	_ZN2at6native14lpnorm_cleanupIfLNS0_8NormTypeE0EdLb0EdEEvPKT3_NS0_19TensorListAddressesEi, .Lfunc_end160-_ZN2at6native14lpnorm_cleanupIfLNS0_8NormTypeE0EdLb0EdEEvPKT3_NS0_19TensorListAddressesEi
                                        ; -- End function
	.set _ZN2at6native14lpnorm_cleanupIfLNS0_8NormTypeE0EdLb0EdEEvPKT3_NS0_19TensorListAddressesEi.num_vgpr, 13
	.set _ZN2at6native14lpnorm_cleanupIfLNS0_8NormTypeE0EdLb0EdEEvPKT3_NS0_19TensorListAddressesEi.num_agpr, 0
	.set _ZN2at6native14lpnorm_cleanupIfLNS0_8NormTypeE0EdLb0EdEEvPKT3_NS0_19TensorListAddressesEi.numbered_sgpr, 16
	.set _ZN2at6native14lpnorm_cleanupIfLNS0_8NormTypeE0EdLb0EdEEvPKT3_NS0_19TensorListAddressesEi.num_named_barrier, 0
	.set _ZN2at6native14lpnorm_cleanupIfLNS0_8NormTypeE0EdLb0EdEEvPKT3_NS0_19TensorListAddressesEi.private_seg_size, 0
	.set _ZN2at6native14lpnorm_cleanupIfLNS0_8NormTypeE0EdLb0EdEEvPKT3_NS0_19TensorListAddressesEi.uses_vcc, 1
	.set _ZN2at6native14lpnorm_cleanupIfLNS0_8NormTypeE0EdLb0EdEEvPKT3_NS0_19TensorListAddressesEi.uses_flat_scratch, 0
	.set _ZN2at6native14lpnorm_cleanupIfLNS0_8NormTypeE0EdLb0EdEEvPKT3_NS0_19TensorListAddressesEi.has_dyn_sized_stack, 0
	.set _ZN2at6native14lpnorm_cleanupIfLNS0_8NormTypeE0EdLb0EdEEvPKT3_NS0_19TensorListAddressesEi.has_recursion, 0
	.set _ZN2at6native14lpnorm_cleanupIfLNS0_8NormTypeE0EdLb0EdEEvPKT3_NS0_19TensorListAddressesEi.has_indirect_call, 0
	.section	.AMDGPU.csdata,"",@progbits
; Kernel info:
; codeLenInByte = 812
; TotalNumSgprs: 22
; NumVgprs: 13
; NumAgprs: 0
; TotalNumVgprs: 13
; ScratchSize: 0
; MemoryBound: 0
; FloatMode: 240
; IeeeMode: 1
; LDSByteSize: 4096 bytes/workgroup (compile time only)
; SGPRBlocks: 2
; VGPRBlocks: 1
; NumSGPRsForWavesPerEU: 22
; NumVGPRsForWavesPerEU: 13
; AccumOffset: 16
; Occupancy: 8
; WaveLimiterHint : 0
; COMPUTE_PGM_RSRC2:SCRATCH_EN: 0
; COMPUTE_PGM_RSRC2:USER_SGPR: 2
; COMPUTE_PGM_RSRC2:TRAP_HANDLER: 0
; COMPUTE_PGM_RSRC2:TGID_X_EN: 1
; COMPUTE_PGM_RSRC2:TGID_Y_EN: 0
; COMPUTE_PGM_RSRC2:TGID_Z_EN: 0
; COMPUTE_PGM_RSRC2:TIDIG_COMP_CNT: 0
; COMPUTE_PGM_RSRC3_GFX90A:ACCUM_OFFSET: 3
; COMPUTE_PGM_RSRC3_GFX90A:TG_SPLIT: 0
	.section	.text._ZN2at6native14lpnorm_cleanupIfLNS0_8NormTypeE1EdLb0EdEEvPKT3_NS0_19TensorListAddressesEi,"axG",@progbits,_ZN2at6native14lpnorm_cleanupIfLNS0_8NormTypeE1EdLb0EdEEvPKT3_NS0_19TensorListAddressesEi,comdat
	.protected	_ZN2at6native14lpnorm_cleanupIfLNS0_8NormTypeE1EdLb0EdEEvPKT3_NS0_19TensorListAddressesEi ; -- Begin function _ZN2at6native14lpnorm_cleanupIfLNS0_8NormTypeE1EdLb0EdEEvPKT3_NS0_19TensorListAddressesEi
	.globl	_ZN2at6native14lpnorm_cleanupIfLNS0_8NormTypeE1EdLb0EdEEvPKT3_NS0_19TensorListAddressesEi
	.p2align	8
	.type	_ZN2at6native14lpnorm_cleanupIfLNS0_8NormTypeE1EdLb0EdEEvPKT3_NS0_19TensorListAddressesEi,@function
_ZN2at6native14lpnorm_cleanupIfLNS0_8NormTypeE1EdLb0EdEEvPKT3_NS0_19TensorListAddressesEi: ; @_ZN2at6native14lpnorm_cleanupIfLNS0_8NormTypeE1EdLb0EdEEvPKT3_NS0_19TensorListAddressesEi
; %bb.0:
	s_load_dword s6, s[0:1], 0xc88
	v_mov_b64_e32 v[2:3], 0
	s_waitcnt lgkmcnt(0)
	v_cmp_gt_u32_e32 vcc, s6, v0
	s_and_saveexec_b64 s[4:5], vcc
	s_cbranch_execz .LBB161_4
; %bb.1:
	s_load_dwordx2 s[12:13], s[0:1], 0x0
	s_load_dword s3, s[0:1], 0xc9c
	s_mul_i32 s8, s6, s2
	s_mov_b32 s9, 0
	s_ashr_i32 s7, s6, 31
	s_lshl_b64 s[14:15], s[8:9], 3
	s_waitcnt lgkmcnt(0)
	s_and_b32 s10, s3, 0xffff
	v_mov_b32_e32 v1, 0
	s_add_u32 s12, s12, s14
	v_lshlrev_b32_e32 v2, 3, v0
	v_mov_b32_e32 v3, v1
	s_addc_u32 s13, s13, s15
	s_mov_b32 s11, s9
	v_lshl_add_u64 v[4:5], s[12:13], 0, v[2:3]
	s_lshl_b32 s8, s10, 3
	v_mov_b64_e32 v[2:3], 0
	s_mov_b64 s[12:13], 0
	v_mov_b64_e32 v[6:7], v[0:1]
.LBB161_2:                              ; =>This Inner Loop Header: Depth=1
	global_load_dwordx2 v[8:9], v[4:5], off
	v_lshl_add_u64 v[6:7], v[6:7], 0, s[10:11]
	v_cmp_le_u64_e32 vcc, s[6:7], v[6:7]
	v_lshl_add_u64 v[4:5], v[4:5], 0, s[8:9]
	s_or_b64 s[12:13], vcc, s[12:13]
	s_waitcnt vmcnt(0)
	v_add_f64 v[2:3], v[2:3], v[8:9]
	s_andn2_b64 exec, exec, s[12:13]
	s_cbranch_execnz .LBB161_2
; %bb.3:
	s_or_b64 exec, exec, s[12:13]
.LBB161_4:
	s_or_b64 exec, exec, s[4:5]
	v_mbcnt_lo_u32_b32 v1, -1, 0
	v_mbcnt_hi_u32_b32 v10, -1, v1
	v_mov_b32_e32 v1, 0x80
	v_lshl_or_b32 v1, v10, 2, v1
	ds_bpermute_b32 v4, v1, v2
	ds_bpermute_b32 v5, v1, v3
	v_and_b32_e32 v12, 63, v10
	v_cmp_gt_u32_e32 vcc, 48, v12
	v_and_b32_e32 v11, 63, v0
	s_waitcnt lgkmcnt(0)
	v_add_f64 v[2:3], v[2:3], v[4:5]
	v_cndmask_b32_e64 v4, 0, 16, vcc
	v_add_lshl_u32 v6, v4, v10, 2
	ds_bpermute_b32 v4, v6, v2
	ds_bpermute_b32 v5, v6, v3
	v_cmp_gt_u32_e32 vcc, 56, v12
	s_barrier
	s_waitcnt lgkmcnt(0)
	v_add_f64 v[2:3], v[2:3], v[4:5]
	v_cndmask_b32_e64 v4, 0, 8, vcc
	v_add_lshl_u32 v7, v4, v10, 2
	ds_bpermute_b32 v4, v7, v2
	ds_bpermute_b32 v5, v7, v3
	v_cmp_gt_u32_e32 vcc, 60, v12
	s_waitcnt lgkmcnt(0)
	v_add_f64 v[2:3], v[2:3], v[4:5]
	v_cndmask_b32_e64 v4, 0, 4, vcc
	v_add_lshl_u32 v8, v4, v10, 2
	ds_bpermute_b32 v4, v8, v2
	ds_bpermute_b32 v5, v8, v3
	v_cmp_gt_u32_e32 vcc, 62, v12
	s_waitcnt lgkmcnt(0)
	v_add_f64 v[2:3], v[2:3], v[4:5]
	v_cndmask_b32_e64 v4, 0, 2, vcc
	v_add_lshl_u32 v9, v4, v10, 2
	ds_bpermute_b32 v4, v9, v2
	ds_bpermute_b32 v5, v9, v3
	v_cmp_ne_u32_e32 vcc, 63, v12
	s_waitcnt lgkmcnt(0)
	v_add_f64 v[2:3], v[2:3], v[4:5]
	v_addc_co_u32_e32 v4, vcc, 0, v10, vcc
	v_lshlrev_b32_e32 v10, 2, v4
	ds_bpermute_b32 v4, v10, v2
	ds_bpermute_b32 v5, v10, v3
	v_cmp_eq_u32_e32 vcc, 0, v11
	s_and_saveexec_b64 s[4:5], vcc
	s_cbranch_execz .LBB161_6
; %bb.5:
	v_lshrrev_b32_e32 v12, 3, v0
	s_waitcnt lgkmcnt(0)
	v_add_f64 v[2:3], v[2:3], v[4:5]
	ds_write_b64 v12, v[2:3]
.LBB161_6:
	s_or_b64 exec, exec, s[4:5]
	s_waitcnt lgkmcnt(0)
	s_barrier
	s_load_dword s3, s[0:1], 0xc9c
	v_mov_b64_e32 v[2:3], 0
	s_waitcnt lgkmcnt(0)
	s_bfe_u32 s3, s3, 0xa0006
	v_cmp_gt_u32_e32 vcc, s3, v0
	s_and_saveexec_b64 s[4:5], vcc
; %bb.7:
	v_lshlrev_b32_e32 v2, 3, v11
	ds_read_b64 v[2:3], v2
; %bb.8:
	s_or_b64 exec, exec, s[4:5]
	v_cmp_gt_u32_e32 vcc, 64, v0
	s_and_saveexec_b64 s[4:5], vcc
	s_cbranch_execz .LBB161_10
; %bb.9:
	s_waitcnt lgkmcnt(0)
	ds_bpermute_b32 v4, v1, v2
	ds_bpermute_b32 v5, v1, v3
	s_waitcnt lgkmcnt(0)
	v_add_f64 v[2:3], v[2:3], v[4:5]
	ds_bpermute_b32 v4, v6, v2
	ds_bpermute_b32 v5, v6, v3
	s_waitcnt lgkmcnt(0)
	v_add_f64 v[2:3], v[2:3], v[4:5]
	;; [unrolled: 4-line block ×6, first 2 shown]
.LBB161_10:
	s_or_b64 exec, exec, s[4:5]
	s_mov_b32 s3, 0
	v_cmp_eq_u32_e32 vcc, 0, v0
	s_and_saveexec_b64 s[4:5], vcc
	s_cbranch_execz .LBB161_12
; %bb.11:
	s_lshl_b64 s[2:3], s[2:3], 3
	s_add_u32 s0, s0, s2
	s_addc_u32 s1, s1, s3
	s_load_dwordx2 s[0:1], s[0:1], 0x8
	v_mov_b32_e32 v0, 0
	s_waitcnt lgkmcnt(0)
	global_store_dwordx2 v0, v[2:3], s[0:1]
.LBB161_12:
	s_endpgm
	.section	.rodata,"a",@progbits
	.p2align	6, 0x0
	.amdhsa_kernel _ZN2at6native14lpnorm_cleanupIfLNS0_8NormTypeE1EdLb0EdEEvPKT3_NS0_19TensorListAddressesEi
		.amdhsa_group_segment_fixed_size 4096
		.amdhsa_private_segment_fixed_size 0
		.amdhsa_kernarg_size 3472
		.amdhsa_user_sgpr_count 2
		.amdhsa_user_sgpr_dispatch_ptr 0
		.amdhsa_user_sgpr_queue_ptr 0
		.amdhsa_user_sgpr_kernarg_segment_ptr 1
		.amdhsa_user_sgpr_dispatch_id 0
		.amdhsa_user_sgpr_kernarg_preload_length 0
		.amdhsa_user_sgpr_kernarg_preload_offset 0
		.amdhsa_user_sgpr_private_segment_size 0
		.amdhsa_uses_dynamic_stack 0
		.amdhsa_enable_private_segment 0
		.amdhsa_system_sgpr_workgroup_id_x 1
		.amdhsa_system_sgpr_workgroup_id_y 0
		.amdhsa_system_sgpr_workgroup_id_z 0
		.amdhsa_system_sgpr_workgroup_info 0
		.amdhsa_system_vgpr_workitem_id 0
		.amdhsa_next_free_vgpr 13
		.amdhsa_next_free_sgpr 16
		.amdhsa_accum_offset 16
		.amdhsa_reserve_vcc 1
		.amdhsa_float_round_mode_32 0
		.amdhsa_float_round_mode_16_64 0
		.amdhsa_float_denorm_mode_32 3
		.amdhsa_float_denorm_mode_16_64 3
		.amdhsa_dx10_clamp 1
		.amdhsa_ieee_mode 1
		.amdhsa_fp16_overflow 0
		.amdhsa_tg_split 0
		.amdhsa_exception_fp_ieee_invalid_op 0
		.amdhsa_exception_fp_denorm_src 0
		.amdhsa_exception_fp_ieee_div_zero 0
		.amdhsa_exception_fp_ieee_overflow 0
		.amdhsa_exception_fp_ieee_underflow 0
		.amdhsa_exception_fp_ieee_inexact 0
		.amdhsa_exception_int_div_zero 0
	.end_amdhsa_kernel
	.section	.text._ZN2at6native14lpnorm_cleanupIfLNS0_8NormTypeE1EdLb0EdEEvPKT3_NS0_19TensorListAddressesEi,"axG",@progbits,_ZN2at6native14lpnorm_cleanupIfLNS0_8NormTypeE1EdLb0EdEEvPKT3_NS0_19TensorListAddressesEi,comdat
.Lfunc_end161:
	.size	_ZN2at6native14lpnorm_cleanupIfLNS0_8NormTypeE1EdLb0EdEEvPKT3_NS0_19TensorListAddressesEi, .Lfunc_end161-_ZN2at6native14lpnorm_cleanupIfLNS0_8NormTypeE1EdLb0EdEEvPKT3_NS0_19TensorListAddressesEi
                                        ; -- End function
	.set _ZN2at6native14lpnorm_cleanupIfLNS0_8NormTypeE1EdLb0EdEEvPKT3_NS0_19TensorListAddressesEi.num_vgpr, 13
	.set _ZN2at6native14lpnorm_cleanupIfLNS0_8NormTypeE1EdLb0EdEEvPKT3_NS0_19TensorListAddressesEi.num_agpr, 0
	.set _ZN2at6native14lpnorm_cleanupIfLNS0_8NormTypeE1EdLb0EdEEvPKT3_NS0_19TensorListAddressesEi.numbered_sgpr, 16
	.set _ZN2at6native14lpnorm_cleanupIfLNS0_8NormTypeE1EdLb0EdEEvPKT3_NS0_19TensorListAddressesEi.num_named_barrier, 0
	.set _ZN2at6native14lpnorm_cleanupIfLNS0_8NormTypeE1EdLb0EdEEvPKT3_NS0_19TensorListAddressesEi.private_seg_size, 0
	.set _ZN2at6native14lpnorm_cleanupIfLNS0_8NormTypeE1EdLb0EdEEvPKT3_NS0_19TensorListAddressesEi.uses_vcc, 1
	.set _ZN2at6native14lpnorm_cleanupIfLNS0_8NormTypeE1EdLb0EdEEvPKT3_NS0_19TensorListAddressesEi.uses_flat_scratch, 0
	.set _ZN2at6native14lpnorm_cleanupIfLNS0_8NormTypeE1EdLb0EdEEvPKT3_NS0_19TensorListAddressesEi.has_dyn_sized_stack, 0
	.set _ZN2at6native14lpnorm_cleanupIfLNS0_8NormTypeE1EdLb0EdEEvPKT3_NS0_19TensorListAddressesEi.has_recursion, 0
	.set _ZN2at6native14lpnorm_cleanupIfLNS0_8NormTypeE1EdLb0EdEEvPKT3_NS0_19TensorListAddressesEi.has_indirect_call, 0
	.section	.AMDGPU.csdata,"",@progbits
; Kernel info:
; codeLenInByte = 812
; TotalNumSgprs: 22
; NumVgprs: 13
; NumAgprs: 0
; TotalNumVgprs: 13
; ScratchSize: 0
; MemoryBound: 0
; FloatMode: 240
; IeeeMode: 1
; LDSByteSize: 4096 bytes/workgroup (compile time only)
; SGPRBlocks: 2
; VGPRBlocks: 1
; NumSGPRsForWavesPerEU: 22
; NumVGPRsForWavesPerEU: 13
; AccumOffset: 16
; Occupancy: 8
; WaveLimiterHint : 0
; COMPUTE_PGM_RSRC2:SCRATCH_EN: 0
; COMPUTE_PGM_RSRC2:USER_SGPR: 2
; COMPUTE_PGM_RSRC2:TRAP_HANDLER: 0
; COMPUTE_PGM_RSRC2:TGID_X_EN: 1
; COMPUTE_PGM_RSRC2:TGID_Y_EN: 0
; COMPUTE_PGM_RSRC2:TGID_Z_EN: 0
; COMPUTE_PGM_RSRC2:TIDIG_COMP_CNT: 0
; COMPUTE_PGM_RSRC3_GFX90A:ACCUM_OFFSET: 3
; COMPUTE_PGM_RSRC3_GFX90A:TG_SPLIT: 0
	.section	.text._ZN2at6native14lpnorm_cleanupIfLNS0_8NormTypeE2EdLb0EdEEvPKT3_NS0_19TensorListAddressesEi,"axG",@progbits,_ZN2at6native14lpnorm_cleanupIfLNS0_8NormTypeE2EdLb0EdEEvPKT3_NS0_19TensorListAddressesEi,comdat
	.protected	_ZN2at6native14lpnorm_cleanupIfLNS0_8NormTypeE2EdLb0EdEEvPKT3_NS0_19TensorListAddressesEi ; -- Begin function _ZN2at6native14lpnorm_cleanupIfLNS0_8NormTypeE2EdLb0EdEEvPKT3_NS0_19TensorListAddressesEi
	.globl	_ZN2at6native14lpnorm_cleanupIfLNS0_8NormTypeE2EdLb0EdEEvPKT3_NS0_19TensorListAddressesEi
	.p2align	8
	.type	_ZN2at6native14lpnorm_cleanupIfLNS0_8NormTypeE2EdLb0EdEEvPKT3_NS0_19TensorListAddressesEi,@function
_ZN2at6native14lpnorm_cleanupIfLNS0_8NormTypeE2EdLb0EdEEvPKT3_NS0_19TensorListAddressesEi: ; @_ZN2at6native14lpnorm_cleanupIfLNS0_8NormTypeE2EdLb0EdEEvPKT3_NS0_19TensorListAddressesEi
; %bb.0:
	s_load_dword s6, s[0:1], 0xc88
	v_mov_b64_e32 v[2:3], 0
	s_waitcnt lgkmcnt(0)
	v_cmp_gt_u32_e32 vcc, s6, v0
	s_and_saveexec_b64 s[4:5], vcc
	s_cbranch_execz .LBB162_4
; %bb.1:
	s_load_dwordx2 s[12:13], s[0:1], 0x0
	s_load_dword s3, s[0:1], 0xc9c
	s_mul_i32 s8, s6, s2
	s_mov_b32 s9, 0
	s_ashr_i32 s7, s6, 31
	s_lshl_b64 s[14:15], s[8:9], 3
	s_waitcnt lgkmcnt(0)
	s_and_b32 s10, s3, 0xffff
	v_mov_b32_e32 v1, 0
	s_add_u32 s12, s12, s14
	v_lshlrev_b32_e32 v2, 3, v0
	v_mov_b32_e32 v3, v1
	s_addc_u32 s13, s13, s15
	s_mov_b32 s11, s9
	v_lshl_add_u64 v[4:5], s[12:13], 0, v[2:3]
	s_lshl_b32 s8, s10, 3
	v_mov_b64_e32 v[2:3], 0
	s_mov_b64 s[12:13], 0
	v_mov_b64_e32 v[6:7], v[0:1]
.LBB162_2:                              ; =>This Inner Loop Header: Depth=1
	global_load_dwordx2 v[8:9], v[4:5], off
	v_lshl_add_u64 v[6:7], v[6:7], 0, s[10:11]
	v_cmp_le_u64_e32 vcc, s[6:7], v[6:7]
	v_lshl_add_u64 v[4:5], v[4:5], 0, s[8:9]
	s_or_b64 s[12:13], vcc, s[12:13]
	s_waitcnt vmcnt(0)
	v_add_f64 v[2:3], v[2:3], v[8:9]
	s_andn2_b64 exec, exec, s[12:13]
	s_cbranch_execnz .LBB162_2
; %bb.3:
	s_or_b64 exec, exec, s[12:13]
.LBB162_4:
	s_or_b64 exec, exec, s[4:5]
	v_mbcnt_lo_u32_b32 v1, -1, 0
	v_mbcnt_hi_u32_b32 v10, -1, v1
	v_mov_b32_e32 v1, 0x80
	v_lshl_or_b32 v1, v10, 2, v1
	ds_bpermute_b32 v4, v1, v2
	ds_bpermute_b32 v5, v1, v3
	v_and_b32_e32 v12, 63, v10
	v_cmp_gt_u32_e32 vcc, 48, v12
	v_and_b32_e32 v11, 63, v0
	s_waitcnt lgkmcnt(0)
	v_add_f64 v[2:3], v[2:3], v[4:5]
	v_cndmask_b32_e64 v4, 0, 16, vcc
	v_add_lshl_u32 v6, v4, v10, 2
	ds_bpermute_b32 v4, v6, v2
	ds_bpermute_b32 v5, v6, v3
	v_cmp_gt_u32_e32 vcc, 56, v12
	s_barrier
	s_waitcnt lgkmcnt(0)
	v_add_f64 v[2:3], v[2:3], v[4:5]
	v_cndmask_b32_e64 v4, 0, 8, vcc
	v_add_lshl_u32 v7, v4, v10, 2
	ds_bpermute_b32 v4, v7, v2
	ds_bpermute_b32 v5, v7, v3
	v_cmp_gt_u32_e32 vcc, 60, v12
	s_waitcnt lgkmcnt(0)
	v_add_f64 v[2:3], v[2:3], v[4:5]
	v_cndmask_b32_e64 v4, 0, 4, vcc
	v_add_lshl_u32 v8, v4, v10, 2
	ds_bpermute_b32 v4, v8, v2
	ds_bpermute_b32 v5, v8, v3
	v_cmp_gt_u32_e32 vcc, 62, v12
	s_waitcnt lgkmcnt(0)
	v_add_f64 v[2:3], v[2:3], v[4:5]
	v_cndmask_b32_e64 v4, 0, 2, vcc
	v_add_lshl_u32 v9, v4, v10, 2
	ds_bpermute_b32 v4, v9, v2
	ds_bpermute_b32 v5, v9, v3
	v_cmp_ne_u32_e32 vcc, 63, v12
	s_waitcnt lgkmcnt(0)
	v_add_f64 v[2:3], v[2:3], v[4:5]
	v_addc_co_u32_e32 v4, vcc, 0, v10, vcc
	v_lshlrev_b32_e32 v10, 2, v4
	ds_bpermute_b32 v4, v10, v2
	ds_bpermute_b32 v5, v10, v3
	v_cmp_eq_u32_e32 vcc, 0, v11
	s_and_saveexec_b64 s[4:5], vcc
	s_cbranch_execz .LBB162_6
; %bb.5:
	v_lshrrev_b32_e32 v12, 3, v0
	s_waitcnt lgkmcnt(0)
	v_add_f64 v[2:3], v[2:3], v[4:5]
	ds_write_b64 v12, v[2:3]
.LBB162_6:
	s_or_b64 exec, exec, s[4:5]
	s_waitcnt lgkmcnt(0)
	s_barrier
	s_load_dword s3, s[0:1], 0xc9c
	v_mov_b64_e32 v[2:3], 0
	s_waitcnt lgkmcnt(0)
	s_bfe_u32 s3, s3, 0xa0006
	v_cmp_gt_u32_e32 vcc, s3, v0
	s_and_saveexec_b64 s[4:5], vcc
; %bb.7:
	v_lshlrev_b32_e32 v2, 3, v11
	ds_read_b64 v[2:3], v2
; %bb.8:
	s_or_b64 exec, exec, s[4:5]
	v_cmp_gt_u32_e32 vcc, 64, v0
	s_and_saveexec_b64 s[4:5], vcc
	s_cbranch_execz .LBB162_10
; %bb.9:
	s_waitcnt lgkmcnt(0)
	ds_bpermute_b32 v4, v1, v2
	ds_bpermute_b32 v5, v1, v3
	s_waitcnt lgkmcnt(0)
	v_add_f64 v[2:3], v[2:3], v[4:5]
	ds_bpermute_b32 v4, v6, v2
	ds_bpermute_b32 v5, v6, v3
	s_waitcnt lgkmcnt(0)
	v_add_f64 v[2:3], v[2:3], v[4:5]
	;; [unrolled: 4-line block ×6, first 2 shown]
.LBB162_10:
	s_or_b64 exec, exec, s[4:5]
	s_mov_b32 s3, 0
	v_cmp_eq_u32_e32 vcc, 0, v0
	s_and_saveexec_b64 s[4:5], vcc
	s_cbranch_execz .LBB162_12
; %bb.11:
	s_lshl_b64 s[2:3], s[2:3], 3
	s_add_u32 s0, s0, s2
	s_addc_u32 s1, s1, s3
	s_load_dwordx2 s[0:1], s[0:1], 0x8
	v_mov_b32_e32 v0, 0
	s_waitcnt lgkmcnt(0)
	global_store_dwordx2 v0, v[2:3], s[0:1]
.LBB162_12:
	s_endpgm
	.section	.rodata,"a",@progbits
	.p2align	6, 0x0
	.amdhsa_kernel _ZN2at6native14lpnorm_cleanupIfLNS0_8NormTypeE2EdLb0EdEEvPKT3_NS0_19TensorListAddressesEi
		.amdhsa_group_segment_fixed_size 4096
		.amdhsa_private_segment_fixed_size 0
		.amdhsa_kernarg_size 3472
		.amdhsa_user_sgpr_count 2
		.amdhsa_user_sgpr_dispatch_ptr 0
		.amdhsa_user_sgpr_queue_ptr 0
		.amdhsa_user_sgpr_kernarg_segment_ptr 1
		.amdhsa_user_sgpr_dispatch_id 0
		.amdhsa_user_sgpr_kernarg_preload_length 0
		.amdhsa_user_sgpr_kernarg_preload_offset 0
		.amdhsa_user_sgpr_private_segment_size 0
		.amdhsa_uses_dynamic_stack 0
		.amdhsa_enable_private_segment 0
		.amdhsa_system_sgpr_workgroup_id_x 1
		.amdhsa_system_sgpr_workgroup_id_y 0
		.amdhsa_system_sgpr_workgroup_id_z 0
		.amdhsa_system_sgpr_workgroup_info 0
		.amdhsa_system_vgpr_workitem_id 0
		.amdhsa_next_free_vgpr 13
		.amdhsa_next_free_sgpr 16
		.amdhsa_accum_offset 16
		.amdhsa_reserve_vcc 1
		.amdhsa_float_round_mode_32 0
		.amdhsa_float_round_mode_16_64 0
		.amdhsa_float_denorm_mode_32 3
		.amdhsa_float_denorm_mode_16_64 3
		.amdhsa_dx10_clamp 1
		.amdhsa_ieee_mode 1
		.amdhsa_fp16_overflow 0
		.amdhsa_tg_split 0
		.amdhsa_exception_fp_ieee_invalid_op 0
		.amdhsa_exception_fp_denorm_src 0
		.amdhsa_exception_fp_ieee_div_zero 0
		.amdhsa_exception_fp_ieee_overflow 0
		.amdhsa_exception_fp_ieee_underflow 0
		.amdhsa_exception_fp_ieee_inexact 0
		.amdhsa_exception_int_div_zero 0
	.end_amdhsa_kernel
	.section	.text._ZN2at6native14lpnorm_cleanupIfLNS0_8NormTypeE2EdLb0EdEEvPKT3_NS0_19TensorListAddressesEi,"axG",@progbits,_ZN2at6native14lpnorm_cleanupIfLNS0_8NormTypeE2EdLb0EdEEvPKT3_NS0_19TensorListAddressesEi,comdat
.Lfunc_end162:
	.size	_ZN2at6native14lpnorm_cleanupIfLNS0_8NormTypeE2EdLb0EdEEvPKT3_NS0_19TensorListAddressesEi, .Lfunc_end162-_ZN2at6native14lpnorm_cleanupIfLNS0_8NormTypeE2EdLb0EdEEvPKT3_NS0_19TensorListAddressesEi
                                        ; -- End function
	.set _ZN2at6native14lpnorm_cleanupIfLNS0_8NormTypeE2EdLb0EdEEvPKT3_NS0_19TensorListAddressesEi.num_vgpr, 13
	.set _ZN2at6native14lpnorm_cleanupIfLNS0_8NormTypeE2EdLb0EdEEvPKT3_NS0_19TensorListAddressesEi.num_agpr, 0
	.set _ZN2at6native14lpnorm_cleanupIfLNS0_8NormTypeE2EdLb0EdEEvPKT3_NS0_19TensorListAddressesEi.numbered_sgpr, 16
	.set _ZN2at6native14lpnorm_cleanupIfLNS0_8NormTypeE2EdLb0EdEEvPKT3_NS0_19TensorListAddressesEi.num_named_barrier, 0
	.set _ZN2at6native14lpnorm_cleanupIfLNS0_8NormTypeE2EdLb0EdEEvPKT3_NS0_19TensorListAddressesEi.private_seg_size, 0
	.set _ZN2at6native14lpnorm_cleanupIfLNS0_8NormTypeE2EdLb0EdEEvPKT3_NS0_19TensorListAddressesEi.uses_vcc, 1
	.set _ZN2at6native14lpnorm_cleanupIfLNS0_8NormTypeE2EdLb0EdEEvPKT3_NS0_19TensorListAddressesEi.uses_flat_scratch, 0
	.set _ZN2at6native14lpnorm_cleanupIfLNS0_8NormTypeE2EdLb0EdEEvPKT3_NS0_19TensorListAddressesEi.has_dyn_sized_stack, 0
	.set _ZN2at6native14lpnorm_cleanupIfLNS0_8NormTypeE2EdLb0EdEEvPKT3_NS0_19TensorListAddressesEi.has_recursion, 0
	.set _ZN2at6native14lpnorm_cleanupIfLNS0_8NormTypeE2EdLb0EdEEvPKT3_NS0_19TensorListAddressesEi.has_indirect_call, 0
	.section	.AMDGPU.csdata,"",@progbits
; Kernel info:
; codeLenInByte = 812
; TotalNumSgprs: 22
; NumVgprs: 13
; NumAgprs: 0
; TotalNumVgprs: 13
; ScratchSize: 0
; MemoryBound: 0
; FloatMode: 240
; IeeeMode: 1
; LDSByteSize: 4096 bytes/workgroup (compile time only)
; SGPRBlocks: 2
; VGPRBlocks: 1
; NumSGPRsForWavesPerEU: 22
; NumVGPRsForWavesPerEU: 13
; AccumOffset: 16
; Occupancy: 8
; WaveLimiterHint : 0
; COMPUTE_PGM_RSRC2:SCRATCH_EN: 0
; COMPUTE_PGM_RSRC2:USER_SGPR: 2
; COMPUTE_PGM_RSRC2:TRAP_HANDLER: 0
; COMPUTE_PGM_RSRC2:TGID_X_EN: 1
; COMPUTE_PGM_RSRC2:TGID_Y_EN: 0
; COMPUTE_PGM_RSRC2:TGID_Z_EN: 0
; COMPUTE_PGM_RSRC2:TIDIG_COMP_CNT: 0
; COMPUTE_PGM_RSRC3_GFX90A:ACCUM_OFFSET: 3
; COMPUTE_PGM_RSRC3_GFX90A:TG_SPLIT: 0
	.section	.text._ZN2at6native14lpnorm_cleanupIfLNS0_8NormTypeE0EfLb0EfEEvPKT3_NS0_19TensorListAddressesEi,"axG",@progbits,_ZN2at6native14lpnorm_cleanupIfLNS0_8NormTypeE0EfLb0EfEEvPKT3_NS0_19TensorListAddressesEi,comdat
	.protected	_ZN2at6native14lpnorm_cleanupIfLNS0_8NormTypeE0EfLb0EfEEvPKT3_NS0_19TensorListAddressesEi ; -- Begin function _ZN2at6native14lpnorm_cleanupIfLNS0_8NormTypeE0EfLb0EfEEvPKT3_NS0_19TensorListAddressesEi
	.globl	_ZN2at6native14lpnorm_cleanupIfLNS0_8NormTypeE0EfLb0EfEEvPKT3_NS0_19TensorListAddressesEi
	.p2align	8
	.type	_ZN2at6native14lpnorm_cleanupIfLNS0_8NormTypeE0EfLb0EfEEvPKT3_NS0_19TensorListAddressesEi,@function
_ZN2at6native14lpnorm_cleanupIfLNS0_8NormTypeE0EfLb0EfEEvPKT3_NS0_19TensorListAddressesEi: ; @_ZN2at6native14lpnorm_cleanupIfLNS0_8NormTypeE0EfLb0EfEEvPKT3_NS0_19TensorListAddressesEi
; %bb.0:
	s_load_dword s6, s[0:1], 0xc88
	v_mov_b32_e32 v1, 0
	s_waitcnt lgkmcnt(0)
	v_cmp_gt_u32_e32 vcc, s6, v0
	s_and_saveexec_b64 s[4:5], vcc
	s_cbranch_execz .LBB163_4
; %bb.1:
	s_load_dwordx2 s[12:13], s[0:1], 0x0
	s_load_dword s3, s[0:1], 0xc9c
	s_mul_i32 s8, s6, s2
	s_mov_b32 s9, 0
	s_ashr_i32 s7, s6, 31
	s_lshl_b64 s[14:15], s[8:9], 2
	s_waitcnt lgkmcnt(0)
	s_and_b32 s10, s3, 0xffff
	v_mov_b32_e32 v1, 0
	s_add_u32 s12, s12, s14
	v_lshlrev_b32_e32 v2, 2, v0
	v_mov_b32_e32 v3, v1
	s_addc_u32 s13, s13, s15
	s_mov_b32 s11, s9
	v_lshl_add_u64 v[2:3], s[12:13], 0, v[2:3]
	s_lshl_b32 s8, s10, 2
	s_mov_b64 s[12:13], 0
	v_mov_b64_e32 v[4:5], v[0:1]
.LBB163_2:                              ; =>This Inner Loop Header: Depth=1
	global_load_dword v6, v[2:3], off
	v_lshl_add_u64 v[4:5], v[4:5], 0, s[10:11]
	v_cmp_le_u64_e32 vcc, s[6:7], v[4:5]
	v_lshl_add_u64 v[2:3], v[2:3], 0, s[8:9]
	s_or_b64 s[12:13], vcc, s[12:13]
	s_waitcnt vmcnt(0)
	v_add_f32_e32 v1, v1, v6
	s_andn2_b64 exec, exec, s[12:13]
	s_cbranch_execnz .LBB163_2
; %bb.3:
	s_or_b64 exec, exec, s[12:13]
.LBB163_4:
	s_or_b64 exec, exec, s[4:5]
	v_mbcnt_lo_u32_b32 v2, -1, 0
	v_mbcnt_hi_u32_b32 v6, -1, v2
	v_mov_b32_e32 v2, 0x80
	v_lshl_or_b32 v2, v6, 2, v2
	ds_bpermute_b32 v3, v2, v1
	v_and_b32_e32 v7, 63, v6
	v_cmp_gt_u32_e32 vcc, 48, v7
	s_waitcnt lgkmcnt(0)
	s_barrier
	v_cndmask_b32_e64 v4, 0, 16, vcc
	v_add_f32_e32 v5, v1, v3
	v_add_lshl_u32 v1, v4, v6, 2
	ds_bpermute_b32 v4, v1, v5
	v_cmp_gt_u32_e32 vcc, 56, v7
	s_waitcnt lgkmcnt(0)
	v_add_f32_e32 v5, v5, v4
	v_cndmask_b32_e64 v3, 0, 8, vcc
	v_add_lshl_u32 v3, v3, v6, 2
	ds_bpermute_b32 v8, v3, v5
	v_cmp_gt_u32_e32 vcc, 60, v7
	s_waitcnt lgkmcnt(0)
	v_add_f32_e32 v8, v5, v8
	v_cndmask_b32_e64 v4, 0, 4, vcc
	;; [unrolled: 6-line block ×3, first 2 shown]
	v_add_lshl_u32 v5, v5, v6, 2
	ds_bpermute_b32 v10, v5, v9
	v_cmp_ne_u32_e32 vcc, 63, v7
	v_and_b32_e32 v8, 63, v0
	s_waitcnt lgkmcnt(0)
	v_add_f32_e32 v7, v9, v10
	v_addc_co_u32_e32 v6, vcc, 0, v6, vcc
	v_lshlrev_b32_e32 v6, 2, v6
	ds_bpermute_b32 v9, v6, v7
	v_cmp_eq_u32_e32 vcc, 0, v8
	s_and_saveexec_b64 s[4:5], vcc
	s_cbranch_execz .LBB163_6
; %bb.5:
	s_waitcnt lgkmcnt(0)
	v_add_f32_e32 v7, v7, v9
	v_lshrrev_b32_e32 v9, 4, v0
	ds_write_b32 v9, v7
.LBB163_6:
	s_or_b64 exec, exec, s[4:5]
	s_waitcnt lgkmcnt(0)
	s_barrier
	s_load_dword s3, s[0:1], 0xc9c
	v_mov_b32_e32 v7, 0
	s_waitcnt lgkmcnt(0)
	s_bfe_u32 s3, s3, 0xa0006
	v_cmp_gt_u32_e32 vcc, s3, v0
	s_and_saveexec_b64 s[4:5], vcc
; %bb.7:
	v_lshlrev_b32_e32 v7, 2, v8
	ds_read_b32 v7, v7
; %bb.8:
	s_or_b64 exec, exec, s[4:5]
	v_cmp_gt_u32_e32 vcc, 64, v0
	s_and_saveexec_b64 s[4:5], vcc
	s_cbranch_execz .LBB163_10
; %bb.9:
	s_waitcnt lgkmcnt(0)
	ds_bpermute_b32 v2, v2, v7
	s_waitcnt lgkmcnt(0)
	v_add_f32_e32 v2, v7, v2
	ds_bpermute_b32 v1, v1, v2
	s_waitcnt lgkmcnt(0)
	v_add_f32_e32 v1, v2, v1
	;; [unrolled: 3-line block ×6, first 2 shown]
.LBB163_10:
	s_or_b64 exec, exec, s[4:5]
	s_mov_b32 s3, 0
	v_cmp_eq_u32_e32 vcc, 0, v0
	s_and_saveexec_b64 s[4:5], vcc
	s_cbranch_execz .LBB163_12
; %bb.11:
	s_lshl_b64 s[2:3], s[2:3], 3
	s_add_u32 s0, s0, s2
	s_addc_u32 s1, s1, s3
	s_load_dwordx2 s[0:1], s[0:1], 0x8
	v_mov_b32_e32 v0, 0
	s_waitcnt lgkmcnt(0)
	global_store_dword v0, v7, s[0:1]
.LBB163_12:
	s_endpgm
	.section	.rodata,"a",@progbits
	.p2align	6, 0x0
	.amdhsa_kernel _ZN2at6native14lpnorm_cleanupIfLNS0_8NormTypeE0EfLb0EfEEvPKT3_NS0_19TensorListAddressesEi
		.amdhsa_group_segment_fixed_size 2048
		.amdhsa_private_segment_fixed_size 0
		.amdhsa_kernarg_size 3472
		.amdhsa_user_sgpr_count 2
		.amdhsa_user_sgpr_dispatch_ptr 0
		.amdhsa_user_sgpr_queue_ptr 0
		.amdhsa_user_sgpr_kernarg_segment_ptr 1
		.amdhsa_user_sgpr_dispatch_id 0
		.amdhsa_user_sgpr_kernarg_preload_length 0
		.amdhsa_user_sgpr_kernarg_preload_offset 0
		.amdhsa_user_sgpr_private_segment_size 0
		.amdhsa_uses_dynamic_stack 0
		.amdhsa_enable_private_segment 0
		.amdhsa_system_sgpr_workgroup_id_x 1
		.amdhsa_system_sgpr_workgroup_id_y 0
		.amdhsa_system_sgpr_workgroup_id_z 0
		.amdhsa_system_sgpr_workgroup_info 0
		.amdhsa_system_vgpr_workitem_id 0
		.amdhsa_next_free_vgpr 11
		.amdhsa_next_free_sgpr 16
		.amdhsa_accum_offset 12
		.amdhsa_reserve_vcc 1
		.amdhsa_float_round_mode_32 0
		.amdhsa_float_round_mode_16_64 0
		.amdhsa_float_denorm_mode_32 3
		.amdhsa_float_denorm_mode_16_64 3
		.amdhsa_dx10_clamp 1
		.amdhsa_ieee_mode 1
		.amdhsa_fp16_overflow 0
		.amdhsa_tg_split 0
		.amdhsa_exception_fp_ieee_invalid_op 0
		.amdhsa_exception_fp_denorm_src 0
		.amdhsa_exception_fp_ieee_div_zero 0
		.amdhsa_exception_fp_ieee_overflow 0
		.amdhsa_exception_fp_ieee_underflow 0
		.amdhsa_exception_fp_ieee_inexact 0
		.amdhsa_exception_int_div_zero 0
	.end_amdhsa_kernel
	.section	.text._ZN2at6native14lpnorm_cleanupIfLNS0_8NormTypeE0EfLb0EfEEvPKT3_NS0_19TensorListAddressesEi,"axG",@progbits,_ZN2at6native14lpnorm_cleanupIfLNS0_8NormTypeE0EfLb0EfEEvPKT3_NS0_19TensorListAddressesEi,comdat
.Lfunc_end163:
	.size	_ZN2at6native14lpnorm_cleanupIfLNS0_8NormTypeE0EfLb0EfEEvPKT3_NS0_19TensorListAddressesEi, .Lfunc_end163-_ZN2at6native14lpnorm_cleanupIfLNS0_8NormTypeE0EfLb0EfEEvPKT3_NS0_19TensorListAddressesEi
                                        ; -- End function
	.set _ZN2at6native14lpnorm_cleanupIfLNS0_8NormTypeE0EfLb0EfEEvPKT3_NS0_19TensorListAddressesEi.num_vgpr, 11
	.set _ZN2at6native14lpnorm_cleanupIfLNS0_8NormTypeE0EfLb0EfEEvPKT3_NS0_19TensorListAddressesEi.num_agpr, 0
	.set _ZN2at6native14lpnorm_cleanupIfLNS0_8NormTypeE0EfLb0EfEEvPKT3_NS0_19TensorListAddressesEi.numbered_sgpr, 16
	.set _ZN2at6native14lpnorm_cleanupIfLNS0_8NormTypeE0EfLb0EfEEvPKT3_NS0_19TensorListAddressesEi.num_named_barrier, 0
	.set _ZN2at6native14lpnorm_cleanupIfLNS0_8NormTypeE0EfLb0EfEEvPKT3_NS0_19TensorListAddressesEi.private_seg_size, 0
	.set _ZN2at6native14lpnorm_cleanupIfLNS0_8NormTypeE0EfLb0EfEEvPKT3_NS0_19TensorListAddressesEi.uses_vcc, 1
	.set _ZN2at6native14lpnorm_cleanupIfLNS0_8NormTypeE0EfLb0EfEEvPKT3_NS0_19TensorListAddressesEi.uses_flat_scratch, 0
	.set _ZN2at6native14lpnorm_cleanupIfLNS0_8NormTypeE0EfLb0EfEEvPKT3_NS0_19TensorListAddressesEi.has_dyn_sized_stack, 0
	.set _ZN2at6native14lpnorm_cleanupIfLNS0_8NormTypeE0EfLb0EfEEvPKT3_NS0_19TensorListAddressesEi.has_recursion, 0
	.set _ZN2at6native14lpnorm_cleanupIfLNS0_8NormTypeE0EfLb0EfEEvPKT3_NS0_19TensorListAddressesEi.has_indirect_call, 0
	.section	.AMDGPU.csdata,"",@progbits
; Kernel info:
; codeLenInByte = 660
; TotalNumSgprs: 22
; NumVgprs: 11
; NumAgprs: 0
; TotalNumVgprs: 11
; ScratchSize: 0
; MemoryBound: 0
; FloatMode: 240
; IeeeMode: 1
; LDSByteSize: 2048 bytes/workgroup (compile time only)
; SGPRBlocks: 2
; VGPRBlocks: 1
; NumSGPRsForWavesPerEU: 22
; NumVGPRsForWavesPerEU: 11
; AccumOffset: 12
; Occupancy: 8
; WaveLimiterHint : 0
; COMPUTE_PGM_RSRC2:SCRATCH_EN: 0
; COMPUTE_PGM_RSRC2:USER_SGPR: 2
; COMPUTE_PGM_RSRC2:TRAP_HANDLER: 0
; COMPUTE_PGM_RSRC2:TGID_X_EN: 1
; COMPUTE_PGM_RSRC2:TGID_Y_EN: 0
; COMPUTE_PGM_RSRC2:TGID_Z_EN: 0
; COMPUTE_PGM_RSRC2:TIDIG_COMP_CNT: 0
; COMPUTE_PGM_RSRC3_GFX90A:ACCUM_OFFSET: 2
; COMPUTE_PGM_RSRC3_GFX90A:TG_SPLIT: 0
	.section	.text._ZN2at6native14lpnorm_cleanupIfLNS0_8NormTypeE1EfLb0EfEEvPKT3_NS0_19TensorListAddressesEi,"axG",@progbits,_ZN2at6native14lpnorm_cleanupIfLNS0_8NormTypeE1EfLb0EfEEvPKT3_NS0_19TensorListAddressesEi,comdat
	.protected	_ZN2at6native14lpnorm_cleanupIfLNS0_8NormTypeE1EfLb0EfEEvPKT3_NS0_19TensorListAddressesEi ; -- Begin function _ZN2at6native14lpnorm_cleanupIfLNS0_8NormTypeE1EfLb0EfEEvPKT3_NS0_19TensorListAddressesEi
	.globl	_ZN2at6native14lpnorm_cleanupIfLNS0_8NormTypeE1EfLb0EfEEvPKT3_NS0_19TensorListAddressesEi
	.p2align	8
	.type	_ZN2at6native14lpnorm_cleanupIfLNS0_8NormTypeE1EfLb0EfEEvPKT3_NS0_19TensorListAddressesEi,@function
_ZN2at6native14lpnorm_cleanupIfLNS0_8NormTypeE1EfLb0EfEEvPKT3_NS0_19TensorListAddressesEi: ; @_ZN2at6native14lpnorm_cleanupIfLNS0_8NormTypeE1EfLb0EfEEvPKT3_NS0_19TensorListAddressesEi
; %bb.0:
	s_load_dword s6, s[0:1], 0xc88
	v_mov_b32_e32 v1, 0
	s_waitcnt lgkmcnt(0)
	v_cmp_gt_u32_e32 vcc, s6, v0
	s_and_saveexec_b64 s[4:5], vcc
	s_cbranch_execz .LBB164_4
; %bb.1:
	s_load_dwordx2 s[12:13], s[0:1], 0x0
	s_load_dword s3, s[0:1], 0xc9c
	s_mul_i32 s8, s6, s2
	s_mov_b32 s9, 0
	s_ashr_i32 s7, s6, 31
	s_lshl_b64 s[14:15], s[8:9], 2
	s_waitcnt lgkmcnt(0)
	s_and_b32 s10, s3, 0xffff
	v_mov_b32_e32 v1, 0
	s_add_u32 s12, s12, s14
	v_lshlrev_b32_e32 v2, 2, v0
	v_mov_b32_e32 v3, v1
	s_addc_u32 s13, s13, s15
	s_mov_b32 s11, s9
	v_lshl_add_u64 v[2:3], s[12:13], 0, v[2:3]
	s_lshl_b32 s8, s10, 2
	s_mov_b64 s[12:13], 0
	v_mov_b64_e32 v[4:5], v[0:1]
.LBB164_2:                              ; =>This Inner Loop Header: Depth=1
	global_load_dword v6, v[2:3], off
	v_lshl_add_u64 v[4:5], v[4:5], 0, s[10:11]
	v_cmp_le_u64_e32 vcc, s[6:7], v[4:5]
	v_lshl_add_u64 v[2:3], v[2:3], 0, s[8:9]
	s_or_b64 s[12:13], vcc, s[12:13]
	s_waitcnt vmcnt(0)
	v_add_f32_e32 v1, v1, v6
	s_andn2_b64 exec, exec, s[12:13]
	s_cbranch_execnz .LBB164_2
; %bb.3:
	s_or_b64 exec, exec, s[12:13]
.LBB164_4:
	s_or_b64 exec, exec, s[4:5]
	v_mbcnt_lo_u32_b32 v2, -1, 0
	v_mbcnt_hi_u32_b32 v6, -1, v2
	v_mov_b32_e32 v2, 0x80
	v_lshl_or_b32 v2, v6, 2, v2
	ds_bpermute_b32 v3, v2, v1
	v_and_b32_e32 v7, 63, v6
	v_cmp_gt_u32_e32 vcc, 48, v7
	s_waitcnt lgkmcnt(0)
	s_barrier
	v_cndmask_b32_e64 v4, 0, 16, vcc
	v_add_f32_e32 v5, v1, v3
	v_add_lshl_u32 v1, v4, v6, 2
	ds_bpermute_b32 v4, v1, v5
	v_cmp_gt_u32_e32 vcc, 56, v7
	s_waitcnt lgkmcnt(0)
	v_add_f32_e32 v5, v5, v4
	v_cndmask_b32_e64 v3, 0, 8, vcc
	v_add_lshl_u32 v3, v3, v6, 2
	ds_bpermute_b32 v8, v3, v5
	v_cmp_gt_u32_e32 vcc, 60, v7
	s_waitcnt lgkmcnt(0)
	v_add_f32_e32 v8, v5, v8
	v_cndmask_b32_e64 v4, 0, 4, vcc
	v_add_lshl_u32 v4, v4, v6, 2
	ds_bpermute_b32 v9, v4, v8
	v_cmp_gt_u32_e32 vcc, 62, v7
	s_waitcnt lgkmcnt(0)
	v_add_f32_e32 v9, v8, v9
	v_cndmask_b32_e64 v5, 0, 2, vcc
	v_add_lshl_u32 v5, v5, v6, 2
	ds_bpermute_b32 v10, v5, v9
	v_cmp_ne_u32_e32 vcc, 63, v7
	v_and_b32_e32 v8, 63, v0
	s_waitcnt lgkmcnt(0)
	v_add_f32_e32 v7, v9, v10
	v_addc_co_u32_e32 v6, vcc, 0, v6, vcc
	v_lshlrev_b32_e32 v6, 2, v6
	ds_bpermute_b32 v9, v6, v7
	v_cmp_eq_u32_e32 vcc, 0, v8
	s_and_saveexec_b64 s[4:5], vcc
	s_cbranch_execz .LBB164_6
; %bb.5:
	s_waitcnt lgkmcnt(0)
	v_add_f32_e32 v7, v7, v9
	v_lshrrev_b32_e32 v9, 4, v0
	ds_write_b32 v9, v7
.LBB164_6:
	s_or_b64 exec, exec, s[4:5]
	s_waitcnt lgkmcnt(0)
	s_barrier
	s_load_dword s3, s[0:1], 0xc9c
	v_mov_b32_e32 v7, 0
	s_waitcnt lgkmcnt(0)
	s_bfe_u32 s3, s3, 0xa0006
	v_cmp_gt_u32_e32 vcc, s3, v0
	s_and_saveexec_b64 s[4:5], vcc
; %bb.7:
	v_lshlrev_b32_e32 v7, 2, v8
	ds_read_b32 v7, v7
; %bb.8:
	s_or_b64 exec, exec, s[4:5]
	v_cmp_gt_u32_e32 vcc, 64, v0
	s_and_saveexec_b64 s[4:5], vcc
	s_cbranch_execz .LBB164_10
; %bb.9:
	s_waitcnt lgkmcnt(0)
	ds_bpermute_b32 v2, v2, v7
	s_waitcnt lgkmcnt(0)
	v_add_f32_e32 v2, v7, v2
	ds_bpermute_b32 v1, v1, v2
	s_waitcnt lgkmcnt(0)
	v_add_f32_e32 v1, v2, v1
	;; [unrolled: 3-line block ×6, first 2 shown]
.LBB164_10:
	s_or_b64 exec, exec, s[4:5]
	s_mov_b32 s3, 0
	v_cmp_eq_u32_e32 vcc, 0, v0
	s_and_saveexec_b64 s[4:5], vcc
	s_cbranch_execz .LBB164_12
; %bb.11:
	s_lshl_b64 s[2:3], s[2:3], 3
	s_add_u32 s0, s0, s2
	s_addc_u32 s1, s1, s3
	s_load_dwordx2 s[0:1], s[0:1], 0x8
	v_mov_b32_e32 v0, 0
	s_waitcnt lgkmcnt(0)
	global_store_dword v0, v7, s[0:1]
.LBB164_12:
	s_endpgm
	.section	.rodata,"a",@progbits
	.p2align	6, 0x0
	.amdhsa_kernel _ZN2at6native14lpnorm_cleanupIfLNS0_8NormTypeE1EfLb0EfEEvPKT3_NS0_19TensorListAddressesEi
		.amdhsa_group_segment_fixed_size 2048
		.amdhsa_private_segment_fixed_size 0
		.amdhsa_kernarg_size 3472
		.amdhsa_user_sgpr_count 2
		.amdhsa_user_sgpr_dispatch_ptr 0
		.amdhsa_user_sgpr_queue_ptr 0
		.amdhsa_user_sgpr_kernarg_segment_ptr 1
		.amdhsa_user_sgpr_dispatch_id 0
		.amdhsa_user_sgpr_kernarg_preload_length 0
		.amdhsa_user_sgpr_kernarg_preload_offset 0
		.amdhsa_user_sgpr_private_segment_size 0
		.amdhsa_uses_dynamic_stack 0
		.amdhsa_enable_private_segment 0
		.amdhsa_system_sgpr_workgroup_id_x 1
		.amdhsa_system_sgpr_workgroup_id_y 0
		.amdhsa_system_sgpr_workgroup_id_z 0
		.amdhsa_system_sgpr_workgroup_info 0
		.amdhsa_system_vgpr_workitem_id 0
		.amdhsa_next_free_vgpr 11
		.amdhsa_next_free_sgpr 16
		.amdhsa_accum_offset 12
		.amdhsa_reserve_vcc 1
		.amdhsa_float_round_mode_32 0
		.amdhsa_float_round_mode_16_64 0
		.amdhsa_float_denorm_mode_32 3
		.amdhsa_float_denorm_mode_16_64 3
		.amdhsa_dx10_clamp 1
		.amdhsa_ieee_mode 1
		.amdhsa_fp16_overflow 0
		.amdhsa_tg_split 0
		.amdhsa_exception_fp_ieee_invalid_op 0
		.amdhsa_exception_fp_denorm_src 0
		.amdhsa_exception_fp_ieee_div_zero 0
		.amdhsa_exception_fp_ieee_overflow 0
		.amdhsa_exception_fp_ieee_underflow 0
		.amdhsa_exception_fp_ieee_inexact 0
		.amdhsa_exception_int_div_zero 0
	.end_amdhsa_kernel
	.section	.text._ZN2at6native14lpnorm_cleanupIfLNS0_8NormTypeE1EfLb0EfEEvPKT3_NS0_19TensorListAddressesEi,"axG",@progbits,_ZN2at6native14lpnorm_cleanupIfLNS0_8NormTypeE1EfLb0EfEEvPKT3_NS0_19TensorListAddressesEi,comdat
.Lfunc_end164:
	.size	_ZN2at6native14lpnorm_cleanupIfLNS0_8NormTypeE1EfLb0EfEEvPKT3_NS0_19TensorListAddressesEi, .Lfunc_end164-_ZN2at6native14lpnorm_cleanupIfLNS0_8NormTypeE1EfLb0EfEEvPKT3_NS0_19TensorListAddressesEi
                                        ; -- End function
	.set _ZN2at6native14lpnorm_cleanupIfLNS0_8NormTypeE1EfLb0EfEEvPKT3_NS0_19TensorListAddressesEi.num_vgpr, 11
	.set _ZN2at6native14lpnorm_cleanupIfLNS0_8NormTypeE1EfLb0EfEEvPKT3_NS0_19TensorListAddressesEi.num_agpr, 0
	.set _ZN2at6native14lpnorm_cleanupIfLNS0_8NormTypeE1EfLb0EfEEvPKT3_NS0_19TensorListAddressesEi.numbered_sgpr, 16
	.set _ZN2at6native14lpnorm_cleanupIfLNS0_8NormTypeE1EfLb0EfEEvPKT3_NS0_19TensorListAddressesEi.num_named_barrier, 0
	.set _ZN2at6native14lpnorm_cleanupIfLNS0_8NormTypeE1EfLb0EfEEvPKT3_NS0_19TensorListAddressesEi.private_seg_size, 0
	.set _ZN2at6native14lpnorm_cleanupIfLNS0_8NormTypeE1EfLb0EfEEvPKT3_NS0_19TensorListAddressesEi.uses_vcc, 1
	.set _ZN2at6native14lpnorm_cleanupIfLNS0_8NormTypeE1EfLb0EfEEvPKT3_NS0_19TensorListAddressesEi.uses_flat_scratch, 0
	.set _ZN2at6native14lpnorm_cleanupIfLNS0_8NormTypeE1EfLb0EfEEvPKT3_NS0_19TensorListAddressesEi.has_dyn_sized_stack, 0
	.set _ZN2at6native14lpnorm_cleanupIfLNS0_8NormTypeE1EfLb0EfEEvPKT3_NS0_19TensorListAddressesEi.has_recursion, 0
	.set _ZN2at6native14lpnorm_cleanupIfLNS0_8NormTypeE1EfLb0EfEEvPKT3_NS0_19TensorListAddressesEi.has_indirect_call, 0
	.section	.AMDGPU.csdata,"",@progbits
; Kernel info:
; codeLenInByte = 660
; TotalNumSgprs: 22
; NumVgprs: 11
; NumAgprs: 0
; TotalNumVgprs: 11
; ScratchSize: 0
; MemoryBound: 0
; FloatMode: 240
; IeeeMode: 1
; LDSByteSize: 2048 bytes/workgroup (compile time only)
; SGPRBlocks: 2
; VGPRBlocks: 1
; NumSGPRsForWavesPerEU: 22
; NumVGPRsForWavesPerEU: 11
; AccumOffset: 12
; Occupancy: 8
; WaveLimiterHint : 0
; COMPUTE_PGM_RSRC2:SCRATCH_EN: 0
; COMPUTE_PGM_RSRC2:USER_SGPR: 2
; COMPUTE_PGM_RSRC2:TRAP_HANDLER: 0
; COMPUTE_PGM_RSRC2:TGID_X_EN: 1
; COMPUTE_PGM_RSRC2:TGID_Y_EN: 0
; COMPUTE_PGM_RSRC2:TGID_Z_EN: 0
; COMPUTE_PGM_RSRC2:TIDIG_COMP_CNT: 0
; COMPUTE_PGM_RSRC3_GFX90A:ACCUM_OFFSET: 2
; COMPUTE_PGM_RSRC3_GFX90A:TG_SPLIT: 0
	.section	.text._ZN2at6native14lpnorm_cleanupIfLNS0_8NormTypeE2EfLb0EfEEvPKT3_NS0_19TensorListAddressesEi,"axG",@progbits,_ZN2at6native14lpnorm_cleanupIfLNS0_8NormTypeE2EfLb0EfEEvPKT3_NS0_19TensorListAddressesEi,comdat
	.protected	_ZN2at6native14lpnorm_cleanupIfLNS0_8NormTypeE2EfLb0EfEEvPKT3_NS0_19TensorListAddressesEi ; -- Begin function _ZN2at6native14lpnorm_cleanupIfLNS0_8NormTypeE2EfLb0EfEEvPKT3_NS0_19TensorListAddressesEi
	.globl	_ZN2at6native14lpnorm_cleanupIfLNS0_8NormTypeE2EfLb0EfEEvPKT3_NS0_19TensorListAddressesEi
	.p2align	8
	.type	_ZN2at6native14lpnorm_cleanupIfLNS0_8NormTypeE2EfLb0EfEEvPKT3_NS0_19TensorListAddressesEi,@function
_ZN2at6native14lpnorm_cleanupIfLNS0_8NormTypeE2EfLb0EfEEvPKT3_NS0_19TensorListAddressesEi: ; @_ZN2at6native14lpnorm_cleanupIfLNS0_8NormTypeE2EfLb0EfEEvPKT3_NS0_19TensorListAddressesEi
; %bb.0:
	s_load_dword s6, s[0:1], 0xc88
	v_mov_b32_e32 v1, 0
	s_waitcnt lgkmcnt(0)
	v_cmp_gt_u32_e32 vcc, s6, v0
	s_and_saveexec_b64 s[4:5], vcc
	s_cbranch_execz .LBB165_4
; %bb.1:
	s_load_dwordx2 s[12:13], s[0:1], 0x0
	s_load_dword s3, s[0:1], 0xc9c
	s_mul_i32 s8, s6, s2
	s_mov_b32 s9, 0
	s_ashr_i32 s7, s6, 31
	s_lshl_b64 s[14:15], s[8:9], 2
	s_waitcnt lgkmcnt(0)
	s_and_b32 s10, s3, 0xffff
	v_mov_b32_e32 v1, 0
	s_add_u32 s12, s12, s14
	v_lshlrev_b32_e32 v2, 2, v0
	v_mov_b32_e32 v3, v1
	s_addc_u32 s13, s13, s15
	s_mov_b32 s11, s9
	v_lshl_add_u64 v[2:3], s[12:13], 0, v[2:3]
	s_lshl_b32 s8, s10, 2
	s_mov_b64 s[12:13], 0
	v_mov_b64_e32 v[4:5], v[0:1]
.LBB165_2:                              ; =>This Inner Loop Header: Depth=1
	global_load_dword v6, v[2:3], off
	v_lshl_add_u64 v[4:5], v[4:5], 0, s[10:11]
	v_cmp_le_u64_e32 vcc, s[6:7], v[4:5]
	v_lshl_add_u64 v[2:3], v[2:3], 0, s[8:9]
	s_or_b64 s[12:13], vcc, s[12:13]
	s_waitcnt vmcnt(0)
	v_add_f32_e32 v1, v1, v6
	s_andn2_b64 exec, exec, s[12:13]
	s_cbranch_execnz .LBB165_2
; %bb.3:
	s_or_b64 exec, exec, s[12:13]
.LBB165_4:
	s_or_b64 exec, exec, s[4:5]
	v_mbcnt_lo_u32_b32 v2, -1, 0
	v_mbcnt_hi_u32_b32 v6, -1, v2
	v_mov_b32_e32 v2, 0x80
	v_lshl_or_b32 v2, v6, 2, v2
	ds_bpermute_b32 v3, v2, v1
	v_and_b32_e32 v7, 63, v6
	v_cmp_gt_u32_e32 vcc, 48, v7
	s_waitcnt lgkmcnt(0)
	s_barrier
	v_cndmask_b32_e64 v4, 0, 16, vcc
	v_add_f32_e32 v5, v1, v3
	v_add_lshl_u32 v1, v4, v6, 2
	ds_bpermute_b32 v4, v1, v5
	v_cmp_gt_u32_e32 vcc, 56, v7
	s_waitcnt lgkmcnt(0)
	v_add_f32_e32 v5, v5, v4
	v_cndmask_b32_e64 v3, 0, 8, vcc
	v_add_lshl_u32 v3, v3, v6, 2
	ds_bpermute_b32 v8, v3, v5
	v_cmp_gt_u32_e32 vcc, 60, v7
	s_waitcnt lgkmcnt(0)
	v_add_f32_e32 v8, v5, v8
	v_cndmask_b32_e64 v4, 0, 4, vcc
	;; [unrolled: 6-line block ×3, first 2 shown]
	v_add_lshl_u32 v5, v5, v6, 2
	ds_bpermute_b32 v10, v5, v9
	v_cmp_ne_u32_e32 vcc, 63, v7
	v_and_b32_e32 v8, 63, v0
	s_waitcnt lgkmcnt(0)
	v_add_f32_e32 v7, v9, v10
	v_addc_co_u32_e32 v6, vcc, 0, v6, vcc
	v_lshlrev_b32_e32 v6, 2, v6
	ds_bpermute_b32 v9, v6, v7
	v_cmp_eq_u32_e32 vcc, 0, v8
	s_and_saveexec_b64 s[4:5], vcc
	s_cbranch_execz .LBB165_6
; %bb.5:
	s_waitcnt lgkmcnt(0)
	v_add_f32_e32 v7, v7, v9
	v_lshrrev_b32_e32 v9, 4, v0
	ds_write_b32 v9, v7
.LBB165_6:
	s_or_b64 exec, exec, s[4:5]
	s_waitcnt lgkmcnt(0)
	s_barrier
	s_load_dword s3, s[0:1], 0xc9c
	v_mov_b32_e32 v7, 0
	s_waitcnt lgkmcnt(0)
	s_bfe_u32 s3, s3, 0xa0006
	v_cmp_gt_u32_e32 vcc, s3, v0
	s_and_saveexec_b64 s[4:5], vcc
; %bb.7:
	v_lshlrev_b32_e32 v7, 2, v8
	ds_read_b32 v7, v7
; %bb.8:
	s_or_b64 exec, exec, s[4:5]
	v_cmp_gt_u32_e32 vcc, 64, v0
	s_and_saveexec_b64 s[4:5], vcc
	s_cbranch_execz .LBB165_10
; %bb.9:
	s_waitcnt lgkmcnt(0)
	ds_bpermute_b32 v2, v2, v7
	s_waitcnt lgkmcnt(0)
	v_add_f32_e32 v2, v7, v2
	ds_bpermute_b32 v1, v1, v2
	s_waitcnt lgkmcnt(0)
	v_add_f32_e32 v1, v2, v1
	;; [unrolled: 3-line block ×6, first 2 shown]
.LBB165_10:
	s_or_b64 exec, exec, s[4:5]
	s_mov_b32 s3, 0
	v_cmp_eq_u32_e32 vcc, 0, v0
	s_and_saveexec_b64 s[4:5], vcc
	s_cbranch_execz .LBB165_12
; %bb.11:
	s_lshl_b64 s[2:3], s[2:3], 3
	s_add_u32 s0, s0, s2
	s_addc_u32 s1, s1, s3
	s_load_dwordx2 s[0:1], s[0:1], 0x8
	v_mov_b32_e32 v0, 0
	s_waitcnt lgkmcnt(0)
	global_store_dword v0, v7, s[0:1]
.LBB165_12:
	s_endpgm
	.section	.rodata,"a",@progbits
	.p2align	6, 0x0
	.amdhsa_kernel _ZN2at6native14lpnorm_cleanupIfLNS0_8NormTypeE2EfLb0EfEEvPKT3_NS0_19TensorListAddressesEi
		.amdhsa_group_segment_fixed_size 2048
		.amdhsa_private_segment_fixed_size 0
		.amdhsa_kernarg_size 3472
		.amdhsa_user_sgpr_count 2
		.amdhsa_user_sgpr_dispatch_ptr 0
		.amdhsa_user_sgpr_queue_ptr 0
		.amdhsa_user_sgpr_kernarg_segment_ptr 1
		.amdhsa_user_sgpr_dispatch_id 0
		.amdhsa_user_sgpr_kernarg_preload_length 0
		.amdhsa_user_sgpr_kernarg_preload_offset 0
		.amdhsa_user_sgpr_private_segment_size 0
		.amdhsa_uses_dynamic_stack 0
		.amdhsa_enable_private_segment 0
		.amdhsa_system_sgpr_workgroup_id_x 1
		.amdhsa_system_sgpr_workgroup_id_y 0
		.amdhsa_system_sgpr_workgroup_id_z 0
		.amdhsa_system_sgpr_workgroup_info 0
		.amdhsa_system_vgpr_workitem_id 0
		.amdhsa_next_free_vgpr 11
		.amdhsa_next_free_sgpr 16
		.amdhsa_accum_offset 12
		.amdhsa_reserve_vcc 1
		.amdhsa_float_round_mode_32 0
		.amdhsa_float_round_mode_16_64 0
		.amdhsa_float_denorm_mode_32 3
		.amdhsa_float_denorm_mode_16_64 3
		.amdhsa_dx10_clamp 1
		.amdhsa_ieee_mode 1
		.amdhsa_fp16_overflow 0
		.amdhsa_tg_split 0
		.amdhsa_exception_fp_ieee_invalid_op 0
		.amdhsa_exception_fp_denorm_src 0
		.amdhsa_exception_fp_ieee_div_zero 0
		.amdhsa_exception_fp_ieee_overflow 0
		.amdhsa_exception_fp_ieee_underflow 0
		.amdhsa_exception_fp_ieee_inexact 0
		.amdhsa_exception_int_div_zero 0
	.end_amdhsa_kernel
	.section	.text._ZN2at6native14lpnorm_cleanupIfLNS0_8NormTypeE2EfLb0EfEEvPKT3_NS0_19TensorListAddressesEi,"axG",@progbits,_ZN2at6native14lpnorm_cleanupIfLNS0_8NormTypeE2EfLb0EfEEvPKT3_NS0_19TensorListAddressesEi,comdat
.Lfunc_end165:
	.size	_ZN2at6native14lpnorm_cleanupIfLNS0_8NormTypeE2EfLb0EfEEvPKT3_NS0_19TensorListAddressesEi, .Lfunc_end165-_ZN2at6native14lpnorm_cleanupIfLNS0_8NormTypeE2EfLb0EfEEvPKT3_NS0_19TensorListAddressesEi
                                        ; -- End function
	.set _ZN2at6native14lpnorm_cleanupIfLNS0_8NormTypeE2EfLb0EfEEvPKT3_NS0_19TensorListAddressesEi.num_vgpr, 11
	.set _ZN2at6native14lpnorm_cleanupIfLNS0_8NormTypeE2EfLb0EfEEvPKT3_NS0_19TensorListAddressesEi.num_agpr, 0
	.set _ZN2at6native14lpnorm_cleanupIfLNS0_8NormTypeE2EfLb0EfEEvPKT3_NS0_19TensorListAddressesEi.numbered_sgpr, 16
	.set _ZN2at6native14lpnorm_cleanupIfLNS0_8NormTypeE2EfLb0EfEEvPKT3_NS0_19TensorListAddressesEi.num_named_barrier, 0
	.set _ZN2at6native14lpnorm_cleanupIfLNS0_8NormTypeE2EfLb0EfEEvPKT3_NS0_19TensorListAddressesEi.private_seg_size, 0
	.set _ZN2at6native14lpnorm_cleanupIfLNS0_8NormTypeE2EfLb0EfEEvPKT3_NS0_19TensorListAddressesEi.uses_vcc, 1
	.set _ZN2at6native14lpnorm_cleanupIfLNS0_8NormTypeE2EfLb0EfEEvPKT3_NS0_19TensorListAddressesEi.uses_flat_scratch, 0
	.set _ZN2at6native14lpnorm_cleanupIfLNS0_8NormTypeE2EfLb0EfEEvPKT3_NS0_19TensorListAddressesEi.has_dyn_sized_stack, 0
	.set _ZN2at6native14lpnorm_cleanupIfLNS0_8NormTypeE2EfLb0EfEEvPKT3_NS0_19TensorListAddressesEi.has_recursion, 0
	.set _ZN2at6native14lpnorm_cleanupIfLNS0_8NormTypeE2EfLb0EfEEvPKT3_NS0_19TensorListAddressesEi.has_indirect_call, 0
	.section	.AMDGPU.csdata,"",@progbits
; Kernel info:
; codeLenInByte = 660
; TotalNumSgprs: 22
; NumVgprs: 11
; NumAgprs: 0
; TotalNumVgprs: 11
; ScratchSize: 0
; MemoryBound: 0
; FloatMode: 240
; IeeeMode: 1
; LDSByteSize: 2048 bytes/workgroup (compile time only)
; SGPRBlocks: 2
; VGPRBlocks: 1
; NumSGPRsForWavesPerEU: 22
; NumVGPRsForWavesPerEU: 11
; AccumOffset: 12
; Occupancy: 8
; WaveLimiterHint : 0
; COMPUTE_PGM_RSRC2:SCRATCH_EN: 0
; COMPUTE_PGM_RSRC2:USER_SGPR: 2
; COMPUTE_PGM_RSRC2:TRAP_HANDLER: 0
; COMPUTE_PGM_RSRC2:TGID_X_EN: 1
; COMPUTE_PGM_RSRC2:TGID_Y_EN: 0
; COMPUTE_PGM_RSRC2:TGID_Z_EN: 0
; COMPUTE_PGM_RSRC2:TIDIG_COMP_CNT: 0
; COMPUTE_PGM_RSRC3_GFX90A:ACCUM_OFFSET: 2
; COMPUTE_PGM_RSRC3_GFX90A:TG_SPLIT: 0
	.section	.text._ZN2at6native14lpnorm_cleanupIfLNS0_8NormTypeE0EN3c104HalfELb0EfEEvPKT3_NS0_19TensorListAddressesEi,"axG",@progbits,_ZN2at6native14lpnorm_cleanupIfLNS0_8NormTypeE0EN3c104HalfELb0EfEEvPKT3_NS0_19TensorListAddressesEi,comdat
	.protected	_ZN2at6native14lpnorm_cleanupIfLNS0_8NormTypeE0EN3c104HalfELb0EfEEvPKT3_NS0_19TensorListAddressesEi ; -- Begin function _ZN2at6native14lpnorm_cleanupIfLNS0_8NormTypeE0EN3c104HalfELb0EfEEvPKT3_NS0_19TensorListAddressesEi
	.globl	_ZN2at6native14lpnorm_cleanupIfLNS0_8NormTypeE0EN3c104HalfELb0EfEEvPKT3_NS0_19TensorListAddressesEi
	.p2align	8
	.type	_ZN2at6native14lpnorm_cleanupIfLNS0_8NormTypeE0EN3c104HalfELb0EfEEvPKT3_NS0_19TensorListAddressesEi,@function
_ZN2at6native14lpnorm_cleanupIfLNS0_8NormTypeE0EN3c104HalfELb0EfEEvPKT3_NS0_19TensorListAddressesEi: ; @_ZN2at6native14lpnorm_cleanupIfLNS0_8NormTypeE0EN3c104HalfELb0EfEEvPKT3_NS0_19TensorListAddressesEi
; %bb.0:
	s_load_dword s6, s[0:1], 0xc88
	v_mov_b32_e32 v1, 0
	s_waitcnt lgkmcnt(0)
	v_cmp_gt_u32_e32 vcc, s6, v0
	s_and_saveexec_b64 s[4:5], vcc
	s_cbranch_execz .LBB166_4
; %bb.1:
	s_load_dwordx2 s[12:13], s[0:1], 0x0
	s_load_dword s3, s[0:1], 0xc9c
	s_mul_i32 s8, s6, s2
	s_mov_b32 s9, 0
	s_ashr_i32 s7, s6, 31
	s_lshl_b64 s[14:15], s[8:9], 2
	s_waitcnt lgkmcnt(0)
	s_and_b32 s10, s3, 0xffff
	v_mov_b32_e32 v1, 0
	s_add_u32 s12, s12, s14
	v_lshlrev_b32_e32 v2, 2, v0
	v_mov_b32_e32 v3, v1
	s_addc_u32 s13, s13, s15
	s_mov_b32 s11, s9
	v_lshl_add_u64 v[2:3], s[12:13], 0, v[2:3]
	s_lshl_b32 s8, s10, 2
	s_mov_b64 s[12:13], 0
	v_mov_b64_e32 v[4:5], v[0:1]
.LBB166_2:                              ; =>This Inner Loop Header: Depth=1
	global_load_dword v6, v[2:3], off
	v_lshl_add_u64 v[4:5], v[4:5], 0, s[10:11]
	v_cmp_le_u64_e32 vcc, s[6:7], v[4:5]
	v_lshl_add_u64 v[2:3], v[2:3], 0, s[8:9]
	s_or_b64 s[12:13], vcc, s[12:13]
	s_waitcnt vmcnt(0)
	v_add_f32_e32 v1, v1, v6
	s_andn2_b64 exec, exec, s[12:13]
	s_cbranch_execnz .LBB166_2
; %bb.3:
	s_or_b64 exec, exec, s[12:13]
.LBB166_4:
	s_or_b64 exec, exec, s[4:5]
	v_mbcnt_lo_u32_b32 v2, -1, 0
	v_mbcnt_hi_u32_b32 v6, -1, v2
	v_mov_b32_e32 v2, 0x80
	v_lshl_or_b32 v2, v6, 2, v2
	ds_bpermute_b32 v3, v2, v1
	v_and_b32_e32 v7, 63, v6
	v_cmp_gt_u32_e32 vcc, 48, v7
	s_waitcnt lgkmcnt(0)
	s_barrier
	v_cndmask_b32_e64 v4, 0, 16, vcc
	v_add_f32_e32 v5, v1, v3
	v_add_lshl_u32 v1, v4, v6, 2
	ds_bpermute_b32 v4, v1, v5
	v_cmp_gt_u32_e32 vcc, 56, v7
	s_waitcnt lgkmcnt(0)
	v_add_f32_e32 v5, v5, v4
	v_cndmask_b32_e64 v3, 0, 8, vcc
	v_add_lshl_u32 v3, v3, v6, 2
	ds_bpermute_b32 v8, v3, v5
	v_cmp_gt_u32_e32 vcc, 60, v7
	s_waitcnt lgkmcnt(0)
	v_add_f32_e32 v8, v5, v8
	v_cndmask_b32_e64 v4, 0, 4, vcc
	;; [unrolled: 6-line block ×3, first 2 shown]
	v_add_lshl_u32 v5, v5, v6, 2
	ds_bpermute_b32 v10, v5, v9
	v_cmp_ne_u32_e32 vcc, 63, v7
	v_and_b32_e32 v8, 63, v0
	s_waitcnt lgkmcnt(0)
	v_add_f32_e32 v7, v9, v10
	v_addc_co_u32_e32 v6, vcc, 0, v6, vcc
	v_lshlrev_b32_e32 v6, 2, v6
	ds_bpermute_b32 v9, v6, v7
	v_cmp_eq_u32_e32 vcc, 0, v8
	s_and_saveexec_b64 s[4:5], vcc
	s_cbranch_execz .LBB166_6
; %bb.5:
	s_waitcnt lgkmcnt(0)
	v_add_f32_e32 v7, v7, v9
	v_lshrrev_b32_e32 v9, 4, v0
	ds_write_b32 v9, v7
.LBB166_6:
	s_or_b64 exec, exec, s[4:5]
	s_waitcnt lgkmcnt(0)
	s_barrier
	s_load_dword s3, s[0:1], 0xc9c
	v_mov_b32_e32 v7, 0
	s_waitcnt lgkmcnt(0)
	s_bfe_u32 s3, s3, 0xa0006
	v_cmp_gt_u32_e32 vcc, s3, v0
	s_and_saveexec_b64 s[4:5], vcc
; %bb.7:
	v_lshlrev_b32_e32 v7, 2, v8
	ds_read_b32 v7, v7
; %bb.8:
	s_or_b64 exec, exec, s[4:5]
	v_cmp_gt_u32_e32 vcc, 64, v0
	s_and_saveexec_b64 s[4:5], vcc
	s_cbranch_execz .LBB166_10
; %bb.9:
	s_waitcnt lgkmcnt(0)
	ds_bpermute_b32 v2, v2, v7
	s_waitcnt lgkmcnt(0)
	v_add_f32_e32 v2, v7, v2
	ds_bpermute_b32 v1, v1, v2
	s_waitcnt lgkmcnt(0)
	v_add_f32_e32 v1, v2, v1
	;; [unrolled: 3-line block ×6, first 2 shown]
.LBB166_10:
	s_or_b64 exec, exec, s[4:5]
	s_mov_b32 s3, 0
	v_cmp_eq_u32_e32 vcc, 0, v0
	s_and_saveexec_b64 s[4:5], vcc
	s_cbranch_execz .LBB166_12
; %bb.11:
	s_lshl_b64 s[2:3], s[2:3], 3
	s_add_u32 s0, s0, s2
	s_addc_u32 s1, s1, s3
	s_load_dwordx2 s[0:1], s[0:1], 0x8
	s_waitcnt lgkmcnt(0)
	v_cvt_f16_f32_e32 v0, v7
	v_mov_b32_e32 v1, 0
	global_store_short v1, v0, s[0:1]
.LBB166_12:
	s_endpgm
	.section	.rodata,"a",@progbits
	.p2align	6, 0x0
	.amdhsa_kernel _ZN2at6native14lpnorm_cleanupIfLNS0_8NormTypeE0EN3c104HalfELb0EfEEvPKT3_NS0_19TensorListAddressesEi
		.amdhsa_group_segment_fixed_size 2048
		.amdhsa_private_segment_fixed_size 0
		.amdhsa_kernarg_size 3472
		.amdhsa_user_sgpr_count 2
		.amdhsa_user_sgpr_dispatch_ptr 0
		.amdhsa_user_sgpr_queue_ptr 0
		.amdhsa_user_sgpr_kernarg_segment_ptr 1
		.amdhsa_user_sgpr_dispatch_id 0
		.amdhsa_user_sgpr_kernarg_preload_length 0
		.amdhsa_user_sgpr_kernarg_preload_offset 0
		.amdhsa_user_sgpr_private_segment_size 0
		.amdhsa_uses_dynamic_stack 0
		.amdhsa_enable_private_segment 0
		.amdhsa_system_sgpr_workgroup_id_x 1
		.amdhsa_system_sgpr_workgroup_id_y 0
		.amdhsa_system_sgpr_workgroup_id_z 0
		.amdhsa_system_sgpr_workgroup_info 0
		.amdhsa_system_vgpr_workitem_id 0
		.amdhsa_next_free_vgpr 11
		.amdhsa_next_free_sgpr 16
		.amdhsa_accum_offset 12
		.amdhsa_reserve_vcc 1
		.amdhsa_float_round_mode_32 0
		.amdhsa_float_round_mode_16_64 0
		.amdhsa_float_denorm_mode_32 3
		.amdhsa_float_denorm_mode_16_64 3
		.amdhsa_dx10_clamp 1
		.amdhsa_ieee_mode 1
		.amdhsa_fp16_overflow 0
		.amdhsa_tg_split 0
		.amdhsa_exception_fp_ieee_invalid_op 0
		.amdhsa_exception_fp_denorm_src 0
		.amdhsa_exception_fp_ieee_div_zero 0
		.amdhsa_exception_fp_ieee_overflow 0
		.amdhsa_exception_fp_ieee_underflow 0
		.amdhsa_exception_fp_ieee_inexact 0
		.amdhsa_exception_int_div_zero 0
	.end_amdhsa_kernel
	.section	.text._ZN2at6native14lpnorm_cleanupIfLNS0_8NormTypeE0EN3c104HalfELb0EfEEvPKT3_NS0_19TensorListAddressesEi,"axG",@progbits,_ZN2at6native14lpnorm_cleanupIfLNS0_8NormTypeE0EN3c104HalfELb0EfEEvPKT3_NS0_19TensorListAddressesEi,comdat
.Lfunc_end166:
	.size	_ZN2at6native14lpnorm_cleanupIfLNS0_8NormTypeE0EN3c104HalfELb0EfEEvPKT3_NS0_19TensorListAddressesEi, .Lfunc_end166-_ZN2at6native14lpnorm_cleanupIfLNS0_8NormTypeE0EN3c104HalfELb0EfEEvPKT3_NS0_19TensorListAddressesEi
                                        ; -- End function
	.set _ZN2at6native14lpnorm_cleanupIfLNS0_8NormTypeE0EN3c104HalfELb0EfEEvPKT3_NS0_19TensorListAddressesEi.num_vgpr, 11
	.set _ZN2at6native14lpnorm_cleanupIfLNS0_8NormTypeE0EN3c104HalfELb0EfEEvPKT3_NS0_19TensorListAddressesEi.num_agpr, 0
	.set _ZN2at6native14lpnorm_cleanupIfLNS0_8NormTypeE0EN3c104HalfELb0EfEEvPKT3_NS0_19TensorListAddressesEi.numbered_sgpr, 16
	.set _ZN2at6native14lpnorm_cleanupIfLNS0_8NormTypeE0EN3c104HalfELb0EfEEvPKT3_NS0_19TensorListAddressesEi.num_named_barrier, 0
	.set _ZN2at6native14lpnorm_cleanupIfLNS0_8NormTypeE0EN3c104HalfELb0EfEEvPKT3_NS0_19TensorListAddressesEi.private_seg_size, 0
	.set _ZN2at6native14lpnorm_cleanupIfLNS0_8NormTypeE0EN3c104HalfELb0EfEEvPKT3_NS0_19TensorListAddressesEi.uses_vcc, 1
	.set _ZN2at6native14lpnorm_cleanupIfLNS0_8NormTypeE0EN3c104HalfELb0EfEEvPKT3_NS0_19TensorListAddressesEi.uses_flat_scratch, 0
	.set _ZN2at6native14lpnorm_cleanupIfLNS0_8NormTypeE0EN3c104HalfELb0EfEEvPKT3_NS0_19TensorListAddressesEi.has_dyn_sized_stack, 0
	.set _ZN2at6native14lpnorm_cleanupIfLNS0_8NormTypeE0EN3c104HalfELb0EfEEvPKT3_NS0_19TensorListAddressesEi.has_recursion, 0
	.set _ZN2at6native14lpnorm_cleanupIfLNS0_8NormTypeE0EN3c104HalfELb0EfEEvPKT3_NS0_19TensorListAddressesEi.has_indirect_call, 0
	.section	.AMDGPU.csdata,"",@progbits
; Kernel info:
; codeLenInByte = 664
; TotalNumSgprs: 22
; NumVgprs: 11
; NumAgprs: 0
; TotalNumVgprs: 11
; ScratchSize: 0
; MemoryBound: 0
; FloatMode: 240
; IeeeMode: 1
; LDSByteSize: 2048 bytes/workgroup (compile time only)
; SGPRBlocks: 2
; VGPRBlocks: 1
; NumSGPRsForWavesPerEU: 22
; NumVGPRsForWavesPerEU: 11
; AccumOffset: 12
; Occupancy: 8
; WaveLimiterHint : 0
; COMPUTE_PGM_RSRC2:SCRATCH_EN: 0
; COMPUTE_PGM_RSRC2:USER_SGPR: 2
; COMPUTE_PGM_RSRC2:TRAP_HANDLER: 0
; COMPUTE_PGM_RSRC2:TGID_X_EN: 1
; COMPUTE_PGM_RSRC2:TGID_Y_EN: 0
; COMPUTE_PGM_RSRC2:TGID_Z_EN: 0
; COMPUTE_PGM_RSRC2:TIDIG_COMP_CNT: 0
; COMPUTE_PGM_RSRC3_GFX90A:ACCUM_OFFSET: 2
; COMPUTE_PGM_RSRC3_GFX90A:TG_SPLIT: 0
	.section	.text._ZN2at6native14lpnorm_cleanupIfLNS0_8NormTypeE1EN3c104HalfELb0EfEEvPKT3_NS0_19TensorListAddressesEi,"axG",@progbits,_ZN2at6native14lpnorm_cleanupIfLNS0_8NormTypeE1EN3c104HalfELb0EfEEvPKT3_NS0_19TensorListAddressesEi,comdat
	.protected	_ZN2at6native14lpnorm_cleanupIfLNS0_8NormTypeE1EN3c104HalfELb0EfEEvPKT3_NS0_19TensorListAddressesEi ; -- Begin function _ZN2at6native14lpnorm_cleanupIfLNS0_8NormTypeE1EN3c104HalfELb0EfEEvPKT3_NS0_19TensorListAddressesEi
	.globl	_ZN2at6native14lpnorm_cleanupIfLNS0_8NormTypeE1EN3c104HalfELb0EfEEvPKT3_NS0_19TensorListAddressesEi
	.p2align	8
	.type	_ZN2at6native14lpnorm_cleanupIfLNS0_8NormTypeE1EN3c104HalfELb0EfEEvPKT3_NS0_19TensorListAddressesEi,@function
_ZN2at6native14lpnorm_cleanupIfLNS0_8NormTypeE1EN3c104HalfELb0EfEEvPKT3_NS0_19TensorListAddressesEi: ; @_ZN2at6native14lpnorm_cleanupIfLNS0_8NormTypeE1EN3c104HalfELb0EfEEvPKT3_NS0_19TensorListAddressesEi
; %bb.0:
	s_load_dword s6, s[0:1], 0xc88
	v_mov_b32_e32 v1, 0
	s_waitcnt lgkmcnt(0)
	v_cmp_gt_u32_e32 vcc, s6, v0
	s_and_saveexec_b64 s[4:5], vcc
	s_cbranch_execz .LBB167_4
; %bb.1:
	s_load_dwordx2 s[12:13], s[0:1], 0x0
	s_load_dword s3, s[0:1], 0xc9c
	s_mul_i32 s8, s6, s2
	s_mov_b32 s9, 0
	s_ashr_i32 s7, s6, 31
	s_lshl_b64 s[14:15], s[8:9], 2
	s_waitcnt lgkmcnt(0)
	s_and_b32 s10, s3, 0xffff
	v_mov_b32_e32 v1, 0
	s_add_u32 s12, s12, s14
	v_lshlrev_b32_e32 v2, 2, v0
	v_mov_b32_e32 v3, v1
	s_addc_u32 s13, s13, s15
	s_mov_b32 s11, s9
	v_lshl_add_u64 v[2:3], s[12:13], 0, v[2:3]
	s_lshl_b32 s8, s10, 2
	s_mov_b64 s[12:13], 0
	v_mov_b64_e32 v[4:5], v[0:1]
.LBB167_2:                              ; =>This Inner Loop Header: Depth=1
	global_load_dword v6, v[2:3], off
	v_lshl_add_u64 v[4:5], v[4:5], 0, s[10:11]
	v_cmp_le_u64_e32 vcc, s[6:7], v[4:5]
	v_lshl_add_u64 v[2:3], v[2:3], 0, s[8:9]
	s_or_b64 s[12:13], vcc, s[12:13]
	s_waitcnt vmcnt(0)
	v_add_f32_e32 v1, v1, v6
	s_andn2_b64 exec, exec, s[12:13]
	s_cbranch_execnz .LBB167_2
; %bb.3:
	s_or_b64 exec, exec, s[12:13]
.LBB167_4:
	s_or_b64 exec, exec, s[4:5]
	v_mbcnt_lo_u32_b32 v2, -1, 0
	v_mbcnt_hi_u32_b32 v6, -1, v2
	v_mov_b32_e32 v2, 0x80
	v_lshl_or_b32 v2, v6, 2, v2
	ds_bpermute_b32 v3, v2, v1
	v_and_b32_e32 v7, 63, v6
	v_cmp_gt_u32_e32 vcc, 48, v7
	s_waitcnt lgkmcnt(0)
	s_barrier
	v_cndmask_b32_e64 v4, 0, 16, vcc
	v_add_f32_e32 v5, v1, v3
	v_add_lshl_u32 v1, v4, v6, 2
	ds_bpermute_b32 v4, v1, v5
	v_cmp_gt_u32_e32 vcc, 56, v7
	s_waitcnt lgkmcnt(0)
	v_add_f32_e32 v5, v5, v4
	v_cndmask_b32_e64 v3, 0, 8, vcc
	v_add_lshl_u32 v3, v3, v6, 2
	ds_bpermute_b32 v8, v3, v5
	v_cmp_gt_u32_e32 vcc, 60, v7
	s_waitcnt lgkmcnt(0)
	v_add_f32_e32 v8, v5, v8
	v_cndmask_b32_e64 v4, 0, 4, vcc
	;; [unrolled: 6-line block ×3, first 2 shown]
	v_add_lshl_u32 v5, v5, v6, 2
	ds_bpermute_b32 v10, v5, v9
	v_cmp_ne_u32_e32 vcc, 63, v7
	v_and_b32_e32 v8, 63, v0
	s_waitcnt lgkmcnt(0)
	v_add_f32_e32 v7, v9, v10
	v_addc_co_u32_e32 v6, vcc, 0, v6, vcc
	v_lshlrev_b32_e32 v6, 2, v6
	ds_bpermute_b32 v9, v6, v7
	v_cmp_eq_u32_e32 vcc, 0, v8
	s_and_saveexec_b64 s[4:5], vcc
	s_cbranch_execz .LBB167_6
; %bb.5:
	s_waitcnt lgkmcnt(0)
	v_add_f32_e32 v7, v7, v9
	v_lshrrev_b32_e32 v9, 4, v0
	ds_write_b32 v9, v7
.LBB167_6:
	s_or_b64 exec, exec, s[4:5]
	s_waitcnt lgkmcnt(0)
	s_barrier
	s_load_dword s3, s[0:1], 0xc9c
	v_mov_b32_e32 v7, 0
	s_waitcnt lgkmcnt(0)
	s_bfe_u32 s3, s3, 0xa0006
	v_cmp_gt_u32_e32 vcc, s3, v0
	s_and_saveexec_b64 s[4:5], vcc
; %bb.7:
	v_lshlrev_b32_e32 v7, 2, v8
	ds_read_b32 v7, v7
; %bb.8:
	s_or_b64 exec, exec, s[4:5]
	v_cmp_gt_u32_e32 vcc, 64, v0
	s_and_saveexec_b64 s[4:5], vcc
	s_cbranch_execz .LBB167_10
; %bb.9:
	s_waitcnt lgkmcnt(0)
	ds_bpermute_b32 v2, v2, v7
	s_waitcnt lgkmcnt(0)
	v_add_f32_e32 v2, v7, v2
	ds_bpermute_b32 v1, v1, v2
	s_waitcnt lgkmcnt(0)
	v_add_f32_e32 v1, v2, v1
	;; [unrolled: 3-line block ×6, first 2 shown]
.LBB167_10:
	s_or_b64 exec, exec, s[4:5]
	s_mov_b32 s3, 0
	v_cmp_eq_u32_e32 vcc, 0, v0
	s_and_saveexec_b64 s[4:5], vcc
	s_cbranch_execz .LBB167_12
; %bb.11:
	s_lshl_b64 s[2:3], s[2:3], 3
	s_add_u32 s0, s0, s2
	s_addc_u32 s1, s1, s3
	s_load_dwordx2 s[0:1], s[0:1], 0x8
	s_waitcnt lgkmcnt(0)
	v_cvt_f16_f32_e32 v0, v7
	v_mov_b32_e32 v1, 0
	global_store_short v1, v0, s[0:1]
.LBB167_12:
	s_endpgm
	.section	.rodata,"a",@progbits
	.p2align	6, 0x0
	.amdhsa_kernel _ZN2at6native14lpnorm_cleanupIfLNS0_8NormTypeE1EN3c104HalfELb0EfEEvPKT3_NS0_19TensorListAddressesEi
		.amdhsa_group_segment_fixed_size 2048
		.amdhsa_private_segment_fixed_size 0
		.amdhsa_kernarg_size 3472
		.amdhsa_user_sgpr_count 2
		.amdhsa_user_sgpr_dispatch_ptr 0
		.amdhsa_user_sgpr_queue_ptr 0
		.amdhsa_user_sgpr_kernarg_segment_ptr 1
		.amdhsa_user_sgpr_dispatch_id 0
		.amdhsa_user_sgpr_kernarg_preload_length 0
		.amdhsa_user_sgpr_kernarg_preload_offset 0
		.amdhsa_user_sgpr_private_segment_size 0
		.amdhsa_uses_dynamic_stack 0
		.amdhsa_enable_private_segment 0
		.amdhsa_system_sgpr_workgroup_id_x 1
		.amdhsa_system_sgpr_workgroup_id_y 0
		.amdhsa_system_sgpr_workgroup_id_z 0
		.amdhsa_system_sgpr_workgroup_info 0
		.amdhsa_system_vgpr_workitem_id 0
		.amdhsa_next_free_vgpr 11
		.amdhsa_next_free_sgpr 16
		.amdhsa_accum_offset 12
		.amdhsa_reserve_vcc 1
		.amdhsa_float_round_mode_32 0
		.amdhsa_float_round_mode_16_64 0
		.amdhsa_float_denorm_mode_32 3
		.amdhsa_float_denorm_mode_16_64 3
		.amdhsa_dx10_clamp 1
		.amdhsa_ieee_mode 1
		.amdhsa_fp16_overflow 0
		.amdhsa_tg_split 0
		.amdhsa_exception_fp_ieee_invalid_op 0
		.amdhsa_exception_fp_denorm_src 0
		.amdhsa_exception_fp_ieee_div_zero 0
		.amdhsa_exception_fp_ieee_overflow 0
		.amdhsa_exception_fp_ieee_underflow 0
		.amdhsa_exception_fp_ieee_inexact 0
		.amdhsa_exception_int_div_zero 0
	.end_amdhsa_kernel
	.section	.text._ZN2at6native14lpnorm_cleanupIfLNS0_8NormTypeE1EN3c104HalfELb0EfEEvPKT3_NS0_19TensorListAddressesEi,"axG",@progbits,_ZN2at6native14lpnorm_cleanupIfLNS0_8NormTypeE1EN3c104HalfELb0EfEEvPKT3_NS0_19TensorListAddressesEi,comdat
.Lfunc_end167:
	.size	_ZN2at6native14lpnorm_cleanupIfLNS0_8NormTypeE1EN3c104HalfELb0EfEEvPKT3_NS0_19TensorListAddressesEi, .Lfunc_end167-_ZN2at6native14lpnorm_cleanupIfLNS0_8NormTypeE1EN3c104HalfELb0EfEEvPKT3_NS0_19TensorListAddressesEi
                                        ; -- End function
	.set _ZN2at6native14lpnorm_cleanupIfLNS0_8NormTypeE1EN3c104HalfELb0EfEEvPKT3_NS0_19TensorListAddressesEi.num_vgpr, 11
	.set _ZN2at6native14lpnorm_cleanupIfLNS0_8NormTypeE1EN3c104HalfELb0EfEEvPKT3_NS0_19TensorListAddressesEi.num_agpr, 0
	.set _ZN2at6native14lpnorm_cleanupIfLNS0_8NormTypeE1EN3c104HalfELb0EfEEvPKT3_NS0_19TensorListAddressesEi.numbered_sgpr, 16
	.set _ZN2at6native14lpnorm_cleanupIfLNS0_8NormTypeE1EN3c104HalfELb0EfEEvPKT3_NS0_19TensorListAddressesEi.num_named_barrier, 0
	.set _ZN2at6native14lpnorm_cleanupIfLNS0_8NormTypeE1EN3c104HalfELb0EfEEvPKT3_NS0_19TensorListAddressesEi.private_seg_size, 0
	.set _ZN2at6native14lpnorm_cleanupIfLNS0_8NormTypeE1EN3c104HalfELb0EfEEvPKT3_NS0_19TensorListAddressesEi.uses_vcc, 1
	.set _ZN2at6native14lpnorm_cleanupIfLNS0_8NormTypeE1EN3c104HalfELb0EfEEvPKT3_NS0_19TensorListAddressesEi.uses_flat_scratch, 0
	.set _ZN2at6native14lpnorm_cleanupIfLNS0_8NormTypeE1EN3c104HalfELb0EfEEvPKT3_NS0_19TensorListAddressesEi.has_dyn_sized_stack, 0
	.set _ZN2at6native14lpnorm_cleanupIfLNS0_8NormTypeE1EN3c104HalfELb0EfEEvPKT3_NS0_19TensorListAddressesEi.has_recursion, 0
	.set _ZN2at6native14lpnorm_cleanupIfLNS0_8NormTypeE1EN3c104HalfELb0EfEEvPKT3_NS0_19TensorListAddressesEi.has_indirect_call, 0
	.section	.AMDGPU.csdata,"",@progbits
; Kernel info:
; codeLenInByte = 664
; TotalNumSgprs: 22
; NumVgprs: 11
; NumAgprs: 0
; TotalNumVgprs: 11
; ScratchSize: 0
; MemoryBound: 0
; FloatMode: 240
; IeeeMode: 1
; LDSByteSize: 2048 bytes/workgroup (compile time only)
; SGPRBlocks: 2
; VGPRBlocks: 1
; NumSGPRsForWavesPerEU: 22
; NumVGPRsForWavesPerEU: 11
; AccumOffset: 12
; Occupancy: 8
; WaveLimiterHint : 0
; COMPUTE_PGM_RSRC2:SCRATCH_EN: 0
; COMPUTE_PGM_RSRC2:USER_SGPR: 2
; COMPUTE_PGM_RSRC2:TRAP_HANDLER: 0
; COMPUTE_PGM_RSRC2:TGID_X_EN: 1
; COMPUTE_PGM_RSRC2:TGID_Y_EN: 0
; COMPUTE_PGM_RSRC2:TGID_Z_EN: 0
; COMPUTE_PGM_RSRC2:TIDIG_COMP_CNT: 0
; COMPUTE_PGM_RSRC3_GFX90A:ACCUM_OFFSET: 2
; COMPUTE_PGM_RSRC3_GFX90A:TG_SPLIT: 0
	.section	.text._ZN2at6native14lpnorm_cleanupIfLNS0_8NormTypeE2EN3c104HalfELb0EfEEvPKT3_NS0_19TensorListAddressesEi,"axG",@progbits,_ZN2at6native14lpnorm_cleanupIfLNS0_8NormTypeE2EN3c104HalfELb0EfEEvPKT3_NS0_19TensorListAddressesEi,comdat
	.protected	_ZN2at6native14lpnorm_cleanupIfLNS0_8NormTypeE2EN3c104HalfELb0EfEEvPKT3_NS0_19TensorListAddressesEi ; -- Begin function _ZN2at6native14lpnorm_cleanupIfLNS0_8NormTypeE2EN3c104HalfELb0EfEEvPKT3_NS0_19TensorListAddressesEi
	.globl	_ZN2at6native14lpnorm_cleanupIfLNS0_8NormTypeE2EN3c104HalfELb0EfEEvPKT3_NS0_19TensorListAddressesEi
	.p2align	8
	.type	_ZN2at6native14lpnorm_cleanupIfLNS0_8NormTypeE2EN3c104HalfELb0EfEEvPKT3_NS0_19TensorListAddressesEi,@function
_ZN2at6native14lpnorm_cleanupIfLNS0_8NormTypeE2EN3c104HalfELb0EfEEvPKT3_NS0_19TensorListAddressesEi: ; @_ZN2at6native14lpnorm_cleanupIfLNS0_8NormTypeE2EN3c104HalfELb0EfEEvPKT3_NS0_19TensorListAddressesEi
; %bb.0:
	s_load_dword s6, s[0:1], 0xc88
	v_mov_b32_e32 v1, 0
	s_waitcnt lgkmcnt(0)
	v_cmp_gt_u32_e32 vcc, s6, v0
	s_and_saveexec_b64 s[4:5], vcc
	s_cbranch_execz .LBB168_4
; %bb.1:
	s_load_dwordx2 s[12:13], s[0:1], 0x0
	s_load_dword s3, s[0:1], 0xc9c
	s_mul_i32 s8, s6, s2
	s_mov_b32 s9, 0
	s_ashr_i32 s7, s6, 31
	s_lshl_b64 s[14:15], s[8:9], 2
	s_waitcnt lgkmcnt(0)
	s_and_b32 s10, s3, 0xffff
	v_mov_b32_e32 v1, 0
	s_add_u32 s12, s12, s14
	v_lshlrev_b32_e32 v2, 2, v0
	v_mov_b32_e32 v3, v1
	s_addc_u32 s13, s13, s15
	s_mov_b32 s11, s9
	v_lshl_add_u64 v[2:3], s[12:13], 0, v[2:3]
	s_lshl_b32 s8, s10, 2
	s_mov_b64 s[12:13], 0
	v_mov_b64_e32 v[4:5], v[0:1]
.LBB168_2:                              ; =>This Inner Loop Header: Depth=1
	global_load_dword v6, v[2:3], off
	v_lshl_add_u64 v[4:5], v[4:5], 0, s[10:11]
	v_cmp_le_u64_e32 vcc, s[6:7], v[4:5]
	v_lshl_add_u64 v[2:3], v[2:3], 0, s[8:9]
	s_or_b64 s[12:13], vcc, s[12:13]
	s_waitcnt vmcnt(0)
	v_add_f32_e32 v1, v1, v6
	s_andn2_b64 exec, exec, s[12:13]
	s_cbranch_execnz .LBB168_2
; %bb.3:
	s_or_b64 exec, exec, s[12:13]
.LBB168_4:
	s_or_b64 exec, exec, s[4:5]
	v_mbcnt_lo_u32_b32 v2, -1, 0
	v_mbcnt_hi_u32_b32 v6, -1, v2
	v_mov_b32_e32 v2, 0x80
	v_lshl_or_b32 v2, v6, 2, v2
	ds_bpermute_b32 v3, v2, v1
	v_and_b32_e32 v7, 63, v6
	v_cmp_gt_u32_e32 vcc, 48, v7
	s_waitcnt lgkmcnt(0)
	s_barrier
	v_cndmask_b32_e64 v4, 0, 16, vcc
	v_add_f32_e32 v5, v1, v3
	v_add_lshl_u32 v1, v4, v6, 2
	ds_bpermute_b32 v4, v1, v5
	v_cmp_gt_u32_e32 vcc, 56, v7
	s_waitcnt lgkmcnt(0)
	v_add_f32_e32 v5, v5, v4
	v_cndmask_b32_e64 v3, 0, 8, vcc
	v_add_lshl_u32 v3, v3, v6, 2
	ds_bpermute_b32 v8, v3, v5
	v_cmp_gt_u32_e32 vcc, 60, v7
	s_waitcnt lgkmcnt(0)
	v_add_f32_e32 v8, v5, v8
	v_cndmask_b32_e64 v4, 0, 4, vcc
	;; [unrolled: 6-line block ×3, first 2 shown]
	v_add_lshl_u32 v5, v5, v6, 2
	ds_bpermute_b32 v10, v5, v9
	v_cmp_ne_u32_e32 vcc, 63, v7
	v_and_b32_e32 v8, 63, v0
	s_waitcnt lgkmcnt(0)
	v_add_f32_e32 v7, v9, v10
	v_addc_co_u32_e32 v6, vcc, 0, v6, vcc
	v_lshlrev_b32_e32 v6, 2, v6
	ds_bpermute_b32 v9, v6, v7
	v_cmp_eq_u32_e32 vcc, 0, v8
	s_and_saveexec_b64 s[4:5], vcc
	s_cbranch_execz .LBB168_6
; %bb.5:
	s_waitcnt lgkmcnt(0)
	v_add_f32_e32 v7, v7, v9
	v_lshrrev_b32_e32 v9, 4, v0
	ds_write_b32 v9, v7
.LBB168_6:
	s_or_b64 exec, exec, s[4:5]
	s_waitcnt lgkmcnt(0)
	s_barrier
	s_load_dword s3, s[0:1], 0xc9c
	v_mov_b32_e32 v7, 0
	s_waitcnt lgkmcnt(0)
	s_bfe_u32 s3, s3, 0xa0006
	v_cmp_gt_u32_e32 vcc, s3, v0
	s_and_saveexec_b64 s[4:5], vcc
; %bb.7:
	v_lshlrev_b32_e32 v7, 2, v8
	ds_read_b32 v7, v7
; %bb.8:
	s_or_b64 exec, exec, s[4:5]
	v_cmp_gt_u32_e32 vcc, 64, v0
	s_and_saveexec_b64 s[4:5], vcc
	s_cbranch_execz .LBB168_10
; %bb.9:
	s_waitcnt lgkmcnt(0)
	ds_bpermute_b32 v2, v2, v7
	s_waitcnt lgkmcnt(0)
	v_add_f32_e32 v2, v7, v2
	ds_bpermute_b32 v1, v1, v2
	s_waitcnt lgkmcnt(0)
	v_add_f32_e32 v1, v2, v1
	;; [unrolled: 3-line block ×6, first 2 shown]
.LBB168_10:
	s_or_b64 exec, exec, s[4:5]
	s_mov_b32 s3, 0
	v_cmp_eq_u32_e32 vcc, 0, v0
	s_and_saveexec_b64 s[4:5], vcc
	s_cbranch_execz .LBB168_12
; %bb.11:
	s_lshl_b64 s[2:3], s[2:3], 3
	s_add_u32 s0, s0, s2
	s_addc_u32 s1, s1, s3
	s_load_dwordx2 s[0:1], s[0:1], 0x8
	s_waitcnt lgkmcnt(0)
	v_cvt_f16_f32_e32 v0, v7
	v_mov_b32_e32 v1, 0
	global_store_short v1, v0, s[0:1]
.LBB168_12:
	s_endpgm
	.section	.rodata,"a",@progbits
	.p2align	6, 0x0
	.amdhsa_kernel _ZN2at6native14lpnorm_cleanupIfLNS0_8NormTypeE2EN3c104HalfELb0EfEEvPKT3_NS0_19TensorListAddressesEi
		.amdhsa_group_segment_fixed_size 2048
		.amdhsa_private_segment_fixed_size 0
		.amdhsa_kernarg_size 3472
		.amdhsa_user_sgpr_count 2
		.amdhsa_user_sgpr_dispatch_ptr 0
		.amdhsa_user_sgpr_queue_ptr 0
		.amdhsa_user_sgpr_kernarg_segment_ptr 1
		.amdhsa_user_sgpr_dispatch_id 0
		.amdhsa_user_sgpr_kernarg_preload_length 0
		.amdhsa_user_sgpr_kernarg_preload_offset 0
		.amdhsa_user_sgpr_private_segment_size 0
		.amdhsa_uses_dynamic_stack 0
		.amdhsa_enable_private_segment 0
		.amdhsa_system_sgpr_workgroup_id_x 1
		.amdhsa_system_sgpr_workgroup_id_y 0
		.amdhsa_system_sgpr_workgroup_id_z 0
		.amdhsa_system_sgpr_workgroup_info 0
		.amdhsa_system_vgpr_workitem_id 0
		.amdhsa_next_free_vgpr 11
		.amdhsa_next_free_sgpr 16
		.amdhsa_accum_offset 12
		.amdhsa_reserve_vcc 1
		.amdhsa_float_round_mode_32 0
		.amdhsa_float_round_mode_16_64 0
		.amdhsa_float_denorm_mode_32 3
		.amdhsa_float_denorm_mode_16_64 3
		.amdhsa_dx10_clamp 1
		.amdhsa_ieee_mode 1
		.amdhsa_fp16_overflow 0
		.amdhsa_tg_split 0
		.amdhsa_exception_fp_ieee_invalid_op 0
		.amdhsa_exception_fp_denorm_src 0
		.amdhsa_exception_fp_ieee_div_zero 0
		.amdhsa_exception_fp_ieee_overflow 0
		.amdhsa_exception_fp_ieee_underflow 0
		.amdhsa_exception_fp_ieee_inexact 0
		.amdhsa_exception_int_div_zero 0
	.end_amdhsa_kernel
	.section	.text._ZN2at6native14lpnorm_cleanupIfLNS0_8NormTypeE2EN3c104HalfELb0EfEEvPKT3_NS0_19TensorListAddressesEi,"axG",@progbits,_ZN2at6native14lpnorm_cleanupIfLNS0_8NormTypeE2EN3c104HalfELb0EfEEvPKT3_NS0_19TensorListAddressesEi,comdat
.Lfunc_end168:
	.size	_ZN2at6native14lpnorm_cleanupIfLNS0_8NormTypeE2EN3c104HalfELb0EfEEvPKT3_NS0_19TensorListAddressesEi, .Lfunc_end168-_ZN2at6native14lpnorm_cleanupIfLNS0_8NormTypeE2EN3c104HalfELb0EfEEvPKT3_NS0_19TensorListAddressesEi
                                        ; -- End function
	.set _ZN2at6native14lpnorm_cleanupIfLNS0_8NormTypeE2EN3c104HalfELb0EfEEvPKT3_NS0_19TensorListAddressesEi.num_vgpr, 11
	.set _ZN2at6native14lpnorm_cleanupIfLNS0_8NormTypeE2EN3c104HalfELb0EfEEvPKT3_NS0_19TensorListAddressesEi.num_agpr, 0
	.set _ZN2at6native14lpnorm_cleanupIfLNS0_8NormTypeE2EN3c104HalfELb0EfEEvPKT3_NS0_19TensorListAddressesEi.numbered_sgpr, 16
	.set _ZN2at6native14lpnorm_cleanupIfLNS0_8NormTypeE2EN3c104HalfELb0EfEEvPKT3_NS0_19TensorListAddressesEi.num_named_barrier, 0
	.set _ZN2at6native14lpnorm_cleanupIfLNS0_8NormTypeE2EN3c104HalfELb0EfEEvPKT3_NS0_19TensorListAddressesEi.private_seg_size, 0
	.set _ZN2at6native14lpnorm_cleanupIfLNS0_8NormTypeE2EN3c104HalfELb0EfEEvPKT3_NS0_19TensorListAddressesEi.uses_vcc, 1
	.set _ZN2at6native14lpnorm_cleanupIfLNS0_8NormTypeE2EN3c104HalfELb0EfEEvPKT3_NS0_19TensorListAddressesEi.uses_flat_scratch, 0
	.set _ZN2at6native14lpnorm_cleanupIfLNS0_8NormTypeE2EN3c104HalfELb0EfEEvPKT3_NS0_19TensorListAddressesEi.has_dyn_sized_stack, 0
	.set _ZN2at6native14lpnorm_cleanupIfLNS0_8NormTypeE2EN3c104HalfELb0EfEEvPKT3_NS0_19TensorListAddressesEi.has_recursion, 0
	.set _ZN2at6native14lpnorm_cleanupIfLNS0_8NormTypeE2EN3c104HalfELb0EfEEvPKT3_NS0_19TensorListAddressesEi.has_indirect_call, 0
	.section	.AMDGPU.csdata,"",@progbits
; Kernel info:
; codeLenInByte = 664
; TotalNumSgprs: 22
; NumVgprs: 11
; NumAgprs: 0
; TotalNumVgprs: 11
; ScratchSize: 0
; MemoryBound: 0
; FloatMode: 240
; IeeeMode: 1
; LDSByteSize: 2048 bytes/workgroup (compile time only)
; SGPRBlocks: 2
; VGPRBlocks: 1
; NumSGPRsForWavesPerEU: 22
; NumVGPRsForWavesPerEU: 11
; AccumOffset: 12
; Occupancy: 8
; WaveLimiterHint : 0
; COMPUTE_PGM_RSRC2:SCRATCH_EN: 0
; COMPUTE_PGM_RSRC2:USER_SGPR: 2
; COMPUTE_PGM_RSRC2:TRAP_HANDLER: 0
; COMPUTE_PGM_RSRC2:TGID_X_EN: 1
; COMPUTE_PGM_RSRC2:TGID_Y_EN: 0
; COMPUTE_PGM_RSRC2:TGID_Z_EN: 0
; COMPUTE_PGM_RSRC2:TIDIG_COMP_CNT: 0
; COMPUTE_PGM_RSRC3_GFX90A:ACCUM_OFFSET: 2
; COMPUTE_PGM_RSRC3_GFX90A:TG_SPLIT: 0
	.section	.text._ZN2at6native14lpnorm_cleanupIfLNS0_8NormTypeE0EN3c108BFloat16ELb0EfEEvPKT3_NS0_19TensorListAddressesEi,"axG",@progbits,_ZN2at6native14lpnorm_cleanupIfLNS0_8NormTypeE0EN3c108BFloat16ELb0EfEEvPKT3_NS0_19TensorListAddressesEi,comdat
	.protected	_ZN2at6native14lpnorm_cleanupIfLNS0_8NormTypeE0EN3c108BFloat16ELb0EfEEvPKT3_NS0_19TensorListAddressesEi ; -- Begin function _ZN2at6native14lpnorm_cleanupIfLNS0_8NormTypeE0EN3c108BFloat16ELb0EfEEvPKT3_NS0_19TensorListAddressesEi
	.globl	_ZN2at6native14lpnorm_cleanupIfLNS0_8NormTypeE0EN3c108BFloat16ELb0EfEEvPKT3_NS0_19TensorListAddressesEi
	.p2align	8
	.type	_ZN2at6native14lpnorm_cleanupIfLNS0_8NormTypeE0EN3c108BFloat16ELb0EfEEvPKT3_NS0_19TensorListAddressesEi,@function
_ZN2at6native14lpnorm_cleanupIfLNS0_8NormTypeE0EN3c108BFloat16ELb0EfEEvPKT3_NS0_19TensorListAddressesEi: ; @_ZN2at6native14lpnorm_cleanupIfLNS0_8NormTypeE0EN3c108BFloat16ELb0EfEEvPKT3_NS0_19TensorListAddressesEi
; %bb.0:
	s_load_dword s6, s[0:1], 0xc88
	v_mov_b32_e32 v1, 0
	s_waitcnt lgkmcnt(0)
	v_cmp_gt_u32_e32 vcc, s6, v0
	s_and_saveexec_b64 s[4:5], vcc
	s_cbranch_execz .LBB169_4
; %bb.1:
	s_load_dwordx2 s[12:13], s[0:1], 0x0
	s_load_dword s3, s[0:1], 0xc9c
	s_mul_i32 s8, s6, s2
	s_mov_b32 s9, 0
	s_ashr_i32 s7, s6, 31
	s_lshl_b64 s[14:15], s[8:9], 2
	s_waitcnt lgkmcnt(0)
	s_and_b32 s10, s3, 0xffff
	v_mov_b32_e32 v1, 0
	s_add_u32 s12, s12, s14
	v_lshlrev_b32_e32 v2, 2, v0
	v_mov_b32_e32 v3, v1
	s_addc_u32 s13, s13, s15
	s_mov_b32 s11, s9
	v_lshl_add_u64 v[2:3], s[12:13], 0, v[2:3]
	s_lshl_b32 s8, s10, 2
	s_mov_b64 s[12:13], 0
	v_mov_b64_e32 v[4:5], v[0:1]
.LBB169_2:                              ; =>This Inner Loop Header: Depth=1
	global_load_dword v6, v[2:3], off
	v_lshl_add_u64 v[4:5], v[4:5], 0, s[10:11]
	v_cmp_le_u64_e32 vcc, s[6:7], v[4:5]
	v_lshl_add_u64 v[2:3], v[2:3], 0, s[8:9]
	s_or_b64 s[12:13], vcc, s[12:13]
	s_waitcnt vmcnt(0)
	v_add_f32_e32 v1, v1, v6
	s_andn2_b64 exec, exec, s[12:13]
	s_cbranch_execnz .LBB169_2
; %bb.3:
	s_or_b64 exec, exec, s[12:13]
.LBB169_4:
	s_or_b64 exec, exec, s[4:5]
	v_mbcnt_lo_u32_b32 v2, -1, 0
	v_mbcnt_hi_u32_b32 v6, -1, v2
	v_mov_b32_e32 v2, 0x80
	v_lshl_or_b32 v2, v6, 2, v2
	ds_bpermute_b32 v3, v2, v1
	v_and_b32_e32 v7, 63, v6
	v_cmp_gt_u32_e32 vcc, 48, v7
	s_waitcnt lgkmcnt(0)
	s_barrier
	v_cndmask_b32_e64 v4, 0, 16, vcc
	v_add_f32_e32 v5, v1, v3
	v_add_lshl_u32 v1, v4, v6, 2
	ds_bpermute_b32 v4, v1, v5
	v_cmp_gt_u32_e32 vcc, 56, v7
	s_waitcnt lgkmcnt(0)
	v_add_f32_e32 v5, v5, v4
	v_cndmask_b32_e64 v3, 0, 8, vcc
	v_add_lshl_u32 v3, v3, v6, 2
	ds_bpermute_b32 v8, v3, v5
	v_cmp_gt_u32_e32 vcc, 60, v7
	s_waitcnt lgkmcnt(0)
	v_add_f32_e32 v8, v5, v8
	v_cndmask_b32_e64 v4, 0, 4, vcc
	;; [unrolled: 6-line block ×3, first 2 shown]
	v_add_lshl_u32 v5, v5, v6, 2
	ds_bpermute_b32 v10, v5, v9
	v_cmp_ne_u32_e32 vcc, 63, v7
	v_and_b32_e32 v8, 63, v0
	s_waitcnt lgkmcnt(0)
	v_add_f32_e32 v7, v9, v10
	v_addc_co_u32_e32 v6, vcc, 0, v6, vcc
	v_lshlrev_b32_e32 v6, 2, v6
	ds_bpermute_b32 v9, v6, v7
	v_cmp_eq_u32_e32 vcc, 0, v8
	s_and_saveexec_b64 s[4:5], vcc
	s_cbranch_execz .LBB169_6
; %bb.5:
	s_waitcnt lgkmcnt(0)
	v_add_f32_e32 v7, v7, v9
	v_lshrrev_b32_e32 v9, 4, v0
	ds_write_b32 v9, v7
.LBB169_6:
	s_or_b64 exec, exec, s[4:5]
	s_waitcnt lgkmcnt(0)
	s_barrier
	s_load_dword s3, s[0:1], 0xc9c
	v_mov_b32_e32 v7, 0
	s_waitcnt lgkmcnt(0)
	s_bfe_u32 s3, s3, 0xa0006
	v_cmp_gt_u32_e32 vcc, s3, v0
	s_and_saveexec_b64 s[4:5], vcc
; %bb.7:
	v_lshlrev_b32_e32 v7, 2, v8
	ds_read_b32 v7, v7
; %bb.8:
	s_or_b64 exec, exec, s[4:5]
	v_cmp_gt_u32_e32 vcc, 64, v0
	s_and_saveexec_b64 s[4:5], vcc
	s_cbranch_execz .LBB169_10
; %bb.9:
	s_waitcnt lgkmcnt(0)
	ds_bpermute_b32 v2, v2, v7
	s_waitcnt lgkmcnt(0)
	v_add_f32_e32 v2, v7, v2
	ds_bpermute_b32 v1, v1, v2
	s_waitcnt lgkmcnt(0)
	v_add_f32_e32 v1, v2, v1
	;; [unrolled: 3-line block ×6, first 2 shown]
.LBB169_10:
	s_or_b64 exec, exec, s[4:5]
	s_mov_b32 s3, 0
	v_cmp_eq_u32_e32 vcc, 0, v0
	s_and_saveexec_b64 s[4:5], vcc
	s_cbranch_execz .LBB169_12
; %bb.11:
	s_lshl_b64 s[2:3], s[2:3], 3
	s_add_u32 s0, s0, s2
	s_addc_u32 s1, s1, s3
	s_load_dwordx2 s[0:1], s[0:1], 0x8
	s_waitcnt lgkmcnt(0)
	v_bfe_u32 v0, v7, 16, 1
	s_movk_i32 s4, 0x7fff
	v_add3_u32 v0, v7, v0, s4
	v_cmp_o_f32_e32 vcc, v7, v7
	v_mov_b32_e32 v1, 0x7fc0
	s_nop 0
	v_cndmask_b32_sdwa v0, v1, v0, vcc dst_sel:DWORD dst_unused:UNUSED_PAD src0_sel:DWORD src1_sel:WORD_1
	v_mov_b32_e32 v1, 0
	global_store_short v1, v0, s[0:1]
.LBB169_12:
	s_endpgm
	.section	.rodata,"a",@progbits
	.p2align	6, 0x0
	.amdhsa_kernel _ZN2at6native14lpnorm_cleanupIfLNS0_8NormTypeE0EN3c108BFloat16ELb0EfEEvPKT3_NS0_19TensorListAddressesEi
		.amdhsa_group_segment_fixed_size 2048
		.amdhsa_private_segment_fixed_size 0
		.amdhsa_kernarg_size 3472
		.amdhsa_user_sgpr_count 2
		.amdhsa_user_sgpr_dispatch_ptr 0
		.amdhsa_user_sgpr_queue_ptr 0
		.amdhsa_user_sgpr_kernarg_segment_ptr 1
		.amdhsa_user_sgpr_dispatch_id 0
		.amdhsa_user_sgpr_kernarg_preload_length 0
		.amdhsa_user_sgpr_kernarg_preload_offset 0
		.amdhsa_user_sgpr_private_segment_size 0
		.amdhsa_uses_dynamic_stack 0
		.amdhsa_enable_private_segment 0
		.amdhsa_system_sgpr_workgroup_id_x 1
		.amdhsa_system_sgpr_workgroup_id_y 0
		.amdhsa_system_sgpr_workgroup_id_z 0
		.amdhsa_system_sgpr_workgroup_info 0
		.amdhsa_system_vgpr_workitem_id 0
		.amdhsa_next_free_vgpr 11
		.amdhsa_next_free_sgpr 16
		.amdhsa_accum_offset 12
		.amdhsa_reserve_vcc 1
		.amdhsa_float_round_mode_32 0
		.amdhsa_float_round_mode_16_64 0
		.amdhsa_float_denorm_mode_32 3
		.amdhsa_float_denorm_mode_16_64 3
		.amdhsa_dx10_clamp 1
		.amdhsa_ieee_mode 1
		.amdhsa_fp16_overflow 0
		.amdhsa_tg_split 0
		.amdhsa_exception_fp_ieee_invalid_op 0
		.amdhsa_exception_fp_denorm_src 0
		.amdhsa_exception_fp_ieee_div_zero 0
		.amdhsa_exception_fp_ieee_overflow 0
		.amdhsa_exception_fp_ieee_underflow 0
		.amdhsa_exception_fp_ieee_inexact 0
		.amdhsa_exception_int_div_zero 0
	.end_amdhsa_kernel
	.section	.text._ZN2at6native14lpnorm_cleanupIfLNS0_8NormTypeE0EN3c108BFloat16ELb0EfEEvPKT3_NS0_19TensorListAddressesEi,"axG",@progbits,_ZN2at6native14lpnorm_cleanupIfLNS0_8NormTypeE0EN3c108BFloat16ELb0EfEEvPKT3_NS0_19TensorListAddressesEi,comdat
.Lfunc_end169:
	.size	_ZN2at6native14lpnorm_cleanupIfLNS0_8NormTypeE0EN3c108BFloat16ELb0EfEEvPKT3_NS0_19TensorListAddressesEi, .Lfunc_end169-_ZN2at6native14lpnorm_cleanupIfLNS0_8NormTypeE0EN3c108BFloat16ELb0EfEEvPKT3_NS0_19TensorListAddressesEi
                                        ; -- End function
	.set _ZN2at6native14lpnorm_cleanupIfLNS0_8NormTypeE0EN3c108BFloat16ELb0EfEEvPKT3_NS0_19TensorListAddressesEi.num_vgpr, 11
	.set _ZN2at6native14lpnorm_cleanupIfLNS0_8NormTypeE0EN3c108BFloat16ELb0EfEEvPKT3_NS0_19TensorListAddressesEi.num_agpr, 0
	.set _ZN2at6native14lpnorm_cleanupIfLNS0_8NormTypeE0EN3c108BFloat16ELb0EfEEvPKT3_NS0_19TensorListAddressesEi.numbered_sgpr, 16
	.set _ZN2at6native14lpnorm_cleanupIfLNS0_8NormTypeE0EN3c108BFloat16ELb0EfEEvPKT3_NS0_19TensorListAddressesEi.num_named_barrier, 0
	.set _ZN2at6native14lpnorm_cleanupIfLNS0_8NormTypeE0EN3c108BFloat16ELb0EfEEvPKT3_NS0_19TensorListAddressesEi.private_seg_size, 0
	.set _ZN2at6native14lpnorm_cleanupIfLNS0_8NormTypeE0EN3c108BFloat16ELb0EfEEvPKT3_NS0_19TensorListAddressesEi.uses_vcc, 1
	.set _ZN2at6native14lpnorm_cleanupIfLNS0_8NormTypeE0EN3c108BFloat16ELb0EfEEvPKT3_NS0_19TensorListAddressesEi.uses_flat_scratch, 0
	.set _ZN2at6native14lpnorm_cleanupIfLNS0_8NormTypeE0EN3c108BFloat16ELb0EfEEvPKT3_NS0_19TensorListAddressesEi.has_dyn_sized_stack, 0
	.set _ZN2at6native14lpnorm_cleanupIfLNS0_8NormTypeE0EN3c108BFloat16ELb0EfEEvPKT3_NS0_19TensorListAddressesEi.has_recursion, 0
	.set _ZN2at6native14lpnorm_cleanupIfLNS0_8NormTypeE0EN3c108BFloat16ELb0EfEEvPKT3_NS0_19TensorListAddressesEi.has_indirect_call, 0
	.section	.AMDGPU.csdata,"",@progbits
; Kernel info:
; codeLenInByte = 704
; TotalNumSgprs: 22
; NumVgprs: 11
; NumAgprs: 0
; TotalNumVgprs: 11
; ScratchSize: 0
; MemoryBound: 0
; FloatMode: 240
; IeeeMode: 1
; LDSByteSize: 2048 bytes/workgroup (compile time only)
; SGPRBlocks: 2
; VGPRBlocks: 1
; NumSGPRsForWavesPerEU: 22
; NumVGPRsForWavesPerEU: 11
; AccumOffset: 12
; Occupancy: 8
; WaveLimiterHint : 0
; COMPUTE_PGM_RSRC2:SCRATCH_EN: 0
; COMPUTE_PGM_RSRC2:USER_SGPR: 2
; COMPUTE_PGM_RSRC2:TRAP_HANDLER: 0
; COMPUTE_PGM_RSRC2:TGID_X_EN: 1
; COMPUTE_PGM_RSRC2:TGID_Y_EN: 0
; COMPUTE_PGM_RSRC2:TGID_Z_EN: 0
; COMPUTE_PGM_RSRC2:TIDIG_COMP_CNT: 0
; COMPUTE_PGM_RSRC3_GFX90A:ACCUM_OFFSET: 2
; COMPUTE_PGM_RSRC3_GFX90A:TG_SPLIT: 0
	.section	.text._ZN2at6native14lpnorm_cleanupIfLNS0_8NormTypeE1EN3c108BFloat16ELb0EfEEvPKT3_NS0_19TensorListAddressesEi,"axG",@progbits,_ZN2at6native14lpnorm_cleanupIfLNS0_8NormTypeE1EN3c108BFloat16ELb0EfEEvPKT3_NS0_19TensorListAddressesEi,comdat
	.protected	_ZN2at6native14lpnorm_cleanupIfLNS0_8NormTypeE1EN3c108BFloat16ELb0EfEEvPKT3_NS0_19TensorListAddressesEi ; -- Begin function _ZN2at6native14lpnorm_cleanupIfLNS0_8NormTypeE1EN3c108BFloat16ELb0EfEEvPKT3_NS0_19TensorListAddressesEi
	.globl	_ZN2at6native14lpnorm_cleanupIfLNS0_8NormTypeE1EN3c108BFloat16ELb0EfEEvPKT3_NS0_19TensorListAddressesEi
	.p2align	8
	.type	_ZN2at6native14lpnorm_cleanupIfLNS0_8NormTypeE1EN3c108BFloat16ELb0EfEEvPKT3_NS0_19TensorListAddressesEi,@function
_ZN2at6native14lpnorm_cleanupIfLNS0_8NormTypeE1EN3c108BFloat16ELb0EfEEvPKT3_NS0_19TensorListAddressesEi: ; @_ZN2at6native14lpnorm_cleanupIfLNS0_8NormTypeE1EN3c108BFloat16ELb0EfEEvPKT3_NS0_19TensorListAddressesEi
; %bb.0:
	s_load_dword s6, s[0:1], 0xc88
	v_mov_b32_e32 v1, 0
	s_waitcnt lgkmcnt(0)
	v_cmp_gt_u32_e32 vcc, s6, v0
	s_and_saveexec_b64 s[4:5], vcc
	s_cbranch_execz .LBB170_4
; %bb.1:
	s_load_dwordx2 s[12:13], s[0:1], 0x0
	s_load_dword s3, s[0:1], 0xc9c
	s_mul_i32 s8, s6, s2
	s_mov_b32 s9, 0
	s_ashr_i32 s7, s6, 31
	s_lshl_b64 s[14:15], s[8:9], 2
	s_waitcnt lgkmcnt(0)
	s_and_b32 s10, s3, 0xffff
	v_mov_b32_e32 v1, 0
	s_add_u32 s12, s12, s14
	v_lshlrev_b32_e32 v2, 2, v0
	v_mov_b32_e32 v3, v1
	s_addc_u32 s13, s13, s15
	s_mov_b32 s11, s9
	v_lshl_add_u64 v[2:3], s[12:13], 0, v[2:3]
	s_lshl_b32 s8, s10, 2
	s_mov_b64 s[12:13], 0
	v_mov_b64_e32 v[4:5], v[0:1]
.LBB170_2:                              ; =>This Inner Loop Header: Depth=1
	global_load_dword v6, v[2:3], off
	v_lshl_add_u64 v[4:5], v[4:5], 0, s[10:11]
	v_cmp_le_u64_e32 vcc, s[6:7], v[4:5]
	v_lshl_add_u64 v[2:3], v[2:3], 0, s[8:9]
	s_or_b64 s[12:13], vcc, s[12:13]
	s_waitcnt vmcnt(0)
	v_add_f32_e32 v1, v1, v6
	s_andn2_b64 exec, exec, s[12:13]
	s_cbranch_execnz .LBB170_2
; %bb.3:
	s_or_b64 exec, exec, s[12:13]
.LBB170_4:
	s_or_b64 exec, exec, s[4:5]
	v_mbcnt_lo_u32_b32 v2, -1, 0
	v_mbcnt_hi_u32_b32 v6, -1, v2
	v_mov_b32_e32 v2, 0x80
	v_lshl_or_b32 v2, v6, 2, v2
	ds_bpermute_b32 v3, v2, v1
	v_and_b32_e32 v7, 63, v6
	v_cmp_gt_u32_e32 vcc, 48, v7
	s_waitcnt lgkmcnt(0)
	s_barrier
	v_cndmask_b32_e64 v4, 0, 16, vcc
	v_add_f32_e32 v5, v1, v3
	v_add_lshl_u32 v1, v4, v6, 2
	ds_bpermute_b32 v4, v1, v5
	v_cmp_gt_u32_e32 vcc, 56, v7
	s_waitcnt lgkmcnt(0)
	v_add_f32_e32 v5, v5, v4
	v_cndmask_b32_e64 v3, 0, 8, vcc
	v_add_lshl_u32 v3, v3, v6, 2
	ds_bpermute_b32 v8, v3, v5
	v_cmp_gt_u32_e32 vcc, 60, v7
	s_waitcnt lgkmcnt(0)
	v_add_f32_e32 v8, v5, v8
	v_cndmask_b32_e64 v4, 0, 4, vcc
	;; [unrolled: 6-line block ×3, first 2 shown]
	v_add_lshl_u32 v5, v5, v6, 2
	ds_bpermute_b32 v10, v5, v9
	v_cmp_ne_u32_e32 vcc, 63, v7
	v_and_b32_e32 v8, 63, v0
	s_waitcnt lgkmcnt(0)
	v_add_f32_e32 v7, v9, v10
	v_addc_co_u32_e32 v6, vcc, 0, v6, vcc
	v_lshlrev_b32_e32 v6, 2, v6
	ds_bpermute_b32 v9, v6, v7
	v_cmp_eq_u32_e32 vcc, 0, v8
	s_and_saveexec_b64 s[4:5], vcc
	s_cbranch_execz .LBB170_6
; %bb.5:
	s_waitcnt lgkmcnt(0)
	v_add_f32_e32 v7, v7, v9
	v_lshrrev_b32_e32 v9, 4, v0
	ds_write_b32 v9, v7
.LBB170_6:
	s_or_b64 exec, exec, s[4:5]
	s_waitcnt lgkmcnt(0)
	s_barrier
	s_load_dword s3, s[0:1], 0xc9c
	v_mov_b32_e32 v7, 0
	s_waitcnt lgkmcnt(0)
	s_bfe_u32 s3, s3, 0xa0006
	v_cmp_gt_u32_e32 vcc, s3, v0
	s_and_saveexec_b64 s[4:5], vcc
; %bb.7:
	v_lshlrev_b32_e32 v7, 2, v8
	ds_read_b32 v7, v7
; %bb.8:
	s_or_b64 exec, exec, s[4:5]
	v_cmp_gt_u32_e32 vcc, 64, v0
	s_and_saveexec_b64 s[4:5], vcc
	s_cbranch_execz .LBB170_10
; %bb.9:
	s_waitcnt lgkmcnt(0)
	ds_bpermute_b32 v2, v2, v7
	s_waitcnt lgkmcnt(0)
	v_add_f32_e32 v2, v7, v2
	ds_bpermute_b32 v1, v1, v2
	s_waitcnt lgkmcnt(0)
	v_add_f32_e32 v1, v2, v1
	;; [unrolled: 3-line block ×6, first 2 shown]
.LBB170_10:
	s_or_b64 exec, exec, s[4:5]
	s_mov_b32 s3, 0
	v_cmp_eq_u32_e32 vcc, 0, v0
	s_and_saveexec_b64 s[4:5], vcc
	s_cbranch_execz .LBB170_12
; %bb.11:
	s_lshl_b64 s[2:3], s[2:3], 3
	s_add_u32 s0, s0, s2
	s_addc_u32 s1, s1, s3
	s_load_dwordx2 s[0:1], s[0:1], 0x8
	s_waitcnt lgkmcnt(0)
	v_bfe_u32 v0, v7, 16, 1
	s_movk_i32 s4, 0x7fff
	v_add3_u32 v0, v7, v0, s4
	v_cmp_o_f32_e32 vcc, v7, v7
	v_mov_b32_e32 v1, 0x7fc0
	s_nop 0
	v_cndmask_b32_sdwa v0, v1, v0, vcc dst_sel:DWORD dst_unused:UNUSED_PAD src0_sel:DWORD src1_sel:WORD_1
	v_mov_b32_e32 v1, 0
	global_store_short v1, v0, s[0:1]
.LBB170_12:
	s_endpgm
	.section	.rodata,"a",@progbits
	.p2align	6, 0x0
	.amdhsa_kernel _ZN2at6native14lpnorm_cleanupIfLNS0_8NormTypeE1EN3c108BFloat16ELb0EfEEvPKT3_NS0_19TensorListAddressesEi
		.amdhsa_group_segment_fixed_size 2048
		.amdhsa_private_segment_fixed_size 0
		.amdhsa_kernarg_size 3472
		.amdhsa_user_sgpr_count 2
		.amdhsa_user_sgpr_dispatch_ptr 0
		.amdhsa_user_sgpr_queue_ptr 0
		.amdhsa_user_sgpr_kernarg_segment_ptr 1
		.amdhsa_user_sgpr_dispatch_id 0
		.amdhsa_user_sgpr_kernarg_preload_length 0
		.amdhsa_user_sgpr_kernarg_preload_offset 0
		.amdhsa_user_sgpr_private_segment_size 0
		.amdhsa_uses_dynamic_stack 0
		.amdhsa_enable_private_segment 0
		.amdhsa_system_sgpr_workgroup_id_x 1
		.amdhsa_system_sgpr_workgroup_id_y 0
		.amdhsa_system_sgpr_workgroup_id_z 0
		.amdhsa_system_sgpr_workgroup_info 0
		.amdhsa_system_vgpr_workitem_id 0
		.amdhsa_next_free_vgpr 11
		.amdhsa_next_free_sgpr 16
		.amdhsa_accum_offset 12
		.amdhsa_reserve_vcc 1
		.amdhsa_float_round_mode_32 0
		.amdhsa_float_round_mode_16_64 0
		.amdhsa_float_denorm_mode_32 3
		.amdhsa_float_denorm_mode_16_64 3
		.amdhsa_dx10_clamp 1
		.amdhsa_ieee_mode 1
		.amdhsa_fp16_overflow 0
		.amdhsa_tg_split 0
		.amdhsa_exception_fp_ieee_invalid_op 0
		.amdhsa_exception_fp_denorm_src 0
		.amdhsa_exception_fp_ieee_div_zero 0
		.amdhsa_exception_fp_ieee_overflow 0
		.amdhsa_exception_fp_ieee_underflow 0
		.amdhsa_exception_fp_ieee_inexact 0
		.amdhsa_exception_int_div_zero 0
	.end_amdhsa_kernel
	.section	.text._ZN2at6native14lpnorm_cleanupIfLNS0_8NormTypeE1EN3c108BFloat16ELb0EfEEvPKT3_NS0_19TensorListAddressesEi,"axG",@progbits,_ZN2at6native14lpnorm_cleanupIfLNS0_8NormTypeE1EN3c108BFloat16ELb0EfEEvPKT3_NS0_19TensorListAddressesEi,comdat
.Lfunc_end170:
	.size	_ZN2at6native14lpnorm_cleanupIfLNS0_8NormTypeE1EN3c108BFloat16ELb0EfEEvPKT3_NS0_19TensorListAddressesEi, .Lfunc_end170-_ZN2at6native14lpnorm_cleanupIfLNS0_8NormTypeE1EN3c108BFloat16ELb0EfEEvPKT3_NS0_19TensorListAddressesEi
                                        ; -- End function
	.set _ZN2at6native14lpnorm_cleanupIfLNS0_8NormTypeE1EN3c108BFloat16ELb0EfEEvPKT3_NS0_19TensorListAddressesEi.num_vgpr, 11
	.set _ZN2at6native14lpnorm_cleanupIfLNS0_8NormTypeE1EN3c108BFloat16ELb0EfEEvPKT3_NS0_19TensorListAddressesEi.num_agpr, 0
	.set _ZN2at6native14lpnorm_cleanupIfLNS0_8NormTypeE1EN3c108BFloat16ELb0EfEEvPKT3_NS0_19TensorListAddressesEi.numbered_sgpr, 16
	.set _ZN2at6native14lpnorm_cleanupIfLNS0_8NormTypeE1EN3c108BFloat16ELb0EfEEvPKT3_NS0_19TensorListAddressesEi.num_named_barrier, 0
	.set _ZN2at6native14lpnorm_cleanupIfLNS0_8NormTypeE1EN3c108BFloat16ELb0EfEEvPKT3_NS0_19TensorListAddressesEi.private_seg_size, 0
	.set _ZN2at6native14lpnorm_cleanupIfLNS0_8NormTypeE1EN3c108BFloat16ELb0EfEEvPKT3_NS0_19TensorListAddressesEi.uses_vcc, 1
	.set _ZN2at6native14lpnorm_cleanupIfLNS0_8NormTypeE1EN3c108BFloat16ELb0EfEEvPKT3_NS0_19TensorListAddressesEi.uses_flat_scratch, 0
	.set _ZN2at6native14lpnorm_cleanupIfLNS0_8NormTypeE1EN3c108BFloat16ELb0EfEEvPKT3_NS0_19TensorListAddressesEi.has_dyn_sized_stack, 0
	.set _ZN2at6native14lpnorm_cleanupIfLNS0_8NormTypeE1EN3c108BFloat16ELb0EfEEvPKT3_NS0_19TensorListAddressesEi.has_recursion, 0
	.set _ZN2at6native14lpnorm_cleanupIfLNS0_8NormTypeE1EN3c108BFloat16ELb0EfEEvPKT3_NS0_19TensorListAddressesEi.has_indirect_call, 0
	.section	.AMDGPU.csdata,"",@progbits
; Kernel info:
; codeLenInByte = 704
; TotalNumSgprs: 22
; NumVgprs: 11
; NumAgprs: 0
; TotalNumVgprs: 11
; ScratchSize: 0
; MemoryBound: 0
; FloatMode: 240
; IeeeMode: 1
; LDSByteSize: 2048 bytes/workgroup (compile time only)
; SGPRBlocks: 2
; VGPRBlocks: 1
; NumSGPRsForWavesPerEU: 22
; NumVGPRsForWavesPerEU: 11
; AccumOffset: 12
; Occupancy: 8
; WaveLimiterHint : 0
; COMPUTE_PGM_RSRC2:SCRATCH_EN: 0
; COMPUTE_PGM_RSRC2:USER_SGPR: 2
; COMPUTE_PGM_RSRC2:TRAP_HANDLER: 0
; COMPUTE_PGM_RSRC2:TGID_X_EN: 1
; COMPUTE_PGM_RSRC2:TGID_Y_EN: 0
; COMPUTE_PGM_RSRC2:TGID_Z_EN: 0
; COMPUTE_PGM_RSRC2:TIDIG_COMP_CNT: 0
; COMPUTE_PGM_RSRC3_GFX90A:ACCUM_OFFSET: 2
; COMPUTE_PGM_RSRC3_GFX90A:TG_SPLIT: 0
	.section	.text._ZN2at6native14lpnorm_cleanupIfLNS0_8NormTypeE2EN3c108BFloat16ELb0EfEEvPKT3_NS0_19TensorListAddressesEi,"axG",@progbits,_ZN2at6native14lpnorm_cleanupIfLNS0_8NormTypeE2EN3c108BFloat16ELb0EfEEvPKT3_NS0_19TensorListAddressesEi,comdat
	.protected	_ZN2at6native14lpnorm_cleanupIfLNS0_8NormTypeE2EN3c108BFloat16ELb0EfEEvPKT3_NS0_19TensorListAddressesEi ; -- Begin function _ZN2at6native14lpnorm_cleanupIfLNS0_8NormTypeE2EN3c108BFloat16ELb0EfEEvPKT3_NS0_19TensorListAddressesEi
	.globl	_ZN2at6native14lpnorm_cleanupIfLNS0_8NormTypeE2EN3c108BFloat16ELb0EfEEvPKT3_NS0_19TensorListAddressesEi
	.p2align	8
	.type	_ZN2at6native14lpnorm_cleanupIfLNS0_8NormTypeE2EN3c108BFloat16ELb0EfEEvPKT3_NS0_19TensorListAddressesEi,@function
_ZN2at6native14lpnorm_cleanupIfLNS0_8NormTypeE2EN3c108BFloat16ELb0EfEEvPKT3_NS0_19TensorListAddressesEi: ; @_ZN2at6native14lpnorm_cleanupIfLNS0_8NormTypeE2EN3c108BFloat16ELb0EfEEvPKT3_NS0_19TensorListAddressesEi
; %bb.0:
	s_load_dword s6, s[0:1], 0xc88
	v_mov_b32_e32 v1, 0
	s_waitcnt lgkmcnt(0)
	v_cmp_gt_u32_e32 vcc, s6, v0
	s_and_saveexec_b64 s[4:5], vcc
	s_cbranch_execz .LBB171_4
; %bb.1:
	s_load_dwordx2 s[12:13], s[0:1], 0x0
	s_load_dword s3, s[0:1], 0xc9c
	s_mul_i32 s8, s6, s2
	s_mov_b32 s9, 0
	s_ashr_i32 s7, s6, 31
	s_lshl_b64 s[14:15], s[8:9], 2
	s_waitcnt lgkmcnt(0)
	s_and_b32 s10, s3, 0xffff
	v_mov_b32_e32 v1, 0
	s_add_u32 s12, s12, s14
	v_lshlrev_b32_e32 v2, 2, v0
	v_mov_b32_e32 v3, v1
	s_addc_u32 s13, s13, s15
	s_mov_b32 s11, s9
	v_lshl_add_u64 v[2:3], s[12:13], 0, v[2:3]
	s_lshl_b32 s8, s10, 2
	s_mov_b64 s[12:13], 0
	v_mov_b64_e32 v[4:5], v[0:1]
.LBB171_2:                              ; =>This Inner Loop Header: Depth=1
	global_load_dword v6, v[2:3], off
	v_lshl_add_u64 v[4:5], v[4:5], 0, s[10:11]
	v_cmp_le_u64_e32 vcc, s[6:7], v[4:5]
	v_lshl_add_u64 v[2:3], v[2:3], 0, s[8:9]
	s_or_b64 s[12:13], vcc, s[12:13]
	s_waitcnt vmcnt(0)
	v_add_f32_e32 v1, v1, v6
	s_andn2_b64 exec, exec, s[12:13]
	s_cbranch_execnz .LBB171_2
; %bb.3:
	s_or_b64 exec, exec, s[12:13]
.LBB171_4:
	s_or_b64 exec, exec, s[4:5]
	v_mbcnt_lo_u32_b32 v2, -1, 0
	v_mbcnt_hi_u32_b32 v6, -1, v2
	v_mov_b32_e32 v2, 0x80
	v_lshl_or_b32 v2, v6, 2, v2
	ds_bpermute_b32 v3, v2, v1
	v_and_b32_e32 v7, 63, v6
	v_cmp_gt_u32_e32 vcc, 48, v7
	s_waitcnt lgkmcnt(0)
	s_barrier
	v_cndmask_b32_e64 v4, 0, 16, vcc
	v_add_f32_e32 v5, v1, v3
	v_add_lshl_u32 v1, v4, v6, 2
	ds_bpermute_b32 v4, v1, v5
	v_cmp_gt_u32_e32 vcc, 56, v7
	s_waitcnt lgkmcnt(0)
	v_add_f32_e32 v5, v5, v4
	v_cndmask_b32_e64 v3, 0, 8, vcc
	v_add_lshl_u32 v3, v3, v6, 2
	ds_bpermute_b32 v8, v3, v5
	v_cmp_gt_u32_e32 vcc, 60, v7
	s_waitcnt lgkmcnt(0)
	v_add_f32_e32 v8, v5, v8
	v_cndmask_b32_e64 v4, 0, 4, vcc
	v_add_lshl_u32 v4, v4, v6, 2
	ds_bpermute_b32 v9, v4, v8
	v_cmp_gt_u32_e32 vcc, 62, v7
	s_waitcnt lgkmcnt(0)
	v_add_f32_e32 v9, v8, v9
	v_cndmask_b32_e64 v5, 0, 2, vcc
	v_add_lshl_u32 v5, v5, v6, 2
	ds_bpermute_b32 v10, v5, v9
	v_cmp_ne_u32_e32 vcc, 63, v7
	v_and_b32_e32 v8, 63, v0
	s_waitcnt lgkmcnt(0)
	v_add_f32_e32 v7, v9, v10
	v_addc_co_u32_e32 v6, vcc, 0, v6, vcc
	v_lshlrev_b32_e32 v6, 2, v6
	ds_bpermute_b32 v9, v6, v7
	v_cmp_eq_u32_e32 vcc, 0, v8
	s_and_saveexec_b64 s[4:5], vcc
	s_cbranch_execz .LBB171_6
; %bb.5:
	s_waitcnt lgkmcnt(0)
	v_add_f32_e32 v7, v7, v9
	v_lshrrev_b32_e32 v9, 4, v0
	ds_write_b32 v9, v7
.LBB171_6:
	s_or_b64 exec, exec, s[4:5]
	s_waitcnt lgkmcnt(0)
	s_barrier
	s_load_dword s3, s[0:1], 0xc9c
	v_mov_b32_e32 v7, 0
	s_waitcnt lgkmcnt(0)
	s_bfe_u32 s3, s3, 0xa0006
	v_cmp_gt_u32_e32 vcc, s3, v0
	s_and_saveexec_b64 s[4:5], vcc
; %bb.7:
	v_lshlrev_b32_e32 v7, 2, v8
	ds_read_b32 v7, v7
; %bb.8:
	s_or_b64 exec, exec, s[4:5]
	v_cmp_gt_u32_e32 vcc, 64, v0
	s_and_saveexec_b64 s[4:5], vcc
	s_cbranch_execz .LBB171_10
; %bb.9:
	s_waitcnt lgkmcnt(0)
	ds_bpermute_b32 v2, v2, v7
	s_waitcnt lgkmcnt(0)
	v_add_f32_e32 v2, v7, v2
	ds_bpermute_b32 v1, v1, v2
	s_waitcnt lgkmcnt(0)
	v_add_f32_e32 v1, v2, v1
	;; [unrolled: 3-line block ×6, first 2 shown]
.LBB171_10:
	s_or_b64 exec, exec, s[4:5]
	s_mov_b32 s3, 0
	v_cmp_eq_u32_e32 vcc, 0, v0
	s_and_saveexec_b64 s[4:5], vcc
	s_cbranch_execz .LBB171_12
; %bb.11:
	s_lshl_b64 s[2:3], s[2:3], 3
	s_add_u32 s0, s0, s2
	s_addc_u32 s1, s1, s3
	s_load_dwordx2 s[0:1], s[0:1], 0x8
	s_waitcnt lgkmcnt(0)
	v_bfe_u32 v0, v7, 16, 1
	s_movk_i32 s4, 0x7fff
	v_add3_u32 v0, v7, v0, s4
	v_cmp_o_f32_e32 vcc, v7, v7
	v_mov_b32_e32 v1, 0x7fc0
	s_nop 0
	v_cndmask_b32_sdwa v0, v1, v0, vcc dst_sel:DWORD dst_unused:UNUSED_PAD src0_sel:DWORD src1_sel:WORD_1
	v_mov_b32_e32 v1, 0
	global_store_short v1, v0, s[0:1]
.LBB171_12:
	s_endpgm
	.section	.rodata,"a",@progbits
	.p2align	6, 0x0
	.amdhsa_kernel _ZN2at6native14lpnorm_cleanupIfLNS0_8NormTypeE2EN3c108BFloat16ELb0EfEEvPKT3_NS0_19TensorListAddressesEi
		.amdhsa_group_segment_fixed_size 2048
		.amdhsa_private_segment_fixed_size 0
		.amdhsa_kernarg_size 3472
		.amdhsa_user_sgpr_count 2
		.amdhsa_user_sgpr_dispatch_ptr 0
		.amdhsa_user_sgpr_queue_ptr 0
		.amdhsa_user_sgpr_kernarg_segment_ptr 1
		.amdhsa_user_sgpr_dispatch_id 0
		.amdhsa_user_sgpr_kernarg_preload_length 0
		.amdhsa_user_sgpr_kernarg_preload_offset 0
		.amdhsa_user_sgpr_private_segment_size 0
		.amdhsa_uses_dynamic_stack 0
		.amdhsa_enable_private_segment 0
		.amdhsa_system_sgpr_workgroup_id_x 1
		.amdhsa_system_sgpr_workgroup_id_y 0
		.amdhsa_system_sgpr_workgroup_id_z 0
		.amdhsa_system_sgpr_workgroup_info 0
		.amdhsa_system_vgpr_workitem_id 0
		.amdhsa_next_free_vgpr 11
		.amdhsa_next_free_sgpr 16
		.amdhsa_accum_offset 12
		.amdhsa_reserve_vcc 1
		.amdhsa_float_round_mode_32 0
		.amdhsa_float_round_mode_16_64 0
		.amdhsa_float_denorm_mode_32 3
		.amdhsa_float_denorm_mode_16_64 3
		.amdhsa_dx10_clamp 1
		.amdhsa_ieee_mode 1
		.amdhsa_fp16_overflow 0
		.amdhsa_tg_split 0
		.amdhsa_exception_fp_ieee_invalid_op 0
		.amdhsa_exception_fp_denorm_src 0
		.amdhsa_exception_fp_ieee_div_zero 0
		.amdhsa_exception_fp_ieee_overflow 0
		.amdhsa_exception_fp_ieee_underflow 0
		.amdhsa_exception_fp_ieee_inexact 0
		.amdhsa_exception_int_div_zero 0
	.end_amdhsa_kernel
	.section	.text._ZN2at6native14lpnorm_cleanupIfLNS0_8NormTypeE2EN3c108BFloat16ELb0EfEEvPKT3_NS0_19TensorListAddressesEi,"axG",@progbits,_ZN2at6native14lpnorm_cleanupIfLNS0_8NormTypeE2EN3c108BFloat16ELb0EfEEvPKT3_NS0_19TensorListAddressesEi,comdat
.Lfunc_end171:
	.size	_ZN2at6native14lpnorm_cleanupIfLNS0_8NormTypeE2EN3c108BFloat16ELb0EfEEvPKT3_NS0_19TensorListAddressesEi, .Lfunc_end171-_ZN2at6native14lpnorm_cleanupIfLNS0_8NormTypeE2EN3c108BFloat16ELb0EfEEvPKT3_NS0_19TensorListAddressesEi
                                        ; -- End function
	.set _ZN2at6native14lpnorm_cleanupIfLNS0_8NormTypeE2EN3c108BFloat16ELb0EfEEvPKT3_NS0_19TensorListAddressesEi.num_vgpr, 11
	.set _ZN2at6native14lpnorm_cleanupIfLNS0_8NormTypeE2EN3c108BFloat16ELb0EfEEvPKT3_NS0_19TensorListAddressesEi.num_agpr, 0
	.set _ZN2at6native14lpnorm_cleanupIfLNS0_8NormTypeE2EN3c108BFloat16ELb0EfEEvPKT3_NS0_19TensorListAddressesEi.numbered_sgpr, 16
	.set _ZN2at6native14lpnorm_cleanupIfLNS0_8NormTypeE2EN3c108BFloat16ELb0EfEEvPKT3_NS0_19TensorListAddressesEi.num_named_barrier, 0
	.set _ZN2at6native14lpnorm_cleanupIfLNS0_8NormTypeE2EN3c108BFloat16ELb0EfEEvPKT3_NS0_19TensorListAddressesEi.private_seg_size, 0
	.set _ZN2at6native14lpnorm_cleanupIfLNS0_8NormTypeE2EN3c108BFloat16ELb0EfEEvPKT3_NS0_19TensorListAddressesEi.uses_vcc, 1
	.set _ZN2at6native14lpnorm_cleanupIfLNS0_8NormTypeE2EN3c108BFloat16ELb0EfEEvPKT3_NS0_19TensorListAddressesEi.uses_flat_scratch, 0
	.set _ZN2at6native14lpnorm_cleanupIfLNS0_8NormTypeE2EN3c108BFloat16ELb0EfEEvPKT3_NS0_19TensorListAddressesEi.has_dyn_sized_stack, 0
	.set _ZN2at6native14lpnorm_cleanupIfLNS0_8NormTypeE2EN3c108BFloat16ELb0EfEEvPKT3_NS0_19TensorListAddressesEi.has_recursion, 0
	.set _ZN2at6native14lpnorm_cleanupIfLNS0_8NormTypeE2EN3c108BFloat16ELb0EfEEvPKT3_NS0_19TensorListAddressesEi.has_indirect_call, 0
	.section	.AMDGPU.csdata,"",@progbits
; Kernel info:
; codeLenInByte = 704
; TotalNumSgprs: 22
; NumVgprs: 11
; NumAgprs: 0
; TotalNumVgprs: 11
; ScratchSize: 0
; MemoryBound: 0
; FloatMode: 240
; IeeeMode: 1
; LDSByteSize: 2048 bytes/workgroup (compile time only)
; SGPRBlocks: 2
; VGPRBlocks: 1
; NumSGPRsForWavesPerEU: 22
; NumVGPRsForWavesPerEU: 11
; AccumOffset: 12
; Occupancy: 8
; WaveLimiterHint : 0
; COMPUTE_PGM_RSRC2:SCRATCH_EN: 0
; COMPUTE_PGM_RSRC2:USER_SGPR: 2
; COMPUTE_PGM_RSRC2:TRAP_HANDLER: 0
; COMPUTE_PGM_RSRC2:TGID_X_EN: 1
; COMPUTE_PGM_RSRC2:TGID_Y_EN: 0
; COMPUTE_PGM_RSRC2:TGID_Z_EN: 0
; COMPUTE_PGM_RSRC2:TIDIG_COMP_CNT: 0
; COMPUTE_PGM_RSRC3_GFX90A:ACCUM_OFFSET: 2
; COMPUTE_PGM_RSRC3_GFX90A:TG_SPLIT: 0
	.section	.text._ZN2at6native14lpnorm_cleanupIN3c104HalfELNS0_8NormTypeE0EdLb0EdEEvPKT3_NS0_19TensorListAddressesEi,"axG",@progbits,_ZN2at6native14lpnorm_cleanupIN3c104HalfELNS0_8NormTypeE0EdLb0EdEEvPKT3_NS0_19TensorListAddressesEi,comdat
	.protected	_ZN2at6native14lpnorm_cleanupIN3c104HalfELNS0_8NormTypeE0EdLb0EdEEvPKT3_NS0_19TensorListAddressesEi ; -- Begin function _ZN2at6native14lpnorm_cleanupIN3c104HalfELNS0_8NormTypeE0EdLb0EdEEvPKT3_NS0_19TensorListAddressesEi
	.globl	_ZN2at6native14lpnorm_cleanupIN3c104HalfELNS0_8NormTypeE0EdLb0EdEEvPKT3_NS0_19TensorListAddressesEi
	.p2align	8
	.type	_ZN2at6native14lpnorm_cleanupIN3c104HalfELNS0_8NormTypeE0EdLb0EdEEvPKT3_NS0_19TensorListAddressesEi,@function
_ZN2at6native14lpnorm_cleanupIN3c104HalfELNS0_8NormTypeE0EdLb0EdEEvPKT3_NS0_19TensorListAddressesEi: ; @_ZN2at6native14lpnorm_cleanupIN3c104HalfELNS0_8NormTypeE0EdLb0EdEEvPKT3_NS0_19TensorListAddressesEi
; %bb.0:
	s_load_dword s6, s[0:1], 0xc88
	v_mov_b64_e32 v[2:3], 0
	s_waitcnt lgkmcnt(0)
	v_cmp_gt_u32_e32 vcc, s6, v0
	s_and_saveexec_b64 s[4:5], vcc
	s_cbranch_execz .LBB172_4
; %bb.1:
	s_load_dwordx2 s[12:13], s[0:1], 0x0
	s_load_dword s3, s[0:1], 0xc9c
	s_mul_i32 s8, s6, s2
	s_mov_b32 s9, 0
	s_ashr_i32 s7, s6, 31
	s_lshl_b64 s[14:15], s[8:9], 3
	s_waitcnt lgkmcnt(0)
	s_and_b32 s10, s3, 0xffff
	v_mov_b32_e32 v1, 0
	s_add_u32 s12, s12, s14
	v_lshlrev_b32_e32 v2, 3, v0
	v_mov_b32_e32 v3, v1
	s_addc_u32 s13, s13, s15
	s_mov_b32 s11, s9
	v_lshl_add_u64 v[4:5], s[12:13], 0, v[2:3]
	s_lshl_b32 s8, s10, 3
	v_mov_b64_e32 v[2:3], 0
	s_mov_b64 s[12:13], 0
	v_mov_b64_e32 v[6:7], v[0:1]
.LBB172_2:                              ; =>This Inner Loop Header: Depth=1
	global_load_dwordx2 v[8:9], v[4:5], off
	v_lshl_add_u64 v[6:7], v[6:7], 0, s[10:11]
	v_cmp_le_u64_e32 vcc, s[6:7], v[6:7]
	v_lshl_add_u64 v[4:5], v[4:5], 0, s[8:9]
	s_or_b64 s[12:13], vcc, s[12:13]
	s_waitcnt vmcnt(0)
	v_add_f64 v[2:3], v[2:3], v[8:9]
	s_andn2_b64 exec, exec, s[12:13]
	s_cbranch_execnz .LBB172_2
; %bb.3:
	s_or_b64 exec, exec, s[12:13]
.LBB172_4:
	s_or_b64 exec, exec, s[4:5]
	v_mbcnt_lo_u32_b32 v1, -1, 0
	v_mbcnt_hi_u32_b32 v10, -1, v1
	v_mov_b32_e32 v1, 0x80
	v_lshl_or_b32 v1, v10, 2, v1
	ds_bpermute_b32 v4, v1, v2
	ds_bpermute_b32 v5, v1, v3
	v_and_b32_e32 v12, 63, v10
	v_cmp_gt_u32_e32 vcc, 48, v12
	v_and_b32_e32 v11, 63, v0
	s_waitcnt lgkmcnt(0)
	v_add_f64 v[2:3], v[2:3], v[4:5]
	v_cndmask_b32_e64 v4, 0, 16, vcc
	v_add_lshl_u32 v6, v4, v10, 2
	ds_bpermute_b32 v4, v6, v2
	ds_bpermute_b32 v5, v6, v3
	v_cmp_gt_u32_e32 vcc, 56, v12
	s_barrier
	s_waitcnt lgkmcnt(0)
	v_add_f64 v[2:3], v[2:3], v[4:5]
	v_cndmask_b32_e64 v4, 0, 8, vcc
	v_add_lshl_u32 v7, v4, v10, 2
	ds_bpermute_b32 v4, v7, v2
	ds_bpermute_b32 v5, v7, v3
	v_cmp_gt_u32_e32 vcc, 60, v12
	s_waitcnt lgkmcnt(0)
	v_add_f64 v[2:3], v[2:3], v[4:5]
	v_cndmask_b32_e64 v4, 0, 4, vcc
	v_add_lshl_u32 v8, v4, v10, 2
	ds_bpermute_b32 v4, v8, v2
	ds_bpermute_b32 v5, v8, v3
	v_cmp_gt_u32_e32 vcc, 62, v12
	s_waitcnt lgkmcnt(0)
	v_add_f64 v[2:3], v[2:3], v[4:5]
	v_cndmask_b32_e64 v4, 0, 2, vcc
	v_add_lshl_u32 v9, v4, v10, 2
	ds_bpermute_b32 v4, v9, v2
	ds_bpermute_b32 v5, v9, v3
	v_cmp_ne_u32_e32 vcc, 63, v12
	s_waitcnt lgkmcnt(0)
	v_add_f64 v[2:3], v[2:3], v[4:5]
	v_addc_co_u32_e32 v4, vcc, 0, v10, vcc
	v_lshlrev_b32_e32 v10, 2, v4
	ds_bpermute_b32 v4, v10, v2
	ds_bpermute_b32 v5, v10, v3
	v_cmp_eq_u32_e32 vcc, 0, v11
	s_and_saveexec_b64 s[4:5], vcc
	s_cbranch_execz .LBB172_6
; %bb.5:
	v_lshrrev_b32_e32 v12, 3, v0
	s_waitcnt lgkmcnt(0)
	v_add_f64 v[2:3], v[2:3], v[4:5]
	ds_write_b64 v12, v[2:3]
.LBB172_6:
	s_or_b64 exec, exec, s[4:5]
	s_waitcnt lgkmcnt(0)
	s_barrier
	s_load_dword s3, s[0:1], 0xc9c
	v_mov_b64_e32 v[2:3], 0
	s_waitcnt lgkmcnt(0)
	s_bfe_u32 s3, s3, 0xa0006
	v_cmp_gt_u32_e32 vcc, s3, v0
	s_and_saveexec_b64 s[4:5], vcc
; %bb.7:
	v_lshlrev_b32_e32 v2, 3, v11
	ds_read_b64 v[2:3], v2
; %bb.8:
	s_or_b64 exec, exec, s[4:5]
	v_cmp_gt_u32_e32 vcc, 64, v0
	s_and_saveexec_b64 s[4:5], vcc
	s_cbranch_execz .LBB172_10
; %bb.9:
	s_waitcnt lgkmcnt(0)
	ds_bpermute_b32 v4, v1, v2
	ds_bpermute_b32 v5, v1, v3
	s_waitcnt lgkmcnt(0)
	v_add_f64 v[2:3], v[2:3], v[4:5]
	ds_bpermute_b32 v4, v6, v2
	ds_bpermute_b32 v5, v6, v3
	s_waitcnt lgkmcnt(0)
	v_add_f64 v[2:3], v[2:3], v[4:5]
	;; [unrolled: 4-line block ×6, first 2 shown]
.LBB172_10:
	s_or_b64 exec, exec, s[4:5]
	s_mov_b32 s3, 0
	v_cmp_eq_u32_e32 vcc, 0, v0
	s_and_saveexec_b64 s[4:5], vcc
	s_cbranch_execz .LBB172_12
; %bb.11:
	s_lshl_b64 s[2:3], s[2:3], 3
	s_add_u32 s0, s0, s2
	s_addc_u32 s1, s1, s3
	s_load_dwordx2 s[0:1], s[0:1], 0x8
	v_mov_b32_e32 v0, 0
	s_waitcnt lgkmcnt(0)
	global_store_dwordx2 v0, v[2:3], s[0:1]
.LBB172_12:
	s_endpgm
	.section	.rodata,"a",@progbits
	.p2align	6, 0x0
	.amdhsa_kernel _ZN2at6native14lpnorm_cleanupIN3c104HalfELNS0_8NormTypeE0EdLb0EdEEvPKT3_NS0_19TensorListAddressesEi
		.amdhsa_group_segment_fixed_size 4096
		.amdhsa_private_segment_fixed_size 0
		.amdhsa_kernarg_size 3472
		.amdhsa_user_sgpr_count 2
		.amdhsa_user_sgpr_dispatch_ptr 0
		.amdhsa_user_sgpr_queue_ptr 0
		.amdhsa_user_sgpr_kernarg_segment_ptr 1
		.amdhsa_user_sgpr_dispatch_id 0
		.amdhsa_user_sgpr_kernarg_preload_length 0
		.amdhsa_user_sgpr_kernarg_preload_offset 0
		.amdhsa_user_sgpr_private_segment_size 0
		.amdhsa_uses_dynamic_stack 0
		.amdhsa_enable_private_segment 0
		.amdhsa_system_sgpr_workgroup_id_x 1
		.amdhsa_system_sgpr_workgroup_id_y 0
		.amdhsa_system_sgpr_workgroup_id_z 0
		.amdhsa_system_sgpr_workgroup_info 0
		.amdhsa_system_vgpr_workitem_id 0
		.amdhsa_next_free_vgpr 13
		.amdhsa_next_free_sgpr 16
		.amdhsa_accum_offset 16
		.amdhsa_reserve_vcc 1
		.amdhsa_float_round_mode_32 0
		.amdhsa_float_round_mode_16_64 0
		.amdhsa_float_denorm_mode_32 3
		.amdhsa_float_denorm_mode_16_64 3
		.amdhsa_dx10_clamp 1
		.amdhsa_ieee_mode 1
		.amdhsa_fp16_overflow 0
		.amdhsa_tg_split 0
		.amdhsa_exception_fp_ieee_invalid_op 0
		.amdhsa_exception_fp_denorm_src 0
		.amdhsa_exception_fp_ieee_div_zero 0
		.amdhsa_exception_fp_ieee_overflow 0
		.amdhsa_exception_fp_ieee_underflow 0
		.amdhsa_exception_fp_ieee_inexact 0
		.amdhsa_exception_int_div_zero 0
	.end_amdhsa_kernel
	.section	.text._ZN2at6native14lpnorm_cleanupIN3c104HalfELNS0_8NormTypeE0EdLb0EdEEvPKT3_NS0_19TensorListAddressesEi,"axG",@progbits,_ZN2at6native14lpnorm_cleanupIN3c104HalfELNS0_8NormTypeE0EdLb0EdEEvPKT3_NS0_19TensorListAddressesEi,comdat
.Lfunc_end172:
	.size	_ZN2at6native14lpnorm_cleanupIN3c104HalfELNS0_8NormTypeE0EdLb0EdEEvPKT3_NS0_19TensorListAddressesEi, .Lfunc_end172-_ZN2at6native14lpnorm_cleanupIN3c104HalfELNS0_8NormTypeE0EdLb0EdEEvPKT3_NS0_19TensorListAddressesEi
                                        ; -- End function
	.set _ZN2at6native14lpnorm_cleanupIN3c104HalfELNS0_8NormTypeE0EdLb0EdEEvPKT3_NS0_19TensorListAddressesEi.num_vgpr, 13
	.set _ZN2at6native14lpnorm_cleanupIN3c104HalfELNS0_8NormTypeE0EdLb0EdEEvPKT3_NS0_19TensorListAddressesEi.num_agpr, 0
	.set _ZN2at6native14lpnorm_cleanupIN3c104HalfELNS0_8NormTypeE0EdLb0EdEEvPKT3_NS0_19TensorListAddressesEi.numbered_sgpr, 16
	.set _ZN2at6native14lpnorm_cleanupIN3c104HalfELNS0_8NormTypeE0EdLb0EdEEvPKT3_NS0_19TensorListAddressesEi.num_named_barrier, 0
	.set _ZN2at6native14lpnorm_cleanupIN3c104HalfELNS0_8NormTypeE0EdLb0EdEEvPKT3_NS0_19TensorListAddressesEi.private_seg_size, 0
	.set _ZN2at6native14lpnorm_cleanupIN3c104HalfELNS0_8NormTypeE0EdLb0EdEEvPKT3_NS0_19TensorListAddressesEi.uses_vcc, 1
	.set _ZN2at6native14lpnorm_cleanupIN3c104HalfELNS0_8NormTypeE0EdLb0EdEEvPKT3_NS0_19TensorListAddressesEi.uses_flat_scratch, 0
	.set _ZN2at6native14lpnorm_cleanupIN3c104HalfELNS0_8NormTypeE0EdLb0EdEEvPKT3_NS0_19TensorListAddressesEi.has_dyn_sized_stack, 0
	.set _ZN2at6native14lpnorm_cleanupIN3c104HalfELNS0_8NormTypeE0EdLb0EdEEvPKT3_NS0_19TensorListAddressesEi.has_recursion, 0
	.set _ZN2at6native14lpnorm_cleanupIN3c104HalfELNS0_8NormTypeE0EdLb0EdEEvPKT3_NS0_19TensorListAddressesEi.has_indirect_call, 0
	.section	.AMDGPU.csdata,"",@progbits
; Kernel info:
; codeLenInByte = 812
; TotalNumSgprs: 22
; NumVgprs: 13
; NumAgprs: 0
; TotalNumVgprs: 13
; ScratchSize: 0
; MemoryBound: 0
; FloatMode: 240
; IeeeMode: 1
; LDSByteSize: 4096 bytes/workgroup (compile time only)
; SGPRBlocks: 2
; VGPRBlocks: 1
; NumSGPRsForWavesPerEU: 22
; NumVGPRsForWavesPerEU: 13
; AccumOffset: 16
; Occupancy: 8
; WaveLimiterHint : 0
; COMPUTE_PGM_RSRC2:SCRATCH_EN: 0
; COMPUTE_PGM_RSRC2:USER_SGPR: 2
; COMPUTE_PGM_RSRC2:TRAP_HANDLER: 0
; COMPUTE_PGM_RSRC2:TGID_X_EN: 1
; COMPUTE_PGM_RSRC2:TGID_Y_EN: 0
; COMPUTE_PGM_RSRC2:TGID_Z_EN: 0
; COMPUTE_PGM_RSRC2:TIDIG_COMP_CNT: 0
; COMPUTE_PGM_RSRC3_GFX90A:ACCUM_OFFSET: 3
; COMPUTE_PGM_RSRC3_GFX90A:TG_SPLIT: 0
	.section	.text._ZN2at6native14lpnorm_cleanupIN3c104HalfELNS0_8NormTypeE1EdLb0EdEEvPKT3_NS0_19TensorListAddressesEi,"axG",@progbits,_ZN2at6native14lpnorm_cleanupIN3c104HalfELNS0_8NormTypeE1EdLb0EdEEvPKT3_NS0_19TensorListAddressesEi,comdat
	.protected	_ZN2at6native14lpnorm_cleanupIN3c104HalfELNS0_8NormTypeE1EdLb0EdEEvPKT3_NS0_19TensorListAddressesEi ; -- Begin function _ZN2at6native14lpnorm_cleanupIN3c104HalfELNS0_8NormTypeE1EdLb0EdEEvPKT3_NS0_19TensorListAddressesEi
	.globl	_ZN2at6native14lpnorm_cleanupIN3c104HalfELNS0_8NormTypeE1EdLb0EdEEvPKT3_NS0_19TensorListAddressesEi
	.p2align	8
	.type	_ZN2at6native14lpnorm_cleanupIN3c104HalfELNS0_8NormTypeE1EdLb0EdEEvPKT3_NS0_19TensorListAddressesEi,@function
_ZN2at6native14lpnorm_cleanupIN3c104HalfELNS0_8NormTypeE1EdLb0EdEEvPKT3_NS0_19TensorListAddressesEi: ; @_ZN2at6native14lpnorm_cleanupIN3c104HalfELNS0_8NormTypeE1EdLb0EdEEvPKT3_NS0_19TensorListAddressesEi
; %bb.0:
	s_load_dword s6, s[0:1], 0xc88
	v_mov_b64_e32 v[2:3], 0
	s_waitcnt lgkmcnt(0)
	v_cmp_gt_u32_e32 vcc, s6, v0
	s_and_saveexec_b64 s[4:5], vcc
	s_cbranch_execz .LBB173_4
; %bb.1:
	s_load_dwordx2 s[12:13], s[0:1], 0x0
	s_load_dword s3, s[0:1], 0xc9c
	s_mul_i32 s8, s6, s2
	s_mov_b32 s9, 0
	s_ashr_i32 s7, s6, 31
	s_lshl_b64 s[14:15], s[8:9], 3
	s_waitcnt lgkmcnt(0)
	s_and_b32 s10, s3, 0xffff
	v_mov_b32_e32 v1, 0
	s_add_u32 s12, s12, s14
	v_lshlrev_b32_e32 v2, 3, v0
	v_mov_b32_e32 v3, v1
	s_addc_u32 s13, s13, s15
	s_mov_b32 s11, s9
	v_lshl_add_u64 v[4:5], s[12:13], 0, v[2:3]
	s_lshl_b32 s8, s10, 3
	v_mov_b64_e32 v[2:3], 0
	s_mov_b64 s[12:13], 0
	v_mov_b64_e32 v[6:7], v[0:1]
.LBB173_2:                              ; =>This Inner Loop Header: Depth=1
	global_load_dwordx2 v[8:9], v[4:5], off
	v_lshl_add_u64 v[6:7], v[6:7], 0, s[10:11]
	v_cmp_le_u64_e32 vcc, s[6:7], v[6:7]
	v_lshl_add_u64 v[4:5], v[4:5], 0, s[8:9]
	s_or_b64 s[12:13], vcc, s[12:13]
	s_waitcnt vmcnt(0)
	v_add_f64 v[2:3], v[2:3], v[8:9]
	s_andn2_b64 exec, exec, s[12:13]
	s_cbranch_execnz .LBB173_2
; %bb.3:
	s_or_b64 exec, exec, s[12:13]
.LBB173_4:
	s_or_b64 exec, exec, s[4:5]
	v_mbcnt_lo_u32_b32 v1, -1, 0
	v_mbcnt_hi_u32_b32 v10, -1, v1
	v_mov_b32_e32 v1, 0x80
	v_lshl_or_b32 v1, v10, 2, v1
	ds_bpermute_b32 v4, v1, v2
	ds_bpermute_b32 v5, v1, v3
	v_and_b32_e32 v12, 63, v10
	v_cmp_gt_u32_e32 vcc, 48, v12
	v_and_b32_e32 v11, 63, v0
	s_waitcnt lgkmcnt(0)
	v_add_f64 v[2:3], v[2:3], v[4:5]
	v_cndmask_b32_e64 v4, 0, 16, vcc
	v_add_lshl_u32 v6, v4, v10, 2
	ds_bpermute_b32 v4, v6, v2
	ds_bpermute_b32 v5, v6, v3
	v_cmp_gt_u32_e32 vcc, 56, v12
	s_barrier
	s_waitcnt lgkmcnt(0)
	v_add_f64 v[2:3], v[2:3], v[4:5]
	v_cndmask_b32_e64 v4, 0, 8, vcc
	v_add_lshl_u32 v7, v4, v10, 2
	ds_bpermute_b32 v4, v7, v2
	ds_bpermute_b32 v5, v7, v3
	v_cmp_gt_u32_e32 vcc, 60, v12
	s_waitcnt lgkmcnt(0)
	v_add_f64 v[2:3], v[2:3], v[4:5]
	v_cndmask_b32_e64 v4, 0, 4, vcc
	v_add_lshl_u32 v8, v4, v10, 2
	ds_bpermute_b32 v4, v8, v2
	ds_bpermute_b32 v5, v8, v3
	v_cmp_gt_u32_e32 vcc, 62, v12
	s_waitcnt lgkmcnt(0)
	v_add_f64 v[2:3], v[2:3], v[4:5]
	v_cndmask_b32_e64 v4, 0, 2, vcc
	v_add_lshl_u32 v9, v4, v10, 2
	ds_bpermute_b32 v4, v9, v2
	ds_bpermute_b32 v5, v9, v3
	v_cmp_ne_u32_e32 vcc, 63, v12
	s_waitcnt lgkmcnt(0)
	v_add_f64 v[2:3], v[2:3], v[4:5]
	v_addc_co_u32_e32 v4, vcc, 0, v10, vcc
	v_lshlrev_b32_e32 v10, 2, v4
	ds_bpermute_b32 v4, v10, v2
	ds_bpermute_b32 v5, v10, v3
	v_cmp_eq_u32_e32 vcc, 0, v11
	s_and_saveexec_b64 s[4:5], vcc
	s_cbranch_execz .LBB173_6
; %bb.5:
	v_lshrrev_b32_e32 v12, 3, v0
	s_waitcnt lgkmcnt(0)
	v_add_f64 v[2:3], v[2:3], v[4:5]
	ds_write_b64 v12, v[2:3]
.LBB173_6:
	s_or_b64 exec, exec, s[4:5]
	s_waitcnt lgkmcnt(0)
	s_barrier
	s_load_dword s3, s[0:1], 0xc9c
	v_mov_b64_e32 v[2:3], 0
	s_waitcnt lgkmcnt(0)
	s_bfe_u32 s3, s3, 0xa0006
	v_cmp_gt_u32_e32 vcc, s3, v0
	s_and_saveexec_b64 s[4:5], vcc
; %bb.7:
	v_lshlrev_b32_e32 v2, 3, v11
	ds_read_b64 v[2:3], v2
; %bb.8:
	s_or_b64 exec, exec, s[4:5]
	v_cmp_gt_u32_e32 vcc, 64, v0
	s_and_saveexec_b64 s[4:5], vcc
	s_cbranch_execz .LBB173_10
; %bb.9:
	s_waitcnt lgkmcnt(0)
	ds_bpermute_b32 v4, v1, v2
	ds_bpermute_b32 v5, v1, v3
	s_waitcnt lgkmcnt(0)
	v_add_f64 v[2:3], v[2:3], v[4:5]
	ds_bpermute_b32 v4, v6, v2
	ds_bpermute_b32 v5, v6, v3
	s_waitcnt lgkmcnt(0)
	v_add_f64 v[2:3], v[2:3], v[4:5]
	;; [unrolled: 4-line block ×6, first 2 shown]
.LBB173_10:
	s_or_b64 exec, exec, s[4:5]
	s_mov_b32 s3, 0
	v_cmp_eq_u32_e32 vcc, 0, v0
	s_and_saveexec_b64 s[4:5], vcc
	s_cbranch_execz .LBB173_12
; %bb.11:
	s_lshl_b64 s[2:3], s[2:3], 3
	s_add_u32 s0, s0, s2
	s_addc_u32 s1, s1, s3
	s_load_dwordx2 s[0:1], s[0:1], 0x8
	v_mov_b32_e32 v0, 0
	s_waitcnt lgkmcnt(0)
	global_store_dwordx2 v0, v[2:3], s[0:1]
.LBB173_12:
	s_endpgm
	.section	.rodata,"a",@progbits
	.p2align	6, 0x0
	.amdhsa_kernel _ZN2at6native14lpnorm_cleanupIN3c104HalfELNS0_8NormTypeE1EdLb0EdEEvPKT3_NS0_19TensorListAddressesEi
		.amdhsa_group_segment_fixed_size 4096
		.amdhsa_private_segment_fixed_size 0
		.amdhsa_kernarg_size 3472
		.amdhsa_user_sgpr_count 2
		.amdhsa_user_sgpr_dispatch_ptr 0
		.amdhsa_user_sgpr_queue_ptr 0
		.amdhsa_user_sgpr_kernarg_segment_ptr 1
		.amdhsa_user_sgpr_dispatch_id 0
		.amdhsa_user_sgpr_kernarg_preload_length 0
		.amdhsa_user_sgpr_kernarg_preload_offset 0
		.amdhsa_user_sgpr_private_segment_size 0
		.amdhsa_uses_dynamic_stack 0
		.amdhsa_enable_private_segment 0
		.amdhsa_system_sgpr_workgroup_id_x 1
		.amdhsa_system_sgpr_workgroup_id_y 0
		.amdhsa_system_sgpr_workgroup_id_z 0
		.amdhsa_system_sgpr_workgroup_info 0
		.amdhsa_system_vgpr_workitem_id 0
		.amdhsa_next_free_vgpr 13
		.amdhsa_next_free_sgpr 16
		.amdhsa_accum_offset 16
		.amdhsa_reserve_vcc 1
		.amdhsa_float_round_mode_32 0
		.amdhsa_float_round_mode_16_64 0
		.amdhsa_float_denorm_mode_32 3
		.amdhsa_float_denorm_mode_16_64 3
		.amdhsa_dx10_clamp 1
		.amdhsa_ieee_mode 1
		.amdhsa_fp16_overflow 0
		.amdhsa_tg_split 0
		.amdhsa_exception_fp_ieee_invalid_op 0
		.amdhsa_exception_fp_denorm_src 0
		.amdhsa_exception_fp_ieee_div_zero 0
		.amdhsa_exception_fp_ieee_overflow 0
		.amdhsa_exception_fp_ieee_underflow 0
		.amdhsa_exception_fp_ieee_inexact 0
		.amdhsa_exception_int_div_zero 0
	.end_amdhsa_kernel
	.section	.text._ZN2at6native14lpnorm_cleanupIN3c104HalfELNS0_8NormTypeE1EdLb0EdEEvPKT3_NS0_19TensorListAddressesEi,"axG",@progbits,_ZN2at6native14lpnorm_cleanupIN3c104HalfELNS0_8NormTypeE1EdLb0EdEEvPKT3_NS0_19TensorListAddressesEi,comdat
.Lfunc_end173:
	.size	_ZN2at6native14lpnorm_cleanupIN3c104HalfELNS0_8NormTypeE1EdLb0EdEEvPKT3_NS0_19TensorListAddressesEi, .Lfunc_end173-_ZN2at6native14lpnorm_cleanupIN3c104HalfELNS0_8NormTypeE1EdLb0EdEEvPKT3_NS0_19TensorListAddressesEi
                                        ; -- End function
	.set _ZN2at6native14lpnorm_cleanupIN3c104HalfELNS0_8NormTypeE1EdLb0EdEEvPKT3_NS0_19TensorListAddressesEi.num_vgpr, 13
	.set _ZN2at6native14lpnorm_cleanupIN3c104HalfELNS0_8NormTypeE1EdLb0EdEEvPKT3_NS0_19TensorListAddressesEi.num_agpr, 0
	.set _ZN2at6native14lpnorm_cleanupIN3c104HalfELNS0_8NormTypeE1EdLb0EdEEvPKT3_NS0_19TensorListAddressesEi.numbered_sgpr, 16
	.set _ZN2at6native14lpnorm_cleanupIN3c104HalfELNS0_8NormTypeE1EdLb0EdEEvPKT3_NS0_19TensorListAddressesEi.num_named_barrier, 0
	.set _ZN2at6native14lpnorm_cleanupIN3c104HalfELNS0_8NormTypeE1EdLb0EdEEvPKT3_NS0_19TensorListAddressesEi.private_seg_size, 0
	.set _ZN2at6native14lpnorm_cleanupIN3c104HalfELNS0_8NormTypeE1EdLb0EdEEvPKT3_NS0_19TensorListAddressesEi.uses_vcc, 1
	.set _ZN2at6native14lpnorm_cleanupIN3c104HalfELNS0_8NormTypeE1EdLb0EdEEvPKT3_NS0_19TensorListAddressesEi.uses_flat_scratch, 0
	.set _ZN2at6native14lpnorm_cleanupIN3c104HalfELNS0_8NormTypeE1EdLb0EdEEvPKT3_NS0_19TensorListAddressesEi.has_dyn_sized_stack, 0
	.set _ZN2at6native14lpnorm_cleanupIN3c104HalfELNS0_8NormTypeE1EdLb0EdEEvPKT3_NS0_19TensorListAddressesEi.has_recursion, 0
	.set _ZN2at6native14lpnorm_cleanupIN3c104HalfELNS0_8NormTypeE1EdLb0EdEEvPKT3_NS0_19TensorListAddressesEi.has_indirect_call, 0
	.section	.AMDGPU.csdata,"",@progbits
; Kernel info:
; codeLenInByte = 812
; TotalNumSgprs: 22
; NumVgprs: 13
; NumAgprs: 0
; TotalNumVgprs: 13
; ScratchSize: 0
; MemoryBound: 0
; FloatMode: 240
; IeeeMode: 1
; LDSByteSize: 4096 bytes/workgroup (compile time only)
; SGPRBlocks: 2
; VGPRBlocks: 1
; NumSGPRsForWavesPerEU: 22
; NumVGPRsForWavesPerEU: 13
; AccumOffset: 16
; Occupancy: 8
; WaveLimiterHint : 0
; COMPUTE_PGM_RSRC2:SCRATCH_EN: 0
; COMPUTE_PGM_RSRC2:USER_SGPR: 2
; COMPUTE_PGM_RSRC2:TRAP_HANDLER: 0
; COMPUTE_PGM_RSRC2:TGID_X_EN: 1
; COMPUTE_PGM_RSRC2:TGID_Y_EN: 0
; COMPUTE_PGM_RSRC2:TGID_Z_EN: 0
; COMPUTE_PGM_RSRC2:TIDIG_COMP_CNT: 0
; COMPUTE_PGM_RSRC3_GFX90A:ACCUM_OFFSET: 3
; COMPUTE_PGM_RSRC3_GFX90A:TG_SPLIT: 0
	.section	.text._ZN2at6native14lpnorm_cleanupIN3c104HalfELNS0_8NormTypeE2EdLb0EdEEvPKT3_NS0_19TensorListAddressesEi,"axG",@progbits,_ZN2at6native14lpnorm_cleanupIN3c104HalfELNS0_8NormTypeE2EdLb0EdEEvPKT3_NS0_19TensorListAddressesEi,comdat
	.protected	_ZN2at6native14lpnorm_cleanupIN3c104HalfELNS0_8NormTypeE2EdLb0EdEEvPKT3_NS0_19TensorListAddressesEi ; -- Begin function _ZN2at6native14lpnorm_cleanupIN3c104HalfELNS0_8NormTypeE2EdLb0EdEEvPKT3_NS0_19TensorListAddressesEi
	.globl	_ZN2at6native14lpnorm_cleanupIN3c104HalfELNS0_8NormTypeE2EdLb0EdEEvPKT3_NS0_19TensorListAddressesEi
	.p2align	8
	.type	_ZN2at6native14lpnorm_cleanupIN3c104HalfELNS0_8NormTypeE2EdLb0EdEEvPKT3_NS0_19TensorListAddressesEi,@function
_ZN2at6native14lpnorm_cleanupIN3c104HalfELNS0_8NormTypeE2EdLb0EdEEvPKT3_NS0_19TensorListAddressesEi: ; @_ZN2at6native14lpnorm_cleanupIN3c104HalfELNS0_8NormTypeE2EdLb0EdEEvPKT3_NS0_19TensorListAddressesEi
; %bb.0:
	s_load_dword s6, s[0:1], 0xc88
	v_mov_b64_e32 v[2:3], 0
	s_waitcnt lgkmcnt(0)
	v_cmp_gt_u32_e32 vcc, s6, v0
	s_and_saveexec_b64 s[4:5], vcc
	s_cbranch_execz .LBB174_4
; %bb.1:
	s_load_dwordx2 s[12:13], s[0:1], 0x0
	s_load_dword s3, s[0:1], 0xc9c
	s_mul_i32 s8, s6, s2
	s_mov_b32 s9, 0
	s_ashr_i32 s7, s6, 31
	s_lshl_b64 s[14:15], s[8:9], 3
	s_waitcnt lgkmcnt(0)
	s_and_b32 s10, s3, 0xffff
	v_mov_b32_e32 v1, 0
	s_add_u32 s12, s12, s14
	v_lshlrev_b32_e32 v2, 3, v0
	v_mov_b32_e32 v3, v1
	s_addc_u32 s13, s13, s15
	s_mov_b32 s11, s9
	v_lshl_add_u64 v[4:5], s[12:13], 0, v[2:3]
	s_lshl_b32 s8, s10, 3
	v_mov_b64_e32 v[2:3], 0
	s_mov_b64 s[12:13], 0
	v_mov_b64_e32 v[6:7], v[0:1]
.LBB174_2:                              ; =>This Inner Loop Header: Depth=1
	global_load_dwordx2 v[8:9], v[4:5], off
	v_lshl_add_u64 v[6:7], v[6:7], 0, s[10:11]
	v_cmp_le_u64_e32 vcc, s[6:7], v[6:7]
	v_lshl_add_u64 v[4:5], v[4:5], 0, s[8:9]
	s_or_b64 s[12:13], vcc, s[12:13]
	s_waitcnt vmcnt(0)
	v_add_f64 v[2:3], v[2:3], v[8:9]
	s_andn2_b64 exec, exec, s[12:13]
	s_cbranch_execnz .LBB174_2
; %bb.3:
	s_or_b64 exec, exec, s[12:13]
.LBB174_4:
	s_or_b64 exec, exec, s[4:5]
	v_mbcnt_lo_u32_b32 v1, -1, 0
	v_mbcnt_hi_u32_b32 v10, -1, v1
	v_mov_b32_e32 v1, 0x80
	v_lshl_or_b32 v1, v10, 2, v1
	ds_bpermute_b32 v4, v1, v2
	ds_bpermute_b32 v5, v1, v3
	v_and_b32_e32 v12, 63, v10
	v_cmp_gt_u32_e32 vcc, 48, v12
	v_and_b32_e32 v11, 63, v0
	s_waitcnt lgkmcnt(0)
	v_add_f64 v[2:3], v[2:3], v[4:5]
	v_cndmask_b32_e64 v4, 0, 16, vcc
	v_add_lshl_u32 v6, v4, v10, 2
	ds_bpermute_b32 v4, v6, v2
	ds_bpermute_b32 v5, v6, v3
	v_cmp_gt_u32_e32 vcc, 56, v12
	s_barrier
	s_waitcnt lgkmcnt(0)
	v_add_f64 v[2:3], v[2:3], v[4:5]
	v_cndmask_b32_e64 v4, 0, 8, vcc
	v_add_lshl_u32 v7, v4, v10, 2
	ds_bpermute_b32 v4, v7, v2
	ds_bpermute_b32 v5, v7, v3
	v_cmp_gt_u32_e32 vcc, 60, v12
	s_waitcnt lgkmcnt(0)
	v_add_f64 v[2:3], v[2:3], v[4:5]
	v_cndmask_b32_e64 v4, 0, 4, vcc
	v_add_lshl_u32 v8, v4, v10, 2
	ds_bpermute_b32 v4, v8, v2
	ds_bpermute_b32 v5, v8, v3
	v_cmp_gt_u32_e32 vcc, 62, v12
	s_waitcnt lgkmcnt(0)
	v_add_f64 v[2:3], v[2:3], v[4:5]
	v_cndmask_b32_e64 v4, 0, 2, vcc
	v_add_lshl_u32 v9, v4, v10, 2
	ds_bpermute_b32 v4, v9, v2
	ds_bpermute_b32 v5, v9, v3
	v_cmp_ne_u32_e32 vcc, 63, v12
	s_waitcnt lgkmcnt(0)
	v_add_f64 v[2:3], v[2:3], v[4:5]
	v_addc_co_u32_e32 v4, vcc, 0, v10, vcc
	v_lshlrev_b32_e32 v10, 2, v4
	ds_bpermute_b32 v4, v10, v2
	ds_bpermute_b32 v5, v10, v3
	v_cmp_eq_u32_e32 vcc, 0, v11
	s_and_saveexec_b64 s[4:5], vcc
	s_cbranch_execz .LBB174_6
; %bb.5:
	v_lshrrev_b32_e32 v12, 3, v0
	s_waitcnt lgkmcnt(0)
	v_add_f64 v[2:3], v[2:3], v[4:5]
	ds_write_b64 v12, v[2:3]
.LBB174_6:
	s_or_b64 exec, exec, s[4:5]
	s_waitcnt lgkmcnt(0)
	s_barrier
	s_load_dword s3, s[0:1], 0xc9c
	v_mov_b64_e32 v[2:3], 0
	s_waitcnt lgkmcnt(0)
	s_bfe_u32 s3, s3, 0xa0006
	v_cmp_gt_u32_e32 vcc, s3, v0
	s_and_saveexec_b64 s[4:5], vcc
; %bb.7:
	v_lshlrev_b32_e32 v2, 3, v11
	ds_read_b64 v[2:3], v2
; %bb.8:
	s_or_b64 exec, exec, s[4:5]
	v_cmp_gt_u32_e32 vcc, 64, v0
	s_and_saveexec_b64 s[4:5], vcc
	s_cbranch_execz .LBB174_10
; %bb.9:
	s_waitcnt lgkmcnt(0)
	ds_bpermute_b32 v4, v1, v2
	ds_bpermute_b32 v5, v1, v3
	s_waitcnt lgkmcnt(0)
	v_add_f64 v[2:3], v[2:3], v[4:5]
	ds_bpermute_b32 v4, v6, v2
	ds_bpermute_b32 v5, v6, v3
	s_waitcnt lgkmcnt(0)
	v_add_f64 v[2:3], v[2:3], v[4:5]
	;; [unrolled: 4-line block ×6, first 2 shown]
.LBB174_10:
	s_or_b64 exec, exec, s[4:5]
	s_mov_b32 s3, 0
	v_cmp_eq_u32_e32 vcc, 0, v0
	s_and_saveexec_b64 s[4:5], vcc
	s_cbranch_execz .LBB174_12
; %bb.11:
	s_lshl_b64 s[2:3], s[2:3], 3
	s_add_u32 s0, s0, s2
	s_addc_u32 s1, s1, s3
	s_load_dwordx2 s[0:1], s[0:1], 0x8
	v_mov_b32_e32 v0, 0
	s_waitcnt lgkmcnt(0)
	global_store_dwordx2 v0, v[2:3], s[0:1]
.LBB174_12:
	s_endpgm
	.section	.rodata,"a",@progbits
	.p2align	6, 0x0
	.amdhsa_kernel _ZN2at6native14lpnorm_cleanupIN3c104HalfELNS0_8NormTypeE2EdLb0EdEEvPKT3_NS0_19TensorListAddressesEi
		.amdhsa_group_segment_fixed_size 4096
		.amdhsa_private_segment_fixed_size 0
		.amdhsa_kernarg_size 3472
		.amdhsa_user_sgpr_count 2
		.amdhsa_user_sgpr_dispatch_ptr 0
		.amdhsa_user_sgpr_queue_ptr 0
		.amdhsa_user_sgpr_kernarg_segment_ptr 1
		.amdhsa_user_sgpr_dispatch_id 0
		.amdhsa_user_sgpr_kernarg_preload_length 0
		.amdhsa_user_sgpr_kernarg_preload_offset 0
		.amdhsa_user_sgpr_private_segment_size 0
		.amdhsa_uses_dynamic_stack 0
		.amdhsa_enable_private_segment 0
		.amdhsa_system_sgpr_workgroup_id_x 1
		.amdhsa_system_sgpr_workgroup_id_y 0
		.amdhsa_system_sgpr_workgroup_id_z 0
		.amdhsa_system_sgpr_workgroup_info 0
		.amdhsa_system_vgpr_workitem_id 0
		.amdhsa_next_free_vgpr 13
		.amdhsa_next_free_sgpr 16
		.amdhsa_accum_offset 16
		.amdhsa_reserve_vcc 1
		.amdhsa_float_round_mode_32 0
		.amdhsa_float_round_mode_16_64 0
		.amdhsa_float_denorm_mode_32 3
		.amdhsa_float_denorm_mode_16_64 3
		.amdhsa_dx10_clamp 1
		.amdhsa_ieee_mode 1
		.amdhsa_fp16_overflow 0
		.amdhsa_tg_split 0
		.amdhsa_exception_fp_ieee_invalid_op 0
		.amdhsa_exception_fp_denorm_src 0
		.amdhsa_exception_fp_ieee_div_zero 0
		.amdhsa_exception_fp_ieee_overflow 0
		.amdhsa_exception_fp_ieee_underflow 0
		.amdhsa_exception_fp_ieee_inexact 0
		.amdhsa_exception_int_div_zero 0
	.end_amdhsa_kernel
	.section	.text._ZN2at6native14lpnorm_cleanupIN3c104HalfELNS0_8NormTypeE2EdLb0EdEEvPKT3_NS0_19TensorListAddressesEi,"axG",@progbits,_ZN2at6native14lpnorm_cleanupIN3c104HalfELNS0_8NormTypeE2EdLb0EdEEvPKT3_NS0_19TensorListAddressesEi,comdat
.Lfunc_end174:
	.size	_ZN2at6native14lpnorm_cleanupIN3c104HalfELNS0_8NormTypeE2EdLb0EdEEvPKT3_NS0_19TensorListAddressesEi, .Lfunc_end174-_ZN2at6native14lpnorm_cleanupIN3c104HalfELNS0_8NormTypeE2EdLb0EdEEvPKT3_NS0_19TensorListAddressesEi
                                        ; -- End function
	.set _ZN2at6native14lpnorm_cleanupIN3c104HalfELNS0_8NormTypeE2EdLb0EdEEvPKT3_NS0_19TensorListAddressesEi.num_vgpr, 13
	.set _ZN2at6native14lpnorm_cleanupIN3c104HalfELNS0_8NormTypeE2EdLb0EdEEvPKT3_NS0_19TensorListAddressesEi.num_agpr, 0
	.set _ZN2at6native14lpnorm_cleanupIN3c104HalfELNS0_8NormTypeE2EdLb0EdEEvPKT3_NS0_19TensorListAddressesEi.numbered_sgpr, 16
	.set _ZN2at6native14lpnorm_cleanupIN3c104HalfELNS0_8NormTypeE2EdLb0EdEEvPKT3_NS0_19TensorListAddressesEi.num_named_barrier, 0
	.set _ZN2at6native14lpnorm_cleanupIN3c104HalfELNS0_8NormTypeE2EdLb0EdEEvPKT3_NS0_19TensorListAddressesEi.private_seg_size, 0
	.set _ZN2at6native14lpnorm_cleanupIN3c104HalfELNS0_8NormTypeE2EdLb0EdEEvPKT3_NS0_19TensorListAddressesEi.uses_vcc, 1
	.set _ZN2at6native14lpnorm_cleanupIN3c104HalfELNS0_8NormTypeE2EdLb0EdEEvPKT3_NS0_19TensorListAddressesEi.uses_flat_scratch, 0
	.set _ZN2at6native14lpnorm_cleanupIN3c104HalfELNS0_8NormTypeE2EdLb0EdEEvPKT3_NS0_19TensorListAddressesEi.has_dyn_sized_stack, 0
	.set _ZN2at6native14lpnorm_cleanupIN3c104HalfELNS0_8NormTypeE2EdLb0EdEEvPKT3_NS0_19TensorListAddressesEi.has_recursion, 0
	.set _ZN2at6native14lpnorm_cleanupIN3c104HalfELNS0_8NormTypeE2EdLb0EdEEvPKT3_NS0_19TensorListAddressesEi.has_indirect_call, 0
	.section	.AMDGPU.csdata,"",@progbits
; Kernel info:
; codeLenInByte = 812
; TotalNumSgprs: 22
; NumVgprs: 13
; NumAgprs: 0
; TotalNumVgprs: 13
; ScratchSize: 0
; MemoryBound: 0
; FloatMode: 240
; IeeeMode: 1
; LDSByteSize: 4096 bytes/workgroup (compile time only)
; SGPRBlocks: 2
; VGPRBlocks: 1
; NumSGPRsForWavesPerEU: 22
; NumVGPRsForWavesPerEU: 13
; AccumOffset: 16
; Occupancy: 8
; WaveLimiterHint : 0
; COMPUTE_PGM_RSRC2:SCRATCH_EN: 0
; COMPUTE_PGM_RSRC2:USER_SGPR: 2
; COMPUTE_PGM_RSRC2:TRAP_HANDLER: 0
; COMPUTE_PGM_RSRC2:TGID_X_EN: 1
; COMPUTE_PGM_RSRC2:TGID_Y_EN: 0
; COMPUTE_PGM_RSRC2:TGID_Z_EN: 0
; COMPUTE_PGM_RSRC2:TIDIG_COMP_CNT: 0
; COMPUTE_PGM_RSRC3_GFX90A:ACCUM_OFFSET: 3
; COMPUTE_PGM_RSRC3_GFX90A:TG_SPLIT: 0
	.section	.text._ZN2at6native14lpnorm_cleanupIN3c104HalfELNS0_8NormTypeE0EfLb0EfEEvPKT3_NS0_19TensorListAddressesEi,"axG",@progbits,_ZN2at6native14lpnorm_cleanupIN3c104HalfELNS0_8NormTypeE0EfLb0EfEEvPKT3_NS0_19TensorListAddressesEi,comdat
	.protected	_ZN2at6native14lpnorm_cleanupIN3c104HalfELNS0_8NormTypeE0EfLb0EfEEvPKT3_NS0_19TensorListAddressesEi ; -- Begin function _ZN2at6native14lpnorm_cleanupIN3c104HalfELNS0_8NormTypeE0EfLb0EfEEvPKT3_NS0_19TensorListAddressesEi
	.globl	_ZN2at6native14lpnorm_cleanupIN3c104HalfELNS0_8NormTypeE0EfLb0EfEEvPKT3_NS0_19TensorListAddressesEi
	.p2align	8
	.type	_ZN2at6native14lpnorm_cleanupIN3c104HalfELNS0_8NormTypeE0EfLb0EfEEvPKT3_NS0_19TensorListAddressesEi,@function
_ZN2at6native14lpnorm_cleanupIN3c104HalfELNS0_8NormTypeE0EfLb0EfEEvPKT3_NS0_19TensorListAddressesEi: ; @_ZN2at6native14lpnorm_cleanupIN3c104HalfELNS0_8NormTypeE0EfLb0EfEEvPKT3_NS0_19TensorListAddressesEi
; %bb.0:
	s_load_dword s6, s[0:1], 0xc88
	v_mov_b32_e32 v1, 0
	s_waitcnt lgkmcnt(0)
	v_cmp_gt_u32_e32 vcc, s6, v0
	s_and_saveexec_b64 s[4:5], vcc
	s_cbranch_execz .LBB175_4
; %bb.1:
	s_load_dwordx2 s[12:13], s[0:1], 0x0
	s_load_dword s3, s[0:1], 0xc9c
	s_mul_i32 s8, s6, s2
	s_mov_b32 s9, 0
	s_ashr_i32 s7, s6, 31
	s_lshl_b64 s[14:15], s[8:9], 2
	s_waitcnt lgkmcnt(0)
	s_and_b32 s10, s3, 0xffff
	v_mov_b32_e32 v1, 0
	s_add_u32 s12, s12, s14
	v_lshlrev_b32_e32 v2, 2, v0
	v_mov_b32_e32 v3, v1
	s_addc_u32 s13, s13, s15
	s_mov_b32 s11, s9
	v_lshl_add_u64 v[2:3], s[12:13], 0, v[2:3]
	s_lshl_b32 s8, s10, 2
	s_mov_b64 s[12:13], 0
	v_mov_b64_e32 v[4:5], v[0:1]
.LBB175_2:                              ; =>This Inner Loop Header: Depth=1
	global_load_dword v6, v[2:3], off
	v_lshl_add_u64 v[4:5], v[4:5], 0, s[10:11]
	v_cmp_le_u64_e32 vcc, s[6:7], v[4:5]
	v_lshl_add_u64 v[2:3], v[2:3], 0, s[8:9]
	s_or_b64 s[12:13], vcc, s[12:13]
	s_waitcnt vmcnt(0)
	v_add_f32_e32 v1, v1, v6
	s_andn2_b64 exec, exec, s[12:13]
	s_cbranch_execnz .LBB175_2
; %bb.3:
	s_or_b64 exec, exec, s[12:13]
.LBB175_4:
	s_or_b64 exec, exec, s[4:5]
	v_mbcnt_lo_u32_b32 v2, -1, 0
	v_mbcnt_hi_u32_b32 v6, -1, v2
	v_mov_b32_e32 v2, 0x80
	v_lshl_or_b32 v2, v6, 2, v2
	ds_bpermute_b32 v3, v2, v1
	v_and_b32_e32 v7, 63, v6
	v_cmp_gt_u32_e32 vcc, 48, v7
	s_waitcnt lgkmcnt(0)
	s_barrier
	v_cndmask_b32_e64 v4, 0, 16, vcc
	v_add_f32_e32 v5, v1, v3
	v_add_lshl_u32 v1, v4, v6, 2
	ds_bpermute_b32 v4, v1, v5
	v_cmp_gt_u32_e32 vcc, 56, v7
	s_waitcnt lgkmcnt(0)
	v_add_f32_e32 v5, v5, v4
	v_cndmask_b32_e64 v3, 0, 8, vcc
	v_add_lshl_u32 v3, v3, v6, 2
	ds_bpermute_b32 v8, v3, v5
	v_cmp_gt_u32_e32 vcc, 60, v7
	s_waitcnt lgkmcnt(0)
	v_add_f32_e32 v8, v5, v8
	v_cndmask_b32_e64 v4, 0, 4, vcc
	v_add_lshl_u32 v4, v4, v6, 2
	ds_bpermute_b32 v9, v4, v8
	v_cmp_gt_u32_e32 vcc, 62, v7
	s_waitcnt lgkmcnt(0)
	v_add_f32_e32 v9, v8, v9
	v_cndmask_b32_e64 v5, 0, 2, vcc
	v_add_lshl_u32 v5, v5, v6, 2
	ds_bpermute_b32 v10, v5, v9
	v_cmp_ne_u32_e32 vcc, 63, v7
	v_and_b32_e32 v8, 63, v0
	s_waitcnt lgkmcnt(0)
	v_add_f32_e32 v7, v9, v10
	v_addc_co_u32_e32 v6, vcc, 0, v6, vcc
	v_lshlrev_b32_e32 v6, 2, v6
	ds_bpermute_b32 v9, v6, v7
	v_cmp_eq_u32_e32 vcc, 0, v8
	s_and_saveexec_b64 s[4:5], vcc
	s_cbranch_execz .LBB175_6
; %bb.5:
	s_waitcnt lgkmcnt(0)
	v_add_f32_e32 v7, v7, v9
	v_lshrrev_b32_e32 v9, 4, v0
	ds_write_b32 v9, v7
.LBB175_6:
	s_or_b64 exec, exec, s[4:5]
	s_waitcnt lgkmcnt(0)
	s_barrier
	s_load_dword s3, s[0:1], 0xc9c
	v_mov_b32_e32 v7, 0
	s_waitcnt lgkmcnt(0)
	s_bfe_u32 s3, s3, 0xa0006
	v_cmp_gt_u32_e32 vcc, s3, v0
	s_and_saveexec_b64 s[4:5], vcc
; %bb.7:
	v_lshlrev_b32_e32 v7, 2, v8
	ds_read_b32 v7, v7
; %bb.8:
	s_or_b64 exec, exec, s[4:5]
	v_cmp_gt_u32_e32 vcc, 64, v0
	s_and_saveexec_b64 s[4:5], vcc
	s_cbranch_execz .LBB175_10
; %bb.9:
	s_waitcnt lgkmcnt(0)
	ds_bpermute_b32 v2, v2, v7
	s_waitcnt lgkmcnt(0)
	v_add_f32_e32 v2, v7, v2
	ds_bpermute_b32 v1, v1, v2
	s_waitcnt lgkmcnt(0)
	v_add_f32_e32 v1, v2, v1
	;; [unrolled: 3-line block ×6, first 2 shown]
.LBB175_10:
	s_or_b64 exec, exec, s[4:5]
	s_mov_b32 s3, 0
	v_cmp_eq_u32_e32 vcc, 0, v0
	s_and_saveexec_b64 s[4:5], vcc
	s_cbranch_execz .LBB175_12
; %bb.11:
	s_lshl_b64 s[2:3], s[2:3], 3
	s_add_u32 s0, s0, s2
	s_addc_u32 s1, s1, s3
	s_load_dwordx2 s[0:1], s[0:1], 0x8
	v_mov_b32_e32 v0, 0
	s_waitcnt lgkmcnt(0)
	global_store_dword v0, v7, s[0:1]
.LBB175_12:
	s_endpgm
	.section	.rodata,"a",@progbits
	.p2align	6, 0x0
	.amdhsa_kernel _ZN2at6native14lpnorm_cleanupIN3c104HalfELNS0_8NormTypeE0EfLb0EfEEvPKT3_NS0_19TensorListAddressesEi
		.amdhsa_group_segment_fixed_size 2048
		.amdhsa_private_segment_fixed_size 0
		.amdhsa_kernarg_size 3472
		.amdhsa_user_sgpr_count 2
		.amdhsa_user_sgpr_dispatch_ptr 0
		.amdhsa_user_sgpr_queue_ptr 0
		.amdhsa_user_sgpr_kernarg_segment_ptr 1
		.amdhsa_user_sgpr_dispatch_id 0
		.amdhsa_user_sgpr_kernarg_preload_length 0
		.amdhsa_user_sgpr_kernarg_preload_offset 0
		.amdhsa_user_sgpr_private_segment_size 0
		.amdhsa_uses_dynamic_stack 0
		.amdhsa_enable_private_segment 0
		.amdhsa_system_sgpr_workgroup_id_x 1
		.amdhsa_system_sgpr_workgroup_id_y 0
		.amdhsa_system_sgpr_workgroup_id_z 0
		.amdhsa_system_sgpr_workgroup_info 0
		.amdhsa_system_vgpr_workitem_id 0
		.amdhsa_next_free_vgpr 11
		.amdhsa_next_free_sgpr 16
		.amdhsa_accum_offset 12
		.amdhsa_reserve_vcc 1
		.amdhsa_float_round_mode_32 0
		.amdhsa_float_round_mode_16_64 0
		.amdhsa_float_denorm_mode_32 3
		.amdhsa_float_denorm_mode_16_64 3
		.amdhsa_dx10_clamp 1
		.amdhsa_ieee_mode 1
		.amdhsa_fp16_overflow 0
		.amdhsa_tg_split 0
		.amdhsa_exception_fp_ieee_invalid_op 0
		.amdhsa_exception_fp_denorm_src 0
		.amdhsa_exception_fp_ieee_div_zero 0
		.amdhsa_exception_fp_ieee_overflow 0
		.amdhsa_exception_fp_ieee_underflow 0
		.amdhsa_exception_fp_ieee_inexact 0
		.amdhsa_exception_int_div_zero 0
	.end_amdhsa_kernel
	.section	.text._ZN2at6native14lpnorm_cleanupIN3c104HalfELNS0_8NormTypeE0EfLb0EfEEvPKT3_NS0_19TensorListAddressesEi,"axG",@progbits,_ZN2at6native14lpnorm_cleanupIN3c104HalfELNS0_8NormTypeE0EfLb0EfEEvPKT3_NS0_19TensorListAddressesEi,comdat
.Lfunc_end175:
	.size	_ZN2at6native14lpnorm_cleanupIN3c104HalfELNS0_8NormTypeE0EfLb0EfEEvPKT3_NS0_19TensorListAddressesEi, .Lfunc_end175-_ZN2at6native14lpnorm_cleanupIN3c104HalfELNS0_8NormTypeE0EfLb0EfEEvPKT3_NS0_19TensorListAddressesEi
                                        ; -- End function
	.set _ZN2at6native14lpnorm_cleanupIN3c104HalfELNS0_8NormTypeE0EfLb0EfEEvPKT3_NS0_19TensorListAddressesEi.num_vgpr, 11
	.set _ZN2at6native14lpnorm_cleanupIN3c104HalfELNS0_8NormTypeE0EfLb0EfEEvPKT3_NS0_19TensorListAddressesEi.num_agpr, 0
	.set _ZN2at6native14lpnorm_cleanupIN3c104HalfELNS0_8NormTypeE0EfLb0EfEEvPKT3_NS0_19TensorListAddressesEi.numbered_sgpr, 16
	.set _ZN2at6native14lpnorm_cleanupIN3c104HalfELNS0_8NormTypeE0EfLb0EfEEvPKT3_NS0_19TensorListAddressesEi.num_named_barrier, 0
	.set _ZN2at6native14lpnorm_cleanupIN3c104HalfELNS0_8NormTypeE0EfLb0EfEEvPKT3_NS0_19TensorListAddressesEi.private_seg_size, 0
	.set _ZN2at6native14lpnorm_cleanupIN3c104HalfELNS0_8NormTypeE0EfLb0EfEEvPKT3_NS0_19TensorListAddressesEi.uses_vcc, 1
	.set _ZN2at6native14lpnorm_cleanupIN3c104HalfELNS0_8NormTypeE0EfLb0EfEEvPKT3_NS0_19TensorListAddressesEi.uses_flat_scratch, 0
	.set _ZN2at6native14lpnorm_cleanupIN3c104HalfELNS0_8NormTypeE0EfLb0EfEEvPKT3_NS0_19TensorListAddressesEi.has_dyn_sized_stack, 0
	.set _ZN2at6native14lpnorm_cleanupIN3c104HalfELNS0_8NormTypeE0EfLb0EfEEvPKT3_NS0_19TensorListAddressesEi.has_recursion, 0
	.set _ZN2at6native14lpnorm_cleanupIN3c104HalfELNS0_8NormTypeE0EfLb0EfEEvPKT3_NS0_19TensorListAddressesEi.has_indirect_call, 0
	.section	.AMDGPU.csdata,"",@progbits
; Kernel info:
; codeLenInByte = 660
; TotalNumSgprs: 22
; NumVgprs: 11
; NumAgprs: 0
; TotalNumVgprs: 11
; ScratchSize: 0
; MemoryBound: 0
; FloatMode: 240
; IeeeMode: 1
; LDSByteSize: 2048 bytes/workgroup (compile time only)
; SGPRBlocks: 2
; VGPRBlocks: 1
; NumSGPRsForWavesPerEU: 22
; NumVGPRsForWavesPerEU: 11
; AccumOffset: 12
; Occupancy: 8
; WaveLimiterHint : 0
; COMPUTE_PGM_RSRC2:SCRATCH_EN: 0
; COMPUTE_PGM_RSRC2:USER_SGPR: 2
; COMPUTE_PGM_RSRC2:TRAP_HANDLER: 0
; COMPUTE_PGM_RSRC2:TGID_X_EN: 1
; COMPUTE_PGM_RSRC2:TGID_Y_EN: 0
; COMPUTE_PGM_RSRC2:TGID_Z_EN: 0
; COMPUTE_PGM_RSRC2:TIDIG_COMP_CNT: 0
; COMPUTE_PGM_RSRC3_GFX90A:ACCUM_OFFSET: 2
; COMPUTE_PGM_RSRC3_GFX90A:TG_SPLIT: 0
	.section	.text._ZN2at6native14lpnorm_cleanupIN3c104HalfELNS0_8NormTypeE1EfLb0EfEEvPKT3_NS0_19TensorListAddressesEi,"axG",@progbits,_ZN2at6native14lpnorm_cleanupIN3c104HalfELNS0_8NormTypeE1EfLb0EfEEvPKT3_NS0_19TensorListAddressesEi,comdat
	.protected	_ZN2at6native14lpnorm_cleanupIN3c104HalfELNS0_8NormTypeE1EfLb0EfEEvPKT3_NS0_19TensorListAddressesEi ; -- Begin function _ZN2at6native14lpnorm_cleanupIN3c104HalfELNS0_8NormTypeE1EfLb0EfEEvPKT3_NS0_19TensorListAddressesEi
	.globl	_ZN2at6native14lpnorm_cleanupIN3c104HalfELNS0_8NormTypeE1EfLb0EfEEvPKT3_NS0_19TensorListAddressesEi
	.p2align	8
	.type	_ZN2at6native14lpnorm_cleanupIN3c104HalfELNS0_8NormTypeE1EfLb0EfEEvPKT3_NS0_19TensorListAddressesEi,@function
_ZN2at6native14lpnorm_cleanupIN3c104HalfELNS0_8NormTypeE1EfLb0EfEEvPKT3_NS0_19TensorListAddressesEi: ; @_ZN2at6native14lpnorm_cleanupIN3c104HalfELNS0_8NormTypeE1EfLb0EfEEvPKT3_NS0_19TensorListAddressesEi
; %bb.0:
	s_load_dword s6, s[0:1], 0xc88
	v_mov_b32_e32 v1, 0
	s_waitcnt lgkmcnt(0)
	v_cmp_gt_u32_e32 vcc, s6, v0
	s_and_saveexec_b64 s[4:5], vcc
	s_cbranch_execz .LBB176_4
; %bb.1:
	s_load_dwordx2 s[12:13], s[0:1], 0x0
	s_load_dword s3, s[0:1], 0xc9c
	s_mul_i32 s8, s6, s2
	s_mov_b32 s9, 0
	s_ashr_i32 s7, s6, 31
	s_lshl_b64 s[14:15], s[8:9], 2
	s_waitcnt lgkmcnt(0)
	s_and_b32 s10, s3, 0xffff
	v_mov_b32_e32 v1, 0
	s_add_u32 s12, s12, s14
	v_lshlrev_b32_e32 v2, 2, v0
	v_mov_b32_e32 v3, v1
	s_addc_u32 s13, s13, s15
	s_mov_b32 s11, s9
	v_lshl_add_u64 v[2:3], s[12:13], 0, v[2:3]
	s_lshl_b32 s8, s10, 2
	s_mov_b64 s[12:13], 0
	v_mov_b64_e32 v[4:5], v[0:1]
.LBB176_2:                              ; =>This Inner Loop Header: Depth=1
	global_load_dword v6, v[2:3], off
	v_lshl_add_u64 v[4:5], v[4:5], 0, s[10:11]
	v_cmp_le_u64_e32 vcc, s[6:7], v[4:5]
	v_lshl_add_u64 v[2:3], v[2:3], 0, s[8:9]
	s_or_b64 s[12:13], vcc, s[12:13]
	s_waitcnt vmcnt(0)
	v_add_f32_e32 v1, v1, v6
	s_andn2_b64 exec, exec, s[12:13]
	s_cbranch_execnz .LBB176_2
; %bb.3:
	s_or_b64 exec, exec, s[12:13]
.LBB176_4:
	s_or_b64 exec, exec, s[4:5]
	v_mbcnt_lo_u32_b32 v2, -1, 0
	v_mbcnt_hi_u32_b32 v6, -1, v2
	v_mov_b32_e32 v2, 0x80
	v_lshl_or_b32 v2, v6, 2, v2
	ds_bpermute_b32 v3, v2, v1
	v_and_b32_e32 v7, 63, v6
	v_cmp_gt_u32_e32 vcc, 48, v7
	s_waitcnt lgkmcnt(0)
	s_barrier
	v_cndmask_b32_e64 v4, 0, 16, vcc
	v_add_f32_e32 v5, v1, v3
	v_add_lshl_u32 v1, v4, v6, 2
	ds_bpermute_b32 v4, v1, v5
	v_cmp_gt_u32_e32 vcc, 56, v7
	s_waitcnt lgkmcnt(0)
	v_add_f32_e32 v5, v5, v4
	v_cndmask_b32_e64 v3, 0, 8, vcc
	v_add_lshl_u32 v3, v3, v6, 2
	ds_bpermute_b32 v8, v3, v5
	v_cmp_gt_u32_e32 vcc, 60, v7
	s_waitcnt lgkmcnt(0)
	v_add_f32_e32 v8, v5, v8
	v_cndmask_b32_e64 v4, 0, 4, vcc
	;; [unrolled: 6-line block ×3, first 2 shown]
	v_add_lshl_u32 v5, v5, v6, 2
	ds_bpermute_b32 v10, v5, v9
	v_cmp_ne_u32_e32 vcc, 63, v7
	v_and_b32_e32 v8, 63, v0
	s_waitcnt lgkmcnt(0)
	v_add_f32_e32 v7, v9, v10
	v_addc_co_u32_e32 v6, vcc, 0, v6, vcc
	v_lshlrev_b32_e32 v6, 2, v6
	ds_bpermute_b32 v9, v6, v7
	v_cmp_eq_u32_e32 vcc, 0, v8
	s_and_saveexec_b64 s[4:5], vcc
	s_cbranch_execz .LBB176_6
; %bb.5:
	s_waitcnt lgkmcnt(0)
	v_add_f32_e32 v7, v7, v9
	v_lshrrev_b32_e32 v9, 4, v0
	ds_write_b32 v9, v7
.LBB176_6:
	s_or_b64 exec, exec, s[4:5]
	s_waitcnt lgkmcnt(0)
	s_barrier
	s_load_dword s3, s[0:1], 0xc9c
	v_mov_b32_e32 v7, 0
	s_waitcnt lgkmcnt(0)
	s_bfe_u32 s3, s3, 0xa0006
	v_cmp_gt_u32_e32 vcc, s3, v0
	s_and_saveexec_b64 s[4:5], vcc
; %bb.7:
	v_lshlrev_b32_e32 v7, 2, v8
	ds_read_b32 v7, v7
; %bb.8:
	s_or_b64 exec, exec, s[4:5]
	v_cmp_gt_u32_e32 vcc, 64, v0
	s_and_saveexec_b64 s[4:5], vcc
	s_cbranch_execz .LBB176_10
; %bb.9:
	s_waitcnt lgkmcnt(0)
	ds_bpermute_b32 v2, v2, v7
	s_waitcnt lgkmcnt(0)
	v_add_f32_e32 v2, v7, v2
	ds_bpermute_b32 v1, v1, v2
	s_waitcnt lgkmcnt(0)
	v_add_f32_e32 v1, v2, v1
	;; [unrolled: 3-line block ×6, first 2 shown]
.LBB176_10:
	s_or_b64 exec, exec, s[4:5]
	s_mov_b32 s3, 0
	v_cmp_eq_u32_e32 vcc, 0, v0
	s_and_saveexec_b64 s[4:5], vcc
	s_cbranch_execz .LBB176_12
; %bb.11:
	s_lshl_b64 s[2:3], s[2:3], 3
	s_add_u32 s0, s0, s2
	s_addc_u32 s1, s1, s3
	s_load_dwordx2 s[0:1], s[0:1], 0x8
	v_mov_b32_e32 v0, 0
	s_waitcnt lgkmcnt(0)
	global_store_dword v0, v7, s[0:1]
.LBB176_12:
	s_endpgm
	.section	.rodata,"a",@progbits
	.p2align	6, 0x0
	.amdhsa_kernel _ZN2at6native14lpnorm_cleanupIN3c104HalfELNS0_8NormTypeE1EfLb0EfEEvPKT3_NS0_19TensorListAddressesEi
		.amdhsa_group_segment_fixed_size 2048
		.amdhsa_private_segment_fixed_size 0
		.amdhsa_kernarg_size 3472
		.amdhsa_user_sgpr_count 2
		.amdhsa_user_sgpr_dispatch_ptr 0
		.amdhsa_user_sgpr_queue_ptr 0
		.amdhsa_user_sgpr_kernarg_segment_ptr 1
		.amdhsa_user_sgpr_dispatch_id 0
		.amdhsa_user_sgpr_kernarg_preload_length 0
		.amdhsa_user_sgpr_kernarg_preload_offset 0
		.amdhsa_user_sgpr_private_segment_size 0
		.amdhsa_uses_dynamic_stack 0
		.amdhsa_enable_private_segment 0
		.amdhsa_system_sgpr_workgroup_id_x 1
		.amdhsa_system_sgpr_workgroup_id_y 0
		.amdhsa_system_sgpr_workgroup_id_z 0
		.amdhsa_system_sgpr_workgroup_info 0
		.amdhsa_system_vgpr_workitem_id 0
		.amdhsa_next_free_vgpr 11
		.amdhsa_next_free_sgpr 16
		.amdhsa_accum_offset 12
		.amdhsa_reserve_vcc 1
		.amdhsa_float_round_mode_32 0
		.amdhsa_float_round_mode_16_64 0
		.amdhsa_float_denorm_mode_32 3
		.amdhsa_float_denorm_mode_16_64 3
		.amdhsa_dx10_clamp 1
		.amdhsa_ieee_mode 1
		.amdhsa_fp16_overflow 0
		.amdhsa_tg_split 0
		.amdhsa_exception_fp_ieee_invalid_op 0
		.amdhsa_exception_fp_denorm_src 0
		.amdhsa_exception_fp_ieee_div_zero 0
		.amdhsa_exception_fp_ieee_overflow 0
		.amdhsa_exception_fp_ieee_underflow 0
		.amdhsa_exception_fp_ieee_inexact 0
		.amdhsa_exception_int_div_zero 0
	.end_amdhsa_kernel
	.section	.text._ZN2at6native14lpnorm_cleanupIN3c104HalfELNS0_8NormTypeE1EfLb0EfEEvPKT3_NS0_19TensorListAddressesEi,"axG",@progbits,_ZN2at6native14lpnorm_cleanupIN3c104HalfELNS0_8NormTypeE1EfLb0EfEEvPKT3_NS0_19TensorListAddressesEi,comdat
.Lfunc_end176:
	.size	_ZN2at6native14lpnorm_cleanupIN3c104HalfELNS0_8NormTypeE1EfLb0EfEEvPKT3_NS0_19TensorListAddressesEi, .Lfunc_end176-_ZN2at6native14lpnorm_cleanupIN3c104HalfELNS0_8NormTypeE1EfLb0EfEEvPKT3_NS0_19TensorListAddressesEi
                                        ; -- End function
	.set _ZN2at6native14lpnorm_cleanupIN3c104HalfELNS0_8NormTypeE1EfLb0EfEEvPKT3_NS0_19TensorListAddressesEi.num_vgpr, 11
	.set _ZN2at6native14lpnorm_cleanupIN3c104HalfELNS0_8NormTypeE1EfLb0EfEEvPKT3_NS0_19TensorListAddressesEi.num_agpr, 0
	.set _ZN2at6native14lpnorm_cleanupIN3c104HalfELNS0_8NormTypeE1EfLb0EfEEvPKT3_NS0_19TensorListAddressesEi.numbered_sgpr, 16
	.set _ZN2at6native14lpnorm_cleanupIN3c104HalfELNS0_8NormTypeE1EfLb0EfEEvPKT3_NS0_19TensorListAddressesEi.num_named_barrier, 0
	.set _ZN2at6native14lpnorm_cleanupIN3c104HalfELNS0_8NormTypeE1EfLb0EfEEvPKT3_NS0_19TensorListAddressesEi.private_seg_size, 0
	.set _ZN2at6native14lpnorm_cleanupIN3c104HalfELNS0_8NormTypeE1EfLb0EfEEvPKT3_NS0_19TensorListAddressesEi.uses_vcc, 1
	.set _ZN2at6native14lpnorm_cleanupIN3c104HalfELNS0_8NormTypeE1EfLb0EfEEvPKT3_NS0_19TensorListAddressesEi.uses_flat_scratch, 0
	.set _ZN2at6native14lpnorm_cleanupIN3c104HalfELNS0_8NormTypeE1EfLb0EfEEvPKT3_NS0_19TensorListAddressesEi.has_dyn_sized_stack, 0
	.set _ZN2at6native14lpnorm_cleanupIN3c104HalfELNS0_8NormTypeE1EfLb0EfEEvPKT3_NS0_19TensorListAddressesEi.has_recursion, 0
	.set _ZN2at6native14lpnorm_cleanupIN3c104HalfELNS0_8NormTypeE1EfLb0EfEEvPKT3_NS0_19TensorListAddressesEi.has_indirect_call, 0
	.section	.AMDGPU.csdata,"",@progbits
; Kernel info:
; codeLenInByte = 660
; TotalNumSgprs: 22
; NumVgprs: 11
; NumAgprs: 0
; TotalNumVgprs: 11
; ScratchSize: 0
; MemoryBound: 0
; FloatMode: 240
; IeeeMode: 1
; LDSByteSize: 2048 bytes/workgroup (compile time only)
; SGPRBlocks: 2
; VGPRBlocks: 1
; NumSGPRsForWavesPerEU: 22
; NumVGPRsForWavesPerEU: 11
; AccumOffset: 12
; Occupancy: 8
; WaveLimiterHint : 0
; COMPUTE_PGM_RSRC2:SCRATCH_EN: 0
; COMPUTE_PGM_RSRC2:USER_SGPR: 2
; COMPUTE_PGM_RSRC2:TRAP_HANDLER: 0
; COMPUTE_PGM_RSRC2:TGID_X_EN: 1
; COMPUTE_PGM_RSRC2:TGID_Y_EN: 0
; COMPUTE_PGM_RSRC2:TGID_Z_EN: 0
; COMPUTE_PGM_RSRC2:TIDIG_COMP_CNT: 0
; COMPUTE_PGM_RSRC3_GFX90A:ACCUM_OFFSET: 2
; COMPUTE_PGM_RSRC3_GFX90A:TG_SPLIT: 0
	.section	.text._ZN2at6native14lpnorm_cleanupIN3c104HalfELNS0_8NormTypeE2EfLb0EfEEvPKT3_NS0_19TensorListAddressesEi,"axG",@progbits,_ZN2at6native14lpnorm_cleanupIN3c104HalfELNS0_8NormTypeE2EfLb0EfEEvPKT3_NS0_19TensorListAddressesEi,comdat
	.protected	_ZN2at6native14lpnorm_cleanupIN3c104HalfELNS0_8NormTypeE2EfLb0EfEEvPKT3_NS0_19TensorListAddressesEi ; -- Begin function _ZN2at6native14lpnorm_cleanupIN3c104HalfELNS0_8NormTypeE2EfLb0EfEEvPKT3_NS0_19TensorListAddressesEi
	.globl	_ZN2at6native14lpnorm_cleanupIN3c104HalfELNS0_8NormTypeE2EfLb0EfEEvPKT3_NS0_19TensorListAddressesEi
	.p2align	8
	.type	_ZN2at6native14lpnorm_cleanupIN3c104HalfELNS0_8NormTypeE2EfLb0EfEEvPKT3_NS0_19TensorListAddressesEi,@function
_ZN2at6native14lpnorm_cleanupIN3c104HalfELNS0_8NormTypeE2EfLb0EfEEvPKT3_NS0_19TensorListAddressesEi: ; @_ZN2at6native14lpnorm_cleanupIN3c104HalfELNS0_8NormTypeE2EfLb0EfEEvPKT3_NS0_19TensorListAddressesEi
; %bb.0:
	s_load_dword s6, s[0:1], 0xc88
	v_mov_b32_e32 v1, 0
	s_waitcnt lgkmcnt(0)
	v_cmp_gt_u32_e32 vcc, s6, v0
	s_and_saveexec_b64 s[4:5], vcc
	s_cbranch_execz .LBB177_4
; %bb.1:
	s_load_dwordx2 s[12:13], s[0:1], 0x0
	s_load_dword s3, s[0:1], 0xc9c
	s_mul_i32 s8, s6, s2
	s_mov_b32 s9, 0
	s_ashr_i32 s7, s6, 31
	s_lshl_b64 s[14:15], s[8:9], 2
	s_waitcnt lgkmcnt(0)
	s_and_b32 s10, s3, 0xffff
	v_mov_b32_e32 v1, 0
	s_add_u32 s12, s12, s14
	v_lshlrev_b32_e32 v2, 2, v0
	v_mov_b32_e32 v3, v1
	s_addc_u32 s13, s13, s15
	s_mov_b32 s11, s9
	v_lshl_add_u64 v[2:3], s[12:13], 0, v[2:3]
	s_lshl_b32 s8, s10, 2
	s_mov_b64 s[12:13], 0
	v_mov_b64_e32 v[4:5], v[0:1]
.LBB177_2:                              ; =>This Inner Loop Header: Depth=1
	global_load_dword v6, v[2:3], off
	v_lshl_add_u64 v[4:5], v[4:5], 0, s[10:11]
	v_cmp_le_u64_e32 vcc, s[6:7], v[4:5]
	v_lshl_add_u64 v[2:3], v[2:3], 0, s[8:9]
	s_or_b64 s[12:13], vcc, s[12:13]
	s_waitcnt vmcnt(0)
	v_add_f32_e32 v1, v1, v6
	s_andn2_b64 exec, exec, s[12:13]
	s_cbranch_execnz .LBB177_2
; %bb.3:
	s_or_b64 exec, exec, s[12:13]
.LBB177_4:
	s_or_b64 exec, exec, s[4:5]
	v_mbcnt_lo_u32_b32 v2, -1, 0
	v_mbcnt_hi_u32_b32 v6, -1, v2
	v_mov_b32_e32 v2, 0x80
	v_lshl_or_b32 v2, v6, 2, v2
	ds_bpermute_b32 v3, v2, v1
	v_and_b32_e32 v7, 63, v6
	v_cmp_gt_u32_e32 vcc, 48, v7
	s_waitcnt lgkmcnt(0)
	s_barrier
	v_cndmask_b32_e64 v4, 0, 16, vcc
	v_add_f32_e32 v5, v1, v3
	v_add_lshl_u32 v1, v4, v6, 2
	ds_bpermute_b32 v4, v1, v5
	v_cmp_gt_u32_e32 vcc, 56, v7
	s_waitcnt lgkmcnt(0)
	v_add_f32_e32 v5, v5, v4
	v_cndmask_b32_e64 v3, 0, 8, vcc
	v_add_lshl_u32 v3, v3, v6, 2
	ds_bpermute_b32 v8, v3, v5
	v_cmp_gt_u32_e32 vcc, 60, v7
	s_waitcnt lgkmcnt(0)
	v_add_f32_e32 v8, v5, v8
	v_cndmask_b32_e64 v4, 0, 4, vcc
	;; [unrolled: 6-line block ×3, first 2 shown]
	v_add_lshl_u32 v5, v5, v6, 2
	ds_bpermute_b32 v10, v5, v9
	v_cmp_ne_u32_e32 vcc, 63, v7
	v_and_b32_e32 v8, 63, v0
	s_waitcnt lgkmcnt(0)
	v_add_f32_e32 v7, v9, v10
	v_addc_co_u32_e32 v6, vcc, 0, v6, vcc
	v_lshlrev_b32_e32 v6, 2, v6
	ds_bpermute_b32 v9, v6, v7
	v_cmp_eq_u32_e32 vcc, 0, v8
	s_and_saveexec_b64 s[4:5], vcc
	s_cbranch_execz .LBB177_6
; %bb.5:
	s_waitcnt lgkmcnt(0)
	v_add_f32_e32 v7, v7, v9
	v_lshrrev_b32_e32 v9, 4, v0
	ds_write_b32 v9, v7
.LBB177_6:
	s_or_b64 exec, exec, s[4:5]
	s_waitcnt lgkmcnt(0)
	s_barrier
	s_load_dword s3, s[0:1], 0xc9c
	v_mov_b32_e32 v7, 0
	s_waitcnt lgkmcnt(0)
	s_bfe_u32 s3, s3, 0xa0006
	v_cmp_gt_u32_e32 vcc, s3, v0
	s_and_saveexec_b64 s[4:5], vcc
; %bb.7:
	v_lshlrev_b32_e32 v7, 2, v8
	ds_read_b32 v7, v7
; %bb.8:
	s_or_b64 exec, exec, s[4:5]
	v_cmp_gt_u32_e32 vcc, 64, v0
	s_and_saveexec_b64 s[4:5], vcc
	s_cbranch_execz .LBB177_10
; %bb.9:
	s_waitcnt lgkmcnt(0)
	ds_bpermute_b32 v2, v2, v7
	s_waitcnt lgkmcnt(0)
	v_add_f32_e32 v2, v7, v2
	ds_bpermute_b32 v1, v1, v2
	s_waitcnt lgkmcnt(0)
	v_add_f32_e32 v1, v2, v1
	;; [unrolled: 3-line block ×6, first 2 shown]
.LBB177_10:
	s_or_b64 exec, exec, s[4:5]
	s_mov_b32 s3, 0
	v_cmp_eq_u32_e32 vcc, 0, v0
	s_and_saveexec_b64 s[4:5], vcc
	s_cbranch_execz .LBB177_12
; %bb.11:
	s_lshl_b64 s[2:3], s[2:3], 3
	s_add_u32 s0, s0, s2
	s_addc_u32 s1, s1, s3
	s_load_dwordx2 s[0:1], s[0:1], 0x8
	v_mov_b32_e32 v0, 0
	s_waitcnt lgkmcnt(0)
	global_store_dword v0, v7, s[0:1]
.LBB177_12:
	s_endpgm
	.section	.rodata,"a",@progbits
	.p2align	6, 0x0
	.amdhsa_kernel _ZN2at6native14lpnorm_cleanupIN3c104HalfELNS0_8NormTypeE2EfLb0EfEEvPKT3_NS0_19TensorListAddressesEi
		.amdhsa_group_segment_fixed_size 2048
		.amdhsa_private_segment_fixed_size 0
		.amdhsa_kernarg_size 3472
		.amdhsa_user_sgpr_count 2
		.amdhsa_user_sgpr_dispatch_ptr 0
		.amdhsa_user_sgpr_queue_ptr 0
		.amdhsa_user_sgpr_kernarg_segment_ptr 1
		.amdhsa_user_sgpr_dispatch_id 0
		.amdhsa_user_sgpr_kernarg_preload_length 0
		.amdhsa_user_sgpr_kernarg_preload_offset 0
		.amdhsa_user_sgpr_private_segment_size 0
		.amdhsa_uses_dynamic_stack 0
		.amdhsa_enable_private_segment 0
		.amdhsa_system_sgpr_workgroup_id_x 1
		.amdhsa_system_sgpr_workgroup_id_y 0
		.amdhsa_system_sgpr_workgroup_id_z 0
		.amdhsa_system_sgpr_workgroup_info 0
		.amdhsa_system_vgpr_workitem_id 0
		.amdhsa_next_free_vgpr 11
		.amdhsa_next_free_sgpr 16
		.amdhsa_accum_offset 12
		.amdhsa_reserve_vcc 1
		.amdhsa_float_round_mode_32 0
		.amdhsa_float_round_mode_16_64 0
		.amdhsa_float_denorm_mode_32 3
		.amdhsa_float_denorm_mode_16_64 3
		.amdhsa_dx10_clamp 1
		.amdhsa_ieee_mode 1
		.amdhsa_fp16_overflow 0
		.amdhsa_tg_split 0
		.amdhsa_exception_fp_ieee_invalid_op 0
		.amdhsa_exception_fp_denorm_src 0
		.amdhsa_exception_fp_ieee_div_zero 0
		.amdhsa_exception_fp_ieee_overflow 0
		.amdhsa_exception_fp_ieee_underflow 0
		.amdhsa_exception_fp_ieee_inexact 0
		.amdhsa_exception_int_div_zero 0
	.end_amdhsa_kernel
	.section	.text._ZN2at6native14lpnorm_cleanupIN3c104HalfELNS0_8NormTypeE2EfLb0EfEEvPKT3_NS0_19TensorListAddressesEi,"axG",@progbits,_ZN2at6native14lpnorm_cleanupIN3c104HalfELNS0_8NormTypeE2EfLb0EfEEvPKT3_NS0_19TensorListAddressesEi,comdat
.Lfunc_end177:
	.size	_ZN2at6native14lpnorm_cleanupIN3c104HalfELNS0_8NormTypeE2EfLb0EfEEvPKT3_NS0_19TensorListAddressesEi, .Lfunc_end177-_ZN2at6native14lpnorm_cleanupIN3c104HalfELNS0_8NormTypeE2EfLb0EfEEvPKT3_NS0_19TensorListAddressesEi
                                        ; -- End function
	.set _ZN2at6native14lpnorm_cleanupIN3c104HalfELNS0_8NormTypeE2EfLb0EfEEvPKT3_NS0_19TensorListAddressesEi.num_vgpr, 11
	.set _ZN2at6native14lpnorm_cleanupIN3c104HalfELNS0_8NormTypeE2EfLb0EfEEvPKT3_NS0_19TensorListAddressesEi.num_agpr, 0
	.set _ZN2at6native14lpnorm_cleanupIN3c104HalfELNS0_8NormTypeE2EfLb0EfEEvPKT3_NS0_19TensorListAddressesEi.numbered_sgpr, 16
	.set _ZN2at6native14lpnorm_cleanupIN3c104HalfELNS0_8NormTypeE2EfLb0EfEEvPKT3_NS0_19TensorListAddressesEi.num_named_barrier, 0
	.set _ZN2at6native14lpnorm_cleanupIN3c104HalfELNS0_8NormTypeE2EfLb0EfEEvPKT3_NS0_19TensorListAddressesEi.private_seg_size, 0
	.set _ZN2at6native14lpnorm_cleanupIN3c104HalfELNS0_8NormTypeE2EfLb0EfEEvPKT3_NS0_19TensorListAddressesEi.uses_vcc, 1
	.set _ZN2at6native14lpnorm_cleanupIN3c104HalfELNS0_8NormTypeE2EfLb0EfEEvPKT3_NS0_19TensorListAddressesEi.uses_flat_scratch, 0
	.set _ZN2at6native14lpnorm_cleanupIN3c104HalfELNS0_8NormTypeE2EfLb0EfEEvPKT3_NS0_19TensorListAddressesEi.has_dyn_sized_stack, 0
	.set _ZN2at6native14lpnorm_cleanupIN3c104HalfELNS0_8NormTypeE2EfLb0EfEEvPKT3_NS0_19TensorListAddressesEi.has_recursion, 0
	.set _ZN2at6native14lpnorm_cleanupIN3c104HalfELNS0_8NormTypeE2EfLb0EfEEvPKT3_NS0_19TensorListAddressesEi.has_indirect_call, 0
	.section	.AMDGPU.csdata,"",@progbits
; Kernel info:
; codeLenInByte = 660
; TotalNumSgprs: 22
; NumVgprs: 11
; NumAgprs: 0
; TotalNumVgprs: 11
; ScratchSize: 0
; MemoryBound: 0
; FloatMode: 240
; IeeeMode: 1
; LDSByteSize: 2048 bytes/workgroup (compile time only)
; SGPRBlocks: 2
; VGPRBlocks: 1
; NumSGPRsForWavesPerEU: 22
; NumVGPRsForWavesPerEU: 11
; AccumOffset: 12
; Occupancy: 8
; WaveLimiterHint : 0
; COMPUTE_PGM_RSRC2:SCRATCH_EN: 0
; COMPUTE_PGM_RSRC2:USER_SGPR: 2
; COMPUTE_PGM_RSRC2:TRAP_HANDLER: 0
; COMPUTE_PGM_RSRC2:TGID_X_EN: 1
; COMPUTE_PGM_RSRC2:TGID_Y_EN: 0
; COMPUTE_PGM_RSRC2:TGID_Z_EN: 0
; COMPUTE_PGM_RSRC2:TIDIG_COMP_CNT: 0
; COMPUTE_PGM_RSRC3_GFX90A:ACCUM_OFFSET: 2
; COMPUTE_PGM_RSRC3_GFX90A:TG_SPLIT: 0
	.section	.text._ZN2at6native14lpnorm_cleanupIN3c104HalfELNS0_8NormTypeE0ES3_Lb0EfEEvPKT3_NS0_19TensorListAddressesEi,"axG",@progbits,_ZN2at6native14lpnorm_cleanupIN3c104HalfELNS0_8NormTypeE0ES3_Lb0EfEEvPKT3_NS0_19TensorListAddressesEi,comdat
	.protected	_ZN2at6native14lpnorm_cleanupIN3c104HalfELNS0_8NormTypeE0ES3_Lb0EfEEvPKT3_NS0_19TensorListAddressesEi ; -- Begin function _ZN2at6native14lpnorm_cleanupIN3c104HalfELNS0_8NormTypeE0ES3_Lb0EfEEvPKT3_NS0_19TensorListAddressesEi
	.globl	_ZN2at6native14lpnorm_cleanupIN3c104HalfELNS0_8NormTypeE0ES3_Lb0EfEEvPKT3_NS0_19TensorListAddressesEi
	.p2align	8
	.type	_ZN2at6native14lpnorm_cleanupIN3c104HalfELNS0_8NormTypeE0ES3_Lb0EfEEvPKT3_NS0_19TensorListAddressesEi,@function
_ZN2at6native14lpnorm_cleanupIN3c104HalfELNS0_8NormTypeE0ES3_Lb0EfEEvPKT3_NS0_19TensorListAddressesEi: ; @_ZN2at6native14lpnorm_cleanupIN3c104HalfELNS0_8NormTypeE0ES3_Lb0EfEEvPKT3_NS0_19TensorListAddressesEi
; %bb.0:
	s_load_dword s6, s[0:1], 0xc88
	v_mov_b32_e32 v1, 0
	s_waitcnt lgkmcnt(0)
	v_cmp_gt_u32_e32 vcc, s6, v0
	s_and_saveexec_b64 s[4:5], vcc
	s_cbranch_execz .LBB178_4
; %bb.1:
	s_load_dwordx2 s[12:13], s[0:1], 0x0
	s_load_dword s3, s[0:1], 0xc9c
	s_mul_i32 s8, s6, s2
	s_mov_b32 s9, 0
	s_ashr_i32 s7, s6, 31
	s_lshl_b64 s[14:15], s[8:9], 2
	s_waitcnt lgkmcnt(0)
	s_and_b32 s10, s3, 0xffff
	v_mov_b32_e32 v1, 0
	s_add_u32 s12, s12, s14
	v_lshlrev_b32_e32 v2, 2, v0
	v_mov_b32_e32 v3, v1
	s_addc_u32 s13, s13, s15
	s_mov_b32 s11, s9
	v_lshl_add_u64 v[2:3], s[12:13], 0, v[2:3]
	s_lshl_b32 s8, s10, 2
	s_mov_b64 s[12:13], 0
	v_mov_b64_e32 v[4:5], v[0:1]
.LBB178_2:                              ; =>This Inner Loop Header: Depth=1
	global_load_dword v6, v[2:3], off
	v_lshl_add_u64 v[4:5], v[4:5], 0, s[10:11]
	v_cmp_le_u64_e32 vcc, s[6:7], v[4:5]
	v_lshl_add_u64 v[2:3], v[2:3], 0, s[8:9]
	s_or_b64 s[12:13], vcc, s[12:13]
	s_waitcnt vmcnt(0)
	v_add_f32_e32 v1, v1, v6
	s_andn2_b64 exec, exec, s[12:13]
	s_cbranch_execnz .LBB178_2
; %bb.3:
	s_or_b64 exec, exec, s[12:13]
.LBB178_4:
	s_or_b64 exec, exec, s[4:5]
	v_mbcnt_lo_u32_b32 v2, -1, 0
	v_mbcnt_hi_u32_b32 v6, -1, v2
	v_mov_b32_e32 v2, 0x80
	v_lshl_or_b32 v2, v6, 2, v2
	ds_bpermute_b32 v3, v2, v1
	v_and_b32_e32 v7, 63, v6
	v_cmp_gt_u32_e32 vcc, 48, v7
	s_waitcnt lgkmcnt(0)
	s_barrier
	v_cndmask_b32_e64 v4, 0, 16, vcc
	v_add_f32_e32 v5, v1, v3
	v_add_lshl_u32 v1, v4, v6, 2
	ds_bpermute_b32 v4, v1, v5
	v_cmp_gt_u32_e32 vcc, 56, v7
	s_waitcnt lgkmcnt(0)
	v_add_f32_e32 v5, v5, v4
	v_cndmask_b32_e64 v3, 0, 8, vcc
	v_add_lshl_u32 v3, v3, v6, 2
	ds_bpermute_b32 v8, v3, v5
	v_cmp_gt_u32_e32 vcc, 60, v7
	s_waitcnt lgkmcnt(0)
	v_add_f32_e32 v8, v5, v8
	v_cndmask_b32_e64 v4, 0, 4, vcc
	v_add_lshl_u32 v4, v4, v6, 2
	ds_bpermute_b32 v9, v4, v8
	v_cmp_gt_u32_e32 vcc, 62, v7
	s_waitcnt lgkmcnt(0)
	v_add_f32_e32 v9, v8, v9
	v_cndmask_b32_e64 v5, 0, 2, vcc
	v_add_lshl_u32 v5, v5, v6, 2
	ds_bpermute_b32 v10, v5, v9
	v_cmp_ne_u32_e32 vcc, 63, v7
	v_and_b32_e32 v8, 63, v0
	s_waitcnt lgkmcnt(0)
	v_add_f32_e32 v7, v9, v10
	v_addc_co_u32_e32 v6, vcc, 0, v6, vcc
	v_lshlrev_b32_e32 v6, 2, v6
	ds_bpermute_b32 v9, v6, v7
	v_cmp_eq_u32_e32 vcc, 0, v8
	s_and_saveexec_b64 s[4:5], vcc
	s_cbranch_execz .LBB178_6
; %bb.5:
	s_waitcnt lgkmcnt(0)
	v_add_f32_e32 v7, v7, v9
	v_lshrrev_b32_e32 v9, 4, v0
	ds_write_b32 v9, v7
.LBB178_6:
	s_or_b64 exec, exec, s[4:5]
	s_waitcnt lgkmcnt(0)
	s_barrier
	s_load_dword s3, s[0:1], 0xc9c
	v_mov_b32_e32 v7, 0
	s_waitcnt lgkmcnt(0)
	s_bfe_u32 s3, s3, 0xa0006
	v_cmp_gt_u32_e32 vcc, s3, v0
	s_and_saveexec_b64 s[4:5], vcc
; %bb.7:
	v_lshlrev_b32_e32 v7, 2, v8
	ds_read_b32 v7, v7
; %bb.8:
	s_or_b64 exec, exec, s[4:5]
	v_cmp_gt_u32_e32 vcc, 64, v0
	s_and_saveexec_b64 s[4:5], vcc
	s_cbranch_execz .LBB178_10
; %bb.9:
	s_waitcnt lgkmcnt(0)
	ds_bpermute_b32 v2, v2, v7
	s_waitcnt lgkmcnt(0)
	v_add_f32_e32 v2, v7, v2
	ds_bpermute_b32 v1, v1, v2
	s_waitcnt lgkmcnt(0)
	v_add_f32_e32 v1, v2, v1
	;; [unrolled: 3-line block ×6, first 2 shown]
.LBB178_10:
	s_or_b64 exec, exec, s[4:5]
	s_mov_b32 s3, 0
	v_cmp_eq_u32_e32 vcc, 0, v0
	s_and_saveexec_b64 s[4:5], vcc
	s_cbranch_execz .LBB178_12
; %bb.11:
	s_lshl_b64 s[2:3], s[2:3], 3
	s_add_u32 s0, s0, s2
	s_addc_u32 s1, s1, s3
	s_load_dwordx2 s[0:1], s[0:1], 0x8
	s_waitcnt lgkmcnt(0)
	v_cvt_f16_f32_e32 v0, v7
	v_mov_b32_e32 v1, 0
	global_store_short v1, v0, s[0:1]
.LBB178_12:
	s_endpgm
	.section	.rodata,"a",@progbits
	.p2align	6, 0x0
	.amdhsa_kernel _ZN2at6native14lpnorm_cleanupIN3c104HalfELNS0_8NormTypeE0ES3_Lb0EfEEvPKT3_NS0_19TensorListAddressesEi
		.amdhsa_group_segment_fixed_size 2048
		.amdhsa_private_segment_fixed_size 0
		.amdhsa_kernarg_size 3472
		.amdhsa_user_sgpr_count 2
		.amdhsa_user_sgpr_dispatch_ptr 0
		.amdhsa_user_sgpr_queue_ptr 0
		.amdhsa_user_sgpr_kernarg_segment_ptr 1
		.amdhsa_user_sgpr_dispatch_id 0
		.amdhsa_user_sgpr_kernarg_preload_length 0
		.amdhsa_user_sgpr_kernarg_preload_offset 0
		.amdhsa_user_sgpr_private_segment_size 0
		.amdhsa_uses_dynamic_stack 0
		.amdhsa_enable_private_segment 0
		.amdhsa_system_sgpr_workgroup_id_x 1
		.amdhsa_system_sgpr_workgroup_id_y 0
		.amdhsa_system_sgpr_workgroup_id_z 0
		.amdhsa_system_sgpr_workgroup_info 0
		.amdhsa_system_vgpr_workitem_id 0
		.amdhsa_next_free_vgpr 11
		.amdhsa_next_free_sgpr 16
		.amdhsa_accum_offset 12
		.amdhsa_reserve_vcc 1
		.amdhsa_float_round_mode_32 0
		.amdhsa_float_round_mode_16_64 0
		.amdhsa_float_denorm_mode_32 3
		.amdhsa_float_denorm_mode_16_64 3
		.amdhsa_dx10_clamp 1
		.amdhsa_ieee_mode 1
		.amdhsa_fp16_overflow 0
		.amdhsa_tg_split 0
		.amdhsa_exception_fp_ieee_invalid_op 0
		.amdhsa_exception_fp_denorm_src 0
		.amdhsa_exception_fp_ieee_div_zero 0
		.amdhsa_exception_fp_ieee_overflow 0
		.amdhsa_exception_fp_ieee_underflow 0
		.amdhsa_exception_fp_ieee_inexact 0
		.amdhsa_exception_int_div_zero 0
	.end_amdhsa_kernel
	.section	.text._ZN2at6native14lpnorm_cleanupIN3c104HalfELNS0_8NormTypeE0ES3_Lb0EfEEvPKT3_NS0_19TensorListAddressesEi,"axG",@progbits,_ZN2at6native14lpnorm_cleanupIN3c104HalfELNS0_8NormTypeE0ES3_Lb0EfEEvPKT3_NS0_19TensorListAddressesEi,comdat
.Lfunc_end178:
	.size	_ZN2at6native14lpnorm_cleanupIN3c104HalfELNS0_8NormTypeE0ES3_Lb0EfEEvPKT3_NS0_19TensorListAddressesEi, .Lfunc_end178-_ZN2at6native14lpnorm_cleanupIN3c104HalfELNS0_8NormTypeE0ES3_Lb0EfEEvPKT3_NS0_19TensorListAddressesEi
                                        ; -- End function
	.set _ZN2at6native14lpnorm_cleanupIN3c104HalfELNS0_8NormTypeE0ES3_Lb0EfEEvPKT3_NS0_19TensorListAddressesEi.num_vgpr, 11
	.set _ZN2at6native14lpnorm_cleanupIN3c104HalfELNS0_8NormTypeE0ES3_Lb0EfEEvPKT3_NS0_19TensorListAddressesEi.num_agpr, 0
	.set _ZN2at6native14lpnorm_cleanupIN3c104HalfELNS0_8NormTypeE0ES3_Lb0EfEEvPKT3_NS0_19TensorListAddressesEi.numbered_sgpr, 16
	.set _ZN2at6native14lpnorm_cleanupIN3c104HalfELNS0_8NormTypeE0ES3_Lb0EfEEvPKT3_NS0_19TensorListAddressesEi.num_named_barrier, 0
	.set _ZN2at6native14lpnorm_cleanupIN3c104HalfELNS0_8NormTypeE0ES3_Lb0EfEEvPKT3_NS0_19TensorListAddressesEi.private_seg_size, 0
	.set _ZN2at6native14lpnorm_cleanupIN3c104HalfELNS0_8NormTypeE0ES3_Lb0EfEEvPKT3_NS0_19TensorListAddressesEi.uses_vcc, 1
	.set _ZN2at6native14lpnorm_cleanupIN3c104HalfELNS0_8NormTypeE0ES3_Lb0EfEEvPKT3_NS0_19TensorListAddressesEi.uses_flat_scratch, 0
	.set _ZN2at6native14lpnorm_cleanupIN3c104HalfELNS0_8NormTypeE0ES3_Lb0EfEEvPKT3_NS0_19TensorListAddressesEi.has_dyn_sized_stack, 0
	.set _ZN2at6native14lpnorm_cleanupIN3c104HalfELNS0_8NormTypeE0ES3_Lb0EfEEvPKT3_NS0_19TensorListAddressesEi.has_recursion, 0
	.set _ZN2at6native14lpnorm_cleanupIN3c104HalfELNS0_8NormTypeE0ES3_Lb0EfEEvPKT3_NS0_19TensorListAddressesEi.has_indirect_call, 0
	.section	.AMDGPU.csdata,"",@progbits
; Kernel info:
; codeLenInByte = 664
; TotalNumSgprs: 22
; NumVgprs: 11
; NumAgprs: 0
; TotalNumVgprs: 11
; ScratchSize: 0
; MemoryBound: 0
; FloatMode: 240
; IeeeMode: 1
; LDSByteSize: 2048 bytes/workgroup (compile time only)
; SGPRBlocks: 2
; VGPRBlocks: 1
; NumSGPRsForWavesPerEU: 22
; NumVGPRsForWavesPerEU: 11
; AccumOffset: 12
; Occupancy: 8
; WaveLimiterHint : 0
; COMPUTE_PGM_RSRC2:SCRATCH_EN: 0
; COMPUTE_PGM_RSRC2:USER_SGPR: 2
; COMPUTE_PGM_RSRC2:TRAP_HANDLER: 0
; COMPUTE_PGM_RSRC2:TGID_X_EN: 1
; COMPUTE_PGM_RSRC2:TGID_Y_EN: 0
; COMPUTE_PGM_RSRC2:TGID_Z_EN: 0
; COMPUTE_PGM_RSRC2:TIDIG_COMP_CNT: 0
; COMPUTE_PGM_RSRC3_GFX90A:ACCUM_OFFSET: 2
; COMPUTE_PGM_RSRC3_GFX90A:TG_SPLIT: 0
	.section	.text._ZN2at6native14lpnorm_cleanupIN3c104HalfELNS0_8NormTypeE1ES3_Lb0EfEEvPKT3_NS0_19TensorListAddressesEi,"axG",@progbits,_ZN2at6native14lpnorm_cleanupIN3c104HalfELNS0_8NormTypeE1ES3_Lb0EfEEvPKT3_NS0_19TensorListAddressesEi,comdat
	.protected	_ZN2at6native14lpnorm_cleanupIN3c104HalfELNS0_8NormTypeE1ES3_Lb0EfEEvPKT3_NS0_19TensorListAddressesEi ; -- Begin function _ZN2at6native14lpnorm_cleanupIN3c104HalfELNS0_8NormTypeE1ES3_Lb0EfEEvPKT3_NS0_19TensorListAddressesEi
	.globl	_ZN2at6native14lpnorm_cleanupIN3c104HalfELNS0_8NormTypeE1ES3_Lb0EfEEvPKT3_NS0_19TensorListAddressesEi
	.p2align	8
	.type	_ZN2at6native14lpnorm_cleanupIN3c104HalfELNS0_8NormTypeE1ES3_Lb0EfEEvPKT3_NS0_19TensorListAddressesEi,@function
_ZN2at6native14lpnorm_cleanupIN3c104HalfELNS0_8NormTypeE1ES3_Lb0EfEEvPKT3_NS0_19TensorListAddressesEi: ; @_ZN2at6native14lpnorm_cleanupIN3c104HalfELNS0_8NormTypeE1ES3_Lb0EfEEvPKT3_NS0_19TensorListAddressesEi
; %bb.0:
	s_load_dword s6, s[0:1], 0xc88
	v_mov_b32_e32 v1, 0
	s_waitcnt lgkmcnt(0)
	v_cmp_gt_u32_e32 vcc, s6, v0
	s_and_saveexec_b64 s[4:5], vcc
	s_cbranch_execz .LBB179_4
; %bb.1:
	s_load_dwordx2 s[12:13], s[0:1], 0x0
	s_load_dword s3, s[0:1], 0xc9c
	s_mul_i32 s8, s6, s2
	s_mov_b32 s9, 0
	s_ashr_i32 s7, s6, 31
	s_lshl_b64 s[14:15], s[8:9], 2
	s_waitcnt lgkmcnt(0)
	s_and_b32 s10, s3, 0xffff
	v_mov_b32_e32 v1, 0
	s_add_u32 s12, s12, s14
	v_lshlrev_b32_e32 v2, 2, v0
	v_mov_b32_e32 v3, v1
	s_addc_u32 s13, s13, s15
	s_mov_b32 s11, s9
	v_lshl_add_u64 v[2:3], s[12:13], 0, v[2:3]
	s_lshl_b32 s8, s10, 2
	s_mov_b64 s[12:13], 0
	v_mov_b64_e32 v[4:5], v[0:1]
.LBB179_2:                              ; =>This Inner Loop Header: Depth=1
	global_load_dword v6, v[2:3], off
	v_lshl_add_u64 v[4:5], v[4:5], 0, s[10:11]
	v_cmp_le_u64_e32 vcc, s[6:7], v[4:5]
	v_lshl_add_u64 v[2:3], v[2:3], 0, s[8:9]
	s_or_b64 s[12:13], vcc, s[12:13]
	s_waitcnt vmcnt(0)
	v_add_f32_e32 v1, v1, v6
	s_andn2_b64 exec, exec, s[12:13]
	s_cbranch_execnz .LBB179_2
; %bb.3:
	s_or_b64 exec, exec, s[12:13]
.LBB179_4:
	s_or_b64 exec, exec, s[4:5]
	v_mbcnt_lo_u32_b32 v2, -1, 0
	v_mbcnt_hi_u32_b32 v6, -1, v2
	v_mov_b32_e32 v2, 0x80
	v_lshl_or_b32 v2, v6, 2, v2
	ds_bpermute_b32 v3, v2, v1
	v_and_b32_e32 v7, 63, v6
	v_cmp_gt_u32_e32 vcc, 48, v7
	s_waitcnt lgkmcnt(0)
	s_barrier
	v_cndmask_b32_e64 v4, 0, 16, vcc
	v_add_f32_e32 v5, v1, v3
	v_add_lshl_u32 v1, v4, v6, 2
	ds_bpermute_b32 v4, v1, v5
	v_cmp_gt_u32_e32 vcc, 56, v7
	s_waitcnt lgkmcnt(0)
	v_add_f32_e32 v5, v5, v4
	v_cndmask_b32_e64 v3, 0, 8, vcc
	v_add_lshl_u32 v3, v3, v6, 2
	ds_bpermute_b32 v8, v3, v5
	v_cmp_gt_u32_e32 vcc, 60, v7
	s_waitcnt lgkmcnt(0)
	v_add_f32_e32 v8, v5, v8
	v_cndmask_b32_e64 v4, 0, 4, vcc
	v_add_lshl_u32 v4, v4, v6, 2
	ds_bpermute_b32 v9, v4, v8
	v_cmp_gt_u32_e32 vcc, 62, v7
	s_waitcnt lgkmcnt(0)
	v_add_f32_e32 v9, v8, v9
	v_cndmask_b32_e64 v5, 0, 2, vcc
	v_add_lshl_u32 v5, v5, v6, 2
	ds_bpermute_b32 v10, v5, v9
	v_cmp_ne_u32_e32 vcc, 63, v7
	v_and_b32_e32 v8, 63, v0
	s_waitcnt lgkmcnt(0)
	v_add_f32_e32 v7, v9, v10
	v_addc_co_u32_e32 v6, vcc, 0, v6, vcc
	v_lshlrev_b32_e32 v6, 2, v6
	ds_bpermute_b32 v9, v6, v7
	v_cmp_eq_u32_e32 vcc, 0, v8
	s_and_saveexec_b64 s[4:5], vcc
	s_cbranch_execz .LBB179_6
; %bb.5:
	s_waitcnt lgkmcnt(0)
	v_add_f32_e32 v7, v7, v9
	v_lshrrev_b32_e32 v9, 4, v0
	ds_write_b32 v9, v7
.LBB179_6:
	s_or_b64 exec, exec, s[4:5]
	s_waitcnt lgkmcnt(0)
	s_barrier
	s_load_dword s3, s[0:1], 0xc9c
	v_mov_b32_e32 v7, 0
	s_waitcnt lgkmcnt(0)
	s_bfe_u32 s3, s3, 0xa0006
	v_cmp_gt_u32_e32 vcc, s3, v0
	s_and_saveexec_b64 s[4:5], vcc
; %bb.7:
	v_lshlrev_b32_e32 v7, 2, v8
	ds_read_b32 v7, v7
; %bb.8:
	s_or_b64 exec, exec, s[4:5]
	v_cmp_gt_u32_e32 vcc, 64, v0
	s_and_saveexec_b64 s[4:5], vcc
	s_cbranch_execz .LBB179_10
; %bb.9:
	s_waitcnt lgkmcnt(0)
	ds_bpermute_b32 v2, v2, v7
	s_waitcnt lgkmcnt(0)
	v_add_f32_e32 v2, v7, v2
	ds_bpermute_b32 v1, v1, v2
	s_waitcnt lgkmcnt(0)
	v_add_f32_e32 v1, v2, v1
	;; [unrolled: 3-line block ×6, first 2 shown]
.LBB179_10:
	s_or_b64 exec, exec, s[4:5]
	s_mov_b32 s3, 0
	v_cmp_eq_u32_e32 vcc, 0, v0
	s_and_saveexec_b64 s[4:5], vcc
	s_cbranch_execz .LBB179_12
; %bb.11:
	s_lshl_b64 s[2:3], s[2:3], 3
	s_add_u32 s0, s0, s2
	s_addc_u32 s1, s1, s3
	s_load_dwordx2 s[0:1], s[0:1], 0x8
	s_waitcnt lgkmcnt(0)
	v_cvt_f16_f32_e32 v0, v7
	v_mov_b32_e32 v1, 0
	global_store_short v1, v0, s[0:1]
.LBB179_12:
	s_endpgm
	.section	.rodata,"a",@progbits
	.p2align	6, 0x0
	.amdhsa_kernel _ZN2at6native14lpnorm_cleanupIN3c104HalfELNS0_8NormTypeE1ES3_Lb0EfEEvPKT3_NS0_19TensorListAddressesEi
		.amdhsa_group_segment_fixed_size 2048
		.amdhsa_private_segment_fixed_size 0
		.amdhsa_kernarg_size 3472
		.amdhsa_user_sgpr_count 2
		.amdhsa_user_sgpr_dispatch_ptr 0
		.amdhsa_user_sgpr_queue_ptr 0
		.amdhsa_user_sgpr_kernarg_segment_ptr 1
		.amdhsa_user_sgpr_dispatch_id 0
		.amdhsa_user_sgpr_kernarg_preload_length 0
		.amdhsa_user_sgpr_kernarg_preload_offset 0
		.amdhsa_user_sgpr_private_segment_size 0
		.amdhsa_uses_dynamic_stack 0
		.amdhsa_enable_private_segment 0
		.amdhsa_system_sgpr_workgroup_id_x 1
		.amdhsa_system_sgpr_workgroup_id_y 0
		.amdhsa_system_sgpr_workgroup_id_z 0
		.amdhsa_system_sgpr_workgroup_info 0
		.amdhsa_system_vgpr_workitem_id 0
		.amdhsa_next_free_vgpr 11
		.amdhsa_next_free_sgpr 16
		.amdhsa_accum_offset 12
		.amdhsa_reserve_vcc 1
		.amdhsa_float_round_mode_32 0
		.amdhsa_float_round_mode_16_64 0
		.amdhsa_float_denorm_mode_32 3
		.amdhsa_float_denorm_mode_16_64 3
		.amdhsa_dx10_clamp 1
		.amdhsa_ieee_mode 1
		.amdhsa_fp16_overflow 0
		.amdhsa_tg_split 0
		.amdhsa_exception_fp_ieee_invalid_op 0
		.amdhsa_exception_fp_denorm_src 0
		.amdhsa_exception_fp_ieee_div_zero 0
		.amdhsa_exception_fp_ieee_overflow 0
		.amdhsa_exception_fp_ieee_underflow 0
		.amdhsa_exception_fp_ieee_inexact 0
		.amdhsa_exception_int_div_zero 0
	.end_amdhsa_kernel
	.section	.text._ZN2at6native14lpnorm_cleanupIN3c104HalfELNS0_8NormTypeE1ES3_Lb0EfEEvPKT3_NS0_19TensorListAddressesEi,"axG",@progbits,_ZN2at6native14lpnorm_cleanupIN3c104HalfELNS0_8NormTypeE1ES3_Lb0EfEEvPKT3_NS0_19TensorListAddressesEi,comdat
.Lfunc_end179:
	.size	_ZN2at6native14lpnorm_cleanupIN3c104HalfELNS0_8NormTypeE1ES3_Lb0EfEEvPKT3_NS0_19TensorListAddressesEi, .Lfunc_end179-_ZN2at6native14lpnorm_cleanupIN3c104HalfELNS0_8NormTypeE1ES3_Lb0EfEEvPKT3_NS0_19TensorListAddressesEi
                                        ; -- End function
	.set _ZN2at6native14lpnorm_cleanupIN3c104HalfELNS0_8NormTypeE1ES3_Lb0EfEEvPKT3_NS0_19TensorListAddressesEi.num_vgpr, 11
	.set _ZN2at6native14lpnorm_cleanupIN3c104HalfELNS0_8NormTypeE1ES3_Lb0EfEEvPKT3_NS0_19TensorListAddressesEi.num_agpr, 0
	.set _ZN2at6native14lpnorm_cleanupIN3c104HalfELNS0_8NormTypeE1ES3_Lb0EfEEvPKT3_NS0_19TensorListAddressesEi.numbered_sgpr, 16
	.set _ZN2at6native14lpnorm_cleanupIN3c104HalfELNS0_8NormTypeE1ES3_Lb0EfEEvPKT3_NS0_19TensorListAddressesEi.num_named_barrier, 0
	.set _ZN2at6native14lpnorm_cleanupIN3c104HalfELNS0_8NormTypeE1ES3_Lb0EfEEvPKT3_NS0_19TensorListAddressesEi.private_seg_size, 0
	.set _ZN2at6native14lpnorm_cleanupIN3c104HalfELNS0_8NormTypeE1ES3_Lb0EfEEvPKT3_NS0_19TensorListAddressesEi.uses_vcc, 1
	.set _ZN2at6native14lpnorm_cleanupIN3c104HalfELNS0_8NormTypeE1ES3_Lb0EfEEvPKT3_NS0_19TensorListAddressesEi.uses_flat_scratch, 0
	.set _ZN2at6native14lpnorm_cleanupIN3c104HalfELNS0_8NormTypeE1ES3_Lb0EfEEvPKT3_NS0_19TensorListAddressesEi.has_dyn_sized_stack, 0
	.set _ZN2at6native14lpnorm_cleanupIN3c104HalfELNS0_8NormTypeE1ES3_Lb0EfEEvPKT3_NS0_19TensorListAddressesEi.has_recursion, 0
	.set _ZN2at6native14lpnorm_cleanupIN3c104HalfELNS0_8NormTypeE1ES3_Lb0EfEEvPKT3_NS0_19TensorListAddressesEi.has_indirect_call, 0
	.section	.AMDGPU.csdata,"",@progbits
; Kernel info:
; codeLenInByte = 664
; TotalNumSgprs: 22
; NumVgprs: 11
; NumAgprs: 0
; TotalNumVgprs: 11
; ScratchSize: 0
; MemoryBound: 0
; FloatMode: 240
; IeeeMode: 1
; LDSByteSize: 2048 bytes/workgroup (compile time only)
; SGPRBlocks: 2
; VGPRBlocks: 1
; NumSGPRsForWavesPerEU: 22
; NumVGPRsForWavesPerEU: 11
; AccumOffset: 12
; Occupancy: 8
; WaveLimiterHint : 0
; COMPUTE_PGM_RSRC2:SCRATCH_EN: 0
; COMPUTE_PGM_RSRC2:USER_SGPR: 2
; COMPUTE_PGM_RSRC2:TRAP_HANDLER: 0
; COMPUTE_PGM_RSRC2:TGID_X_EN: 1
; COMPUTE_PGM_RSRC2:TGID_Y_EN: 0
; COMPUTE_PGM_RSRC2:TGID_Z_EN: 0
; COMPUTE_PGM_RSRC2:TIDIG_COMP_CNT: 0
; COMPUTE_PGM_RSRC3_GFX90A:ACCUM_OFFSET: 2
; COMPUTE_PGM_RSRC3_GFX90A:TG_SPLIT: 0
	.section	.text._ZN2at6native14lpnorm_cleanupIN3c104HalfELNS0_8NormTypeE2ES3_Lb0EfEEvPKT3_NS0_19TensorListAddressesEi,"axG",@progbits,_ZN2at6native14lpnorm_cleanupIN3c104HalfELNS0_8NormTypeE2ES3_Lb0EfEEvPKT3_NS0_19TensorListAddressesEi,comdat
	.protected	_ZN2at6native14lpnorm_cleanupIN3c104HalfELNS0_8NormTypeE2ES3_Lb0EfEEvPKT3_NS0_19TensorListAddressesEi ; -- Begin function _ZN2at6native14lpnorm_cleanupIN3c104HalfELNS0_8NormTypeE2ES3_Lb0EfEEvPKT3_NS0_19TensorListAddressesEi
	.globl	_ZN2at6native14lpnorm_cleanupIN3c104HalfELNS0_8NormTypeE2ES3_Lb0EfEEvPKT3_NS0_19TensorListAddressesEi
	.p2align	8
	.type	_ZN2at6native14lpnorm_cleanupIN3c104HalfELNS0_8NormTypeE2ES3_Lb0EfEEvPKT3_NS0_19TensorListAddressesEi,@function
_ZN2at6native14lpnorm_cleanupIN3c104HalfELNS0_8NormTypeE2ES3_Lb0EfEEvPKT3_NS0_19TensorListAddressesEi: ; @_ZN2at6native14lpnorm_cleanupIN3c104HalfELNS0_8NormTypeE2ES3_Lb0EfEEvPKT3_NS0_19TensorListAddressesEi
; %bb.0:
	s_load_dword s6, s[0:1], 0xc88
	v_mov_b32_e32 v1, 0
	s_waitcnt lgkmcnt(0)
	v_cmp_gt_u32_e32 vcc, s6, v0
	s_and_saveexec_b64 s[4:5], vcc
	s_cbranch_execz .LBB180_4
; %bb.1:
	s_load_dwordx2 s[12:13], s[0:1], 0x0
	s_load_dword s3, s[0:1], 0xc9c
	s_mul_i32 s8, s6, s2
	s_mov_b32 s9, 0
	s_ashr_i32 s7, s6, 31
	s_lshl_b64 s[14:15], s[8:9], 2
	s_waitcnt lgkmcnt(0)
	s_and_b32 s10, s3, 0xffff
	v_mov_b32_e32 v1, 0
	s_add_u32 s12, s12, s14
	v_lshlrev_b32_e32 v2, 2, v0
	v_mov_b32_e32 v3, v1
	s_addc_u32 s13, s13, s15
	s_mov_b32 s11, s9
	v_lshl_add_u64 v[2:3], s[12:13], 0, v[2:3]
	s_lshl_b32 s8, s10, 2
	s_mov_b64 s[12:13], 0
	v_mov_b64_e32 v[4:5], v[0:1]
.LBB180_2:                              ; =>This Inner Loop Header: Depth=1
	global_load_dword v6, v[2:3], off
	v_lshl_add_u64 v[4:5], v[4:5], 0, s[10:11]
	v_cmp_le_u64_e32 vcc, s[6:7], v[4:5]
	v_lshl_add_u64 v[2:3], v[2:3], 0, s[8:9]
	s_or_b64 s[12:13], vcc, s[12:13]
	s_waitcnt vmcnt(0)
	v_add_f32_e32 v1, v1, v6
	s_andn2_b64 exec, exec, s[12:13]
	s_cbranch_execnz .LBB180_2
; %bb.3:
	s_or_b64 exec, exec, s[12:13]
.LBB180_4:
	s_or_b64 exec, exec, s[4:5]
	v_mbcnt_lo_u32_b32 v2, -1, 0
	v_mbcnt_hi_u32_b32 v6, -1, v2
	v_mov_b32_e32 v2, 0x80
	v_lshl_or_b32 v2, v6, 2, v2
	ds_bpermute_b32 v3, v2, v1
	v_and_b32_e32 v7, 63, v6
	v_cmp_gt_u32_e32 vcc, 48, v7
	s_waitcnt lgkmcnt(0)
	s_barrier
	v_cndmask_b32_e64 v4, 0, 16, vcc
	v_add_f32_e32 v5, v1, v3
	v_add_lshl_u32 v1, v4, v6, 2
	ds_bpermute_b32 v4, v1, v5
	v_cmp_gt_u32_e32 vcc, 56, v7
	s_waitcnt lgkmcnt(0)
	v_add_f32_e32 v5, v5, v4
	v_cndmask_b32_e64 v3, 0, 8, vcc
	v_add_lshl_u32 v3, v3, v6, 2
	ds_bpermute_b32 v8, v3, v5
	v_cmp_gt_u32_e32 vcc, 60, v7
	s_waitcnt lgkmcnt(0)
	v_add_f32_e32 v8, v5, v8
	v_cndmask_b32_e64 v4, 0, 4, vcc
	;; [unrolled: 6-line block ×3, first 2 shown]
	v_add_lshl_u32 v5, v5, v6, 2
	ds_bpermute_b32 v10, v5, v9
	v_cmp_ne_u32_e32 vcc, 63, v7
	v_and_b32_e32 v8, 63, v0
	s_waitcnt lgkmcnt(0)
	v_add_f32_e32 v7, v9, v10
	v_addc_co_u32_e32 v6, vcc, 0, v6, vcc
	v_lshlrev_b32_e32 v6, 2, v6
	ds_bpermute_b32 v9, v6, v7
	v_cmp_eq_u32_e32 vcc, 0, v8
	s_and_saveexec_b64 s[4:5], vcc
	s_cbranch_execz .LBB180_6
; %bb.5:
	s_waitcnt lgkmcnt(0)
	v_add_f32_e32 v7, v7, v9
	v_lshrrev_b32_e32 v9, 4, v0
	ds_write_b32 v9, v7
.LBB180_6:
	s_or_b64 exec, exec, s[4:5]
	s_waitcnt lgkmcnt(0)
	s_barrier
	s_load_dword s3, s[0:1], 0xc9c
	v_mov_b32_e32 v7, 0
	s_waitcnt lgkmcnt(0)
	s_bfe_u32 s3, s3, 0xa0006
	v_cmp_gt_u32_e32 vcc, s3, v0
	s_and_saveexec_b64 s[4:5], vcc
; %bb.7:
	v_lshlrev_b32_e32 v7, 2, v8
	ds_read_b32 v7, v7
; %bb.8:
	s_or_b64 exec, exec, s[4:5]
	v_cmp_gt_u32_e32 vcc, 64, v0
	s_and_saveexec_b64 s[4:5], vcc
	s_cbranch_execz .LBB180_10
; %bb.9:
	s_waitcnt lgkmcnt(0)
	ds_bpermute_b32 v2, v2, v7
	s_waitcnt lgkmcnt(0)
	v_add_f32_e32 v2, v7, v2
	ds_bpermute_b32 v1, v1, v2
	s_waitcnt lgkmcnt(0)
	v_add_f32_e32 v1, v2, v1
	;; [unrolled: 3-line block ×6, first 2 shown]
.LBB180_10:
	s_or_b64 exec, exec, s[4:5]
	s_mov_b32 s3, 0
	v_cmp_eq_u32_e32 vcc, 0, v0
	s_and_saveexec_b64 s[4:5], vcc
	s_cbranch_execz .LBB180_12
; %bb.11:
	s_lshl_b64 s[2:3], s[2:3], 3
	s_add_u32 s0, s0, s2
	s_addc_u32 s1, s1, s3
	s_load_dwordx2 s[0:1], s[0:1], 0x8
	s_waitcnt lgkmcnt(0)
	v_cvt_f16_f32_e32 v0, v7
	v_mov_b32_e32 v1, 0
	global_store_short v1, v0, s[0:1]
.LBB180_12:
	s_endpgm
	.section	.rodata,"a",@progbits
	.p2align	6, 0x0
	.amdhsa_kernel _ZN2at6native14lpnorm_cleanupIN3c104HalfELNS0_8NormTypeE2ES3_Lb0EfEEvPKT3_NS0_19TensorListAddressesEi
		.amdhsa_group_segment_fixed_size 2048
		.amdhsa_private_segment_fixed_size 0
		.amdhsa_kernarg_size 3472
		.amdhsa_user_sgpr_count 2
		.amdhsa_user_sgpr_dispatch_ptr 0
		.amdhsa_user_sgpr_queue_ptr 0
		.amdhsa_user_sgpr_kernarg_segment_ptr 1
		.amdhsa_user_sgpr_dispatch_id 0
		.amdhsa_user_sgpr_kernarg_preload_length 0
		.amdhsa_user_sgpr_kernarg_preload_offset 0
		.amdhsa_user_sgpr_private_segment_size 0
		.amdhsa_uses_dynamic_stack 0
		.amdhsa_enable_private_segment 0
		.amdhsa_system_sgpr_workgroup_id_x 1
		.amdhsa_system_sgpr_workgroup_id_y 0
		.amdhsa_system_sgpr_workgroup_id_z 0
		.amdhsa_system_sgpr_workgroup_info 0
		.amdhsa_system_vgpr_workitem_id 0
		.amdhsa_next_free_vgpr 11
		.amdhsa_next_free_sgpr 16
		.amdhsa_accum_offset 12
		.amdhsa_reserve_vcc 1
		.amdhsa_float_round_mode_32 0
		.amdhsa_float_round_mode_16_64 0
		.amdhsa_float_denorm_mode_32 3
		.amdhsa_float_denorm_mode_16_64 3
		.amdhsa_dx10_clamp 1
		.amdhsa_ieee_mode 1
		.amdhsa_fp16_overflow 0
		.amdhsa_tg_split 0
		.amdhsa_exception_fp_ieee_invalid_op 0
		.amdhsa_exception_fp_denorm_src 0
		.amdhsa_exception_fp_ieee_div_zero 0
		.amdhsa_exception_fp_ieee_overflow 0
		.amdhsa_exception_fp_ieee_underflow 0
		.amdhsa_exception_fp_ieee_inexact 0
		.amdhsa_exception_int_div_zero 0
	.end_amdhsa_kernel
	.section	.text._ZN2at6native14lpnorm_cleanupIN3c104HalfELNS0_8NormTypeE2ES3_Lb0EfEEvPKT3_NS0_19TensorListAddressesEi,"axG",@progbits,_ZN2at6native14lpnorm_cleanupIN3c104HalfELNS0_8NormTypeE2ES3_Lb0EfEEvPKT3_NS0_19TensorListAddressesEi,comdat
.Lfunc_end180:
	.size	_ZN2at6native14lpnorm_cleanupIN3c104HalfELNS0_8NormTypeE2ES3_Lb0EfEEvPKT3_NS0_19TensorListAddressesEi, .Lfunc_end180-_ZN2at6native14lpnorm_cleanupIN3c104HalfELNS0_8NormTypeE2ES3_Lb0EfEEvPKT3_NS0_19TensorListAddressesEi
                                        ; -- End function
	.set _ZN2at6native14lpnorm_cleanupIN3c104HalfELNS0_8NormTypeE2ES3_Lb0EfEEvPKT3_NS0_19TensorListAddressesEi.num_vgpr, 11
	.set _ZN2at6native14lpnorm_cleanupIN3c104HalfELNS0_8NormTypeE2ES3_Lb0EfEEvPKT3_NS0_19TensorListAddressesEi.num_agpr, 0
	.set _ZN2at6native14lpnorm_cleanupIN3c104HalfELNS0_8NormTypeE2ES3_Lb0EfEEvPKT3_NS0_19TensorListAddressesEi.numbered_sgpr, 16
	.set _ZN2at6native14lpnorm_cleanupIN3c104HalfELNS0_8NormTypeE2ES3_Lb0EfEEvPKT3_NS0_19TensorListAddressesEi.num_named_barrier, 0
	.set _ZN2at6native14lpnorm_cleanupIN3c104HalfELNS0_8NormTypeE2ES3_Lb0EfEEvPKT3_NS0_19TensorListAddressesEi.private_seg_size, 0
	.set _ZN2at6native14lpnorm_cleanupIN3c104HalfELNS0_8NormTypeE2ES3_Lb0EfEEvPKT3_NS0_19TensorListAddressesEi.uses_vcc, 1
	.set _ZN2at6native14lpnorm_cleanupIN3c104HalfELNS0_8NormTypeE2ES3_Lb0EfEEvPKT3_NS0_19TensorListAddressesEi.uses_flat_scratch, 0
	.set _ZN2at6native14lpnorm_cleanupIN3c104HalfELNS0_8NormTypeE2ES3_Lb0EfEEvPKT3_NS0_19TensorListAddressesEi.has_dyn_sized_stack, 0
	.set _ZN2at6native14lpnorm_cleanupIN3c104HalfELNS0_8NormTypeE2ES3_Lb0EfEEvPKT3_NS0_19TensorListAddressesEi.has_recursion, 0
	.set _ZN2at6native14lpnorm_cleanupIN3c104HalfELNS0_8NormTypeE2ES3_Lb0EfEEvPKT3_NS0_19TensorListAddressesEi.has_indirect_call, 0
	.section	.AMDGPU.csdata,"",@progbits
; Kernel info:
; codeLenInByte = 664
; TotalNumSgprs: 22
; NumVgprs: 11
; NumAgprs: 0
; TotalNumVgprs: 11
; ScratchSize: 0
; MemoryBound: 0
; FloatMode: 240
; IeeeMode: 1
; LDSByteSize: 2048 bytes/workgroup (compile time only)
; SGPRBlocks: 2
; VGPRBlocks: 1
; NumSGPRsForWavesPerEU: 22
; NumVGPRsForWavesPerEU: 11
; AccumOffset: 12
; Occupancy: 8
; WaveLimiterHint : 0
; COMPUTE_PGM_RSRC2:SCRATCH_EN: 0
; COMPUTE_PGM_RSRC2:USER_SGPR: 2
; COMPUTE_PGM_RSRC2:TRAP_HANDLER: 0
; COMPUTE_PGM_RSRC2:TGID_X_EN: 1
; COMPUTE_PGM_RSRC2:TGID_Y_EN: 0
; COMPUTE_PGM_RSRC2:TGID_Z_EN: 0
; COMPUTE_PGM_RSRC2:TIDIG_COMP_CNT: 0
; COMPUTE_PGM_RSRC3_GFX90A:ACCUM_OFFSET: 2
; COMPUTE_PGM_RSRC3_GFX90A:TG_SPLIT: 0
	.section	.text._ZN2at6native14lpnorm_cleanupIN3c104HalfELNS0_8NormTypeE0ENS2_8BFloat16ELb0EfEEvPKT3_NS0_19TensorListAddressesEi,"axG",@progbits,_ZN2at6native14lpnorm_cleanupIN3c104HalfELNS0_8NormTypeE0ENS2_8BFloat16ELb0EfEEvPKT3_NS0_19TensorListAddressesEi,comdat
	.protected	_ZN2at6native14lpnorm_cleanupIN3c104HalfELNS0_8NormTypeE0ENS2_8BFloat16ELb0EfEEvPKT3_NS0_19TensorListAddressesEi ; -- Begin function _ZN2at6native14lpnorm_cleanupIN3c104HalfELNS0_8NormTypeE0ENS2_8BFloat16ELb0EfEEvPKT3_NS0_19TensorListAddressesEi
	.globl	_ZN2at6native14lpnorm_cleanupIN3c104HalfELNS0_8NormTypeE0ENS2_8BFloat16ELb0EfEEvPKT3_NS0_19TensorListAddressesEi
	.p2align	8
	.type	_ZN2at6native14lpnorm_cleanupIN3c104HalfELNS0_8NormTypeE0ENS2_8BFloat16ELb0EfEEvPKT3_NS0_19TensorListAddressesEi,@function
_ZN2at6native14lpnorm_cleanupIN3c104HalfELNS0_8NormTypeE0ENS2_8BFloat16ELb0EfEEvPKT3_NS0_19TensorListAddressesEi: ; @_ZN2at6native14lpnorm_cleanupIN3c104HalfELNS0_8NormTypeE0ENS2_8BFloat16ELb0EfEEvPKT3_NS0_19TensorListAddressesEi
; %bb.0:
	s_load_dword s6, s[0:1], 0xc88
	v_mov_b32_e32 v1, 0
	s_waitcnt lgkmcnt(0)
	v_cmp_gt_u32_e32 vcc, s6, v0
	s_and_saveexec_b64 s[4:5], vcc
	s_cbranch_execz .LBB181_4
; %bb.1:
	s_load_dwordx2 s[12:13], s[0:1], 0x0
	s_load_dword s3, s[0:1], 0xc9c
	s_mul_i32 s8, s6, s2
	s_mov_b32 s9, 0
	s_ashr_i32 s7, s6, 31
	s_lshl_b64 s[14:15], s[8:9], 2
	s_waitcnt lgkmcnt(0)
	s_and_b32 s10, s3, 0xffff
	v_mov_b32_e32 v1, 0
	s_add_u32 s12, s12, s14
	v_lshlrev_b32_e32 v2, 2, v0
	v_mov_b32_e32 v3, v1
	s_addc_u32 s13, s13, s15
	s_mov_b32 s11, s9
	v_lshl_add_u64 v[2:3], s[12:13], 0, v[2:3]
	s_lshl_b32 s8, s10, 2
	s_mov_b64 s[12:13], 0
	v_mov_b64_e32 v[4:5], v[0:1]
.LBB181_2:                              ; =>This Inner Loop Header: Depth=1
	global_load_dword v6, v[2:3], off
	v_lshl_add_u64 v[4:5], v[4:5], 0, s[10:11]
	v_cmp_le_u64_e32 vcc, s[6:7], v[4:5]
	v_lshl_add_u64 v[2:3], v[2:3], 0, s[8:9]
	s_or_b64 s[12:13], vcc, s[12:13]
	s_waitcnt vmcnt(0)
	v_add_f32_e32 v1, v1, v6
	s_andn2_b64 exec, exec, s[12:13]
	s_cbranch_execnz .LBB181_2
; %bb.3:
	s_or_b64 exec, exec, s[12:13]
.LBB181_4:
	s_or_b64 exec, exec, s[4:5]
	v_mbcnt_lo_u32_b32 v2, -1, 0
	v_mbcnt_hi_u32_b32 v6, -1, v2
	v_mov_b32_e32 v2, 0x80
	v_lshl_or_b32 v2, v6, 2, v2
	ds_bpermute_b32 v3, v2, v1
	v_and_b32_e32 v7, 63, v6
	v_cmp_gt_u32_e32 vcc, 48, v7
	s_waitcnt lgkmcnt(0)
	s_barrier
	v_cndmask_b32_e64 v4, 0, 16, vcc
	v_add_f32_e32 v5, v1, v3
	v_add_lshl_u32 v1, v4, v6, 2
	ds_bpermute_b32 v4, v1, v5
	v_cmp_gt_u32_e32 vcc, 56, v7
	s_waitcnt lgkmcnt(0)
	v_add_f32_e32 v5, v5, v4
	v_cndmask_b32_e64 v3, 0, 8, vcc
	v_add_lshl_u32 v3, v3, v6, 2
	ds_bpermute_b32 v8, v3, v5
	v_cmp_gt_u32_e32 vcc, 60, v7
	s_waitcnt lgkmcnt(0)
	v_add_f32_e32 v8, v5, v8
	v_cndmask_b32_e64 v4, 0, 4, vcc
	v_add_lshl_u32 v4, v4, v6, 2
	ds_bpermute_b32 v9, v4, v8
	v_cmp_gt_u32_e32 vcc, 62, v7
	s_waitcnt lgkmcnt(0)
	v_add_f32_e32 v9, v8, v9
	v_cndmask_b32_e64 v5, 0, 2, vcc
	v_add_lshl_u32 v5, v5, v6, 2
	ds_bpermute_b32 v10, v5, v9
	v_cmp_ne_u32_e32 vcc, 63, v7
	v_and_b32_e32 v8, 63, v0
	s_waitcnt lgkmcnt(0)
	v_add_f32_e32 v7, v9, v10
	v_addc_co_u32_e32 v6, vcc, 0, v6, vcc
	v_lshlrev_b32_e32 v6, 2, v6
	ds_bpermute_b32 v9, v6, v7
	v_cmp_eq_u32_e32 vcc, 0, v8
	s_and_saveexec_b64 s[4:5], vcc
	s_cbranch_execz .LBB181_6
; %bb.5:
	s_waitcnt lgkmcnt(0)
	v_add_f32_e32 v7, v7, v9
	v_lshrrev_b32_e32 v9, 4, v0
	ds_write_b32 v9, v7
.LBB181_6:
	s_or_b64 exec, exec, s[4:5]
	s_waitcnt lgkmcnt(0)
	s_barrier
	s_load_dword s3, s[0:1], 0xc9c
	v_mov_b32_e32 v7, 0
	s_waitcnt lgkmcnt(0)
	s_bfe_u32 s3, s3, 0xa0006
	v_cmp_gt_u32_e32 vcc, s3, v0
	s_and_saveexec_b64 s[4:5], vcc
; %bb.7:
	v_lshlrev_b32_e32 v7, 2, v8
	ds_read_b32 v7, v7
; %bb.8:
	s_or_b64 exec, exec, s[4:5]
	v_cmp_gt_u32_e32 vcc, 64, v0
	s_and_saveexec_b64 s[4:5], vcc
	s_cbranch_execz .LBB181_10
; %bb.9:
	s_waitcnt lgkmcnt(0)
	ds_bpermute_b32 v2, v2, v7
	s_waitcnt lgkmcnt(0)
	v_add_f32_e32 v2, v7, v2
	ds_bpermute_b32 v1, v1, v2
	s_waitcnt lgkmcnt(0)
	v_add_f32_e32 v1, v2, v1
	;; [unrolled: 3-line block ×6, first 2 shown]
.LBB181_10:
	s_or_b64 exec, exec, s[4:5]
	s_mov_b32 s3, 0
	v_cmp_eq_u32_e32 vcc, 0, v0
	s_and_saveexec_b64 s[4:5], vcc
	s_cbranch_execz .LBB181_12
; %bb.11:
	s_lshl_b64 s[2:3], s[2:3], 3
	s_add_u32 s0, s0, s2
	s_addc_u32 s1, s1, s3
	s_load_dwordx2 s[0:1], s[0:1], 0x8
	s_waitcnt lgkmcnt(0)
	v_bfe_u32 v0, v7, 16, 1
	s_movk_i32 s4, 0x7fff
	v_add3_u32 v0, v7, v0, s4
	v_cmp_o_f32_e32 vcc, v7, v7
	v_mov_b32_e32 v1, 0x7fc0
	s_nop 0
	v_cndmask_b32_sdwa v0, v1, v0, vcc dst_sel:DWORD dst_unused:UNUSED_PAD src0_sel:DWORD src1_sel:WORD_1
	v_mov_b32_e32 v1, 0
	global_store_short v1, v0, s[0:1]
.LBB181_12:
	s_endpgm
	.section	.rodata,"a",@progbits
	.p2align	6, 0x0
	.amdhsa_kernel _ZN2at6native14lpnorm_cleanupIN3c104HalfELNS0_8NormTypeE0ENS2_8BFloat16ELb0EfEEvPKT3_NS0_19TensorListAddressesEi
		.amdhsa_group_segment_fixed_size 2048
		.amdhsa_private_segment_fixed_size 0
		.amdhsa_kernarg_size 3472
		.amdhsa_user_sgpr_count 2
		.amdhsa_user_sgpr_dispatch_ptr 0
		.amdhsa_user_sgpr_queue_ptr 0
		.amdhsa_user_sgpr_kernarg_segment_ptr 1
		.amdhsa_user_sgpr_dispatch_id 0
		.amdhsa_user_sgpr_kernarg_preload_length 0
		.amdhsa_user_sgpr_kernarg_preload_offset 0
		.amdhsa_user_sgpr_private_segment_size 0
		.amdhsa_uses_dynamic_stack 0
		.amdhsa_enable_private_segment 0
		.amdhsa_system_sgpr_workgroup_id_x 1
		.amdhsa_system_sgpr_workgroup_id_y 0
		.amdhsa_system_sgpr_workgroup_id_z 0
		.amdhsa_system_sgpr_workgroup_info 0
		.amdhsa_system_vgpr_workitem_id 0
		.amdhsa_next_free_vgpr 11
		.amdhsa_next_free_sgpr 16
		.amdhsa_accum_offset 12
		.amdhsa_reserve_vcc 1
		.amdhsa_float_round_mode_32 0
		.amdhsa_float_round_mode_16_64 0
		.amdhsa_float_denorm_mode_32 3
		.amdhsa_float_denorm_mode_16_64 3
		.amdhsa_dx10_clamp 1
		.amdhsa_ieee_mode 1
		.amdhsa_fp16_overflow 0
		.amdhsa_tg_split 0
		.amdhsa_exception_fp_ieee_invalid_op 0
		.amdhsa_exception_fp_denorm_src 0
		.amdhsa_exception_fp_ieee_div_zero 0
		.amdhsa_exception_fp_ieee_overflow 0
		.amdhsa_exception_fp_ieee_underflow 0
		.amdhsa_exception_fp_ieee_inexact 0
		.amdhsa_exception_int_div_zero 0
	.end_amdhsa_kernel
	.section	.text._ZN2at6native14lpnorm_cleanupIN3c104HalfELNS0_8NormTypeE0ENS2_8BFloat16ELb0EfEEvPKT3_NS0_19TensorListAddressesEi,"axG",@progbits,_ZN2at6native14lpnorm_cleanupIN3c104HalfELNS0_8NormTypeE0ENS2_8BFloat16ELb0EfEEvPKT3_NS0_19TensorListAddressesEi,comdat
.Lfunc_end181:
	.size	_ZN2at6native14lpnorm_cleanupIN3c104HalfELNS0_8NormTypeE0ENS2_8BFloat16ELb0EfEEvPKT3_NS0_19TensorListAddressesEi, .Lfunc_end181-_ZN2at6native14lpnorm_cleanupIN3c104HalfELNS0_8NormTypeE0ENS2_8BFloat16ELb0EfEEvPKT3_NS0_19TensorListAddressesEi
                                        ; -- End function
	.set _ZN2at6native14lpnorm_cleanupIN3c104HalfELNS0_8NormTypeE0ENS2_8BFloat16ELb0EfEEvPKT3_NS0_19TensorListAddressesEi.num_vgpr, 11
	.set _ZN2at6native14lpnorm_cleanupIN3c104HalfELNS0_8NormTypeE0ENS2_8BFloat16ELb0EfEEvPKT3_NS0_19TensorListAddressesEi.num_agpr, 0
	.set _ZN2at6native14lpnorm_cleanupIN3c104HalfELNS0_8NormTypeE0ENS2_8BFloat16ELb0EfEEvPKT3_NS0_19TensorListAddressesEi.numbered_sgpr, 16
	.set _ZN2at6native14lpnorm_cleanupIN3c104HalfELNS0_8NormTypeE0ENS2_8BFloat16ELb0EfEEvPKT3_NS0_19TensorListAddressesEi.num_named_barrier, 0
	.set _ZN2at6native14lpnorm_cleanupIN3c104HalfELNS0_8NormTypeE0ENS2_8BFloat16ELb0EfEEvPKT3_NS0_19TensorListAddressesEi.private_seg_size, 0
	.set _ZN2at6native14lpnorm_cleanupIN3c104HalfELNS0_8NormTypeE0ENS2_8BFloat16ELb0EfEEvPKT3_NS0_19TensorListAddressesEi.uses_vcc, 1
	.set _ZN2at6native14lpnorm_cleanupIN3c104HalfELNS0_8NormTypeE0ENS2_8BFloat16ELb0EfEEvPKT3_NS0_19TensorListAddressesEi.uses_flat_scratch, 0
	.set _ZN2at6native14lpnorm_cleanupIN3c104HalfELNS0_8NormTypeE0ENS2_8BFloat16ELb0EfEEvPKT3_NS0_19TensorListAddressesEi.has_dyn_sized_stack, 0
	.set _ZN2at6native14lpnorm_cleanupIN3c104HalfELNS0_8NormTypeE0ENS2_8BFloat16ELb0EfEEvPKT3_NS0_19TensorListAddressesEi.has_recursion, 0
	.set _ZN2at6native14lpnorm_cleanupIN3c104HalfELNS0_8NormTypeE0ENS2_8BFloat16ELb0EfEEvPKT3_NS0_19TensorListAddressesEi.has_indirect_call, 0
	.section	.AMDGPU.csdata,"",@progbits
; Kernel info:
; codeLenInByte = 704
; TotalNumSgprs: 22
; NumVgprs: 11
; NumAgprs: 0
; TotalNumVgprs: 11
; ScratchSize: 0
; MemoryBound: 0
; FloatMode: 240
; IeeeMode: 1
; LDSByteSize: 2048 bytes/workgroup (compile time only)
; SGPRBlocks: 2
; VGPRBlocks: 1
; NumSGPRsForWavesPerEU: 22
; NumVGPRsForWavesPerEU: 11
; AccumOffset: 12
; Occupancy: 8
; WaveLimiterHint : 0
; COMPUTE_PGM_RSRC2:SCRATCH_EN: 0
; COMPUTE_PGM_RSRC2:USER_SGPR: 2
; COMPUTE_PGM_RSRC2:TRAP_HANDLER: 0
; COMPUTE_PGM_RSRC2:TGID_X_EN: 1
; COMPUTE_PGM_RSRC2:TGID_Y_EN: 0
; COMPUTE_PGM_RSRC2:TGID_Z_EN: 0
; COMPUTE_PGM_RSRC2:TIDIG_COMP_CNT: 0
; COMPUTE_PGM_RSRC3_GFX90A:ACCUM_OFFSET: 2
; COMPUTE_PGM_RSRC3_GFX90A:TG_SPLIT: 0
	.section	.text._ZN2at6native14lpnorm_cleanupIN3c104HalfELNS0_8NormTypeE1ENS2_8BFloat16ELb0EfEEvPKT3_NS0_19TensorListAddressesEi,"axG",@progbits,_ZN2at6native14lpnorm_cleanupIN3c104HalfELNS0_8NormTypeE1ENS2_8BFloat16ELb0EfEEvPKT3_NS0_19TensorListAddressesEi,comdat
	.protected	_ZN2at6native14lpnorm_cleanupIN3c104HalfELNS0_8NormTypeE1ENS2_8BFloat16ELb0EfEEvPKT3_NS0_19TensorListAddressesEi ; -- Begin function _ZN2at6native14lpnorm_cleanupIN3c104HalfELNS0_8NormTypeE1ENS2_8BFloat16ELb0EfEEvPKT3_NS0_19TensorListAddressesEi
	.globl	_ZN2at6native14lpnorm_cleanupIN3c104HalfELNS0_8NormTypeE1ENS2_8BFloat16ELb0EfEEvPKT3_NS0_19TensorListAddressesEi
	.p2align	8
	.type	_ZN2at6native14lpnorm_cleanupIN3c104HalfELNS0_8NormTypeE1ENS2_8BFloat16ELb0EfEEvPKT3_NS0_19TensorListAddressesEi,@function
_ZN2at6native14lpnorm_cleanupIN3c104HalfELNS0_8NormTypeE1ENS2_8BFloat16ELb0EfEEvPKT3_NS0_19TensorListAddressesEi: ; @_ZN2at6native14lpnorm_cleanupIN3c104HalfELNS0_8NormTypeE1ENS2_8BFloat16ELb0EfEEvPKT3_NS0_19TensorListAddressesEi
; %bb.0:
	s_load_dword s6, s[0:1], 0xc88
	v_mov_b32_e32 v1, 0
	s_waitcnt lgkmcnt(0)
	v_cmp_gt_u32_e32 vcc, s6, v0
	s_and_saveexec_b64 s[4:5], vcc
	s_cbranch_execz .LBB182_4
; %bb.1:
	s_load_dwordx2 s[12:13], s[0:1], 0x0
	s_load_dword s3, s[0:1], 0xc9c
	s_mul_i32 s8, s6, s2
	s_mov_b32 s9, 0
	s_ashr_i32 s7, s6, 31
	s_lshl_b64 s[14:15], s[8:9], 2
	s_waitcnt lgkmcnt(0)
	s_and_b32 s10, s3, 0xffff
	v_mov_b32_e32 v1, 0
	s_add_u32 s12, s12, s14
	v_lshlrev_b32_e32 v2, 2, v0
	v_mov_b32_e32 v3, v1
	s_addc_u32 s13, s13, s15
	s_mov_b32 s11, s9
	v_lshl_add_u64 v[2:3], s[12:13], 0, v[2:3]
	s_lshl_b32 s8, s10, 2
	s_mov_b64 s[12:13], 0
	v_mov_b64_e32 v[4:5], v[0:1]
.LBB182_2:                              ; =>This Inner Loop Header: Depth=1
	global_load_dword v6, v[2:3], off
	v_lshl_add_u64 v[4:5], v[4:5], 0, s[10:11]
	v_cmp_le_u64_e32 vcc, s[6:7], v[4:5]
	v_lshl_add_u64 v[2:3], v[2:3], 0, s[8:9]
	s_or_b64 s[12:13], vcc, s[12:13]
	s_waitcnt vmcnt(0)
	v_add_f32_e32 v1, v1, v6
	s_andn2_b64 exec, exec, s[12:13]
	s_cbranch_execnz .LBB182_2
; %bb.3:
	s_or_b64 exec, exec, s[12:13]
.LBB182_4:
	s_or_b64 exec, exec, s[4:5]
	v_mbcnt_lo_u32_b32 v2, -1, 0
	v_mbcnt_hi_u32_b32 v6, -1, v2
	v_mov_b32_e32 v2, 0x80
	v_lshl_or_b32 v2, v6, 2, v2
	ds_bpermute_b32 v3, v2, v1
	v_and_b32_e32 v7, 63, v6
	v_cmp_gt_u32_e32 vcc, 48, v7
	s_waitcnt lgkmcnt(0)
	s_barrier
	v_cndmask_b32_e64 v4, 0, 16, vcc
	v_add_f32_e32 v5, v1, v3
	v_add_lshl_u32 v1, v4, v6, 2
	ds_bpermute_b32 v4, v1, v5
	v_cmp_gt_u32_e32 vcc, 56, v7
	s_waitcnt lgkmcnt(0)
	v_add_f32_e32 v5, v5, v4
	v_cndmask_b32_e64 v3, 0, 8, vcc
	v_add_lshl_u32 v3, v3, v6, 2
	ds_bpermute_b32 v8, v3, v5
	v_cmp_gt_u32_e32 vcc, 60, v7
	s_waitcnt lgkmcnt(0)
	v_add_f32_e32 v8, v5, v8
	v_cndmask_b32_e64 v4, 0, 4, vcc
	;; [unrolled: 6-line block ×3, first 2 shown]
	v_add_lshl_u32 v5, v5, v6, 2
	ds_bpermute_b32 v10, v5, v9
	v_cmp_ne_u32_e32 vcc, 63, v7
	v_and_b32_e32 v8, 63, v0
	s_waitcnt lgkmcnt(0)
	v_add_f32_e32 v7, v9, v10
	v_addc_co_u32_e32 v6, vcc, 0, v6, vcc
	v_lshlrev_b32_e32 v6, 2, v6
	ds_bpermute_b32 v9, v6, v7
	v_cmp_eq_u32_e32 vcc, 0, v8
	s_and_saveexec_b64 s[4:5], vcc
	s_cbranch_execz .LBB182_6
; %bb.5:
	s_waitcnt lgkmcnt(0)
	v_add_f32_e32 v7, v7, v9
	v_lshrrev_b32_e32 v9, 4, v0
	ds_write_b32 v9, v7
.LBB182_6:
	s_or_b64 exec, exec, s[4:5]
	s_waitcnt lgkmcnt(0)
	s_barrier
	s_load_dword s3, s[0:1], 0xc9c
	v_mov_b32_e32 v7, 0
	s_waitcnt lgkmcnt(0)
	s_bfe_u32 s3, s3, 0xa0006
	v_cmp_gt_u32_e32 vcc, s3, v0
	s_and_saveexec_b64 s[4:5], vcc
; %bb.7:
	v_lshlrev_b32_e32 v7, 2, v8
	ds_read_b32 v7, v7
; %bb.8:
	s_or_b64 exec, exec, s[4:5]
	v_cmp_gt_u32_e32 vcc, 64, v0
	s_and_saveexec_b64 s[4:5], vcc
	s_cbranch_execz .LBB182_10
; %bb.9:
	s_waitcnt lgkmcnt(0)
	ds_bpermute_b32 v2, v2, v7
	s_waitcnt lgkmcnt(0)
	v_add_f32_e32 v2, v7, v2
	ds_bpermute_b32 v1, v1, v2
	s_waitcnt lgkmcnt(0)
	v_add_f32_e32 v1, v2, v1
	;; [unrolled: 3-line block ×6, first 2 shown]
.LBB182_10:
	s_or_b64 exec, exec, s[4:5]
	s_mov_b32 s3, 0
	v_cmp_eq_u32_e32 vcc, 0, v0
	s_and_saveexec_b64 s[4:5], vcc
	s_cbranch_execz .LBB182_12
; %bb.11:
	s_lshl_b64 s[2:3], s[2:3], 3
	s_add_u32 s0, s0, s2
	s_addc_u32 s1, s1, s3
	s_load_dwordx2 s[0:1], s[0:1], 0x8
	s_waitcnt lgkmcnt(0)
	v_bfe_u32 v0, v7, 16, 1
	s_movk_i32 s4, 0x7fff
	v_add3_u32 v0, v7, v0, s4
	v_cmp_o_f32_e32 vcc, v7, v7
	v_mov_b32_e32 v1, 0x7fc0
	s_nop 0
	v_cndmask_b32_sdwa v0, v1, v0, vcc dst_sel:DWORD dst_unused:UNUSED_PAD src0_sel:DWORD src1_sel:WORD_1
	v_mov_b32_e32 v1, 0
	global_store_short v1, v0, s[0:1]
.LBB182_12:
	s_endpgm
	.section	.rodata,"a",@progbits
	.p2align	6, 0x0
	.amdhsa_kernel _ZN2at6native14lpnorm_cleanupIN3c104HalfELNS0_8NormTypeE1ENS2_8BFloat16ELb0EfEEvPKT3_NS0_19TensorListAddressesEi
		.amdhsa_group_segment_fixed_size 2048
		.amdhsa_private_segment_fixed_size 0
		.amdhsa_kernarg_size 3472
		.amdhsa_user_sgpr_count 2
		.amdhsa_user_sgpr_dispatch_ptr 0
		.amdhsa_user_sgpr_queue_ptr 0
		.amdhsa_user_sgpr_kernarg_segment_ptr 1
		.amdhsa_user_sgpr_dispatch_id 0
		.amdhsa_user_sgpr_kernarg_preload_length 0
		.amdhsa_user_sgpr_kernarg_preload_offset 0
		.amdhsa_user_sgpr_private_segment_size 0
		.amdhsa_uses_dynamic_stack 0
		.amdhsa_enable_private_segment 0
		.amdhsa_system_sgpr_workgroup_id_x 1
		.amdhsa_system_sgpr_workgroup_id_y 0
		.amdhsa_system_sgpr_workgroup_id_z 0
		.amdhsa_system_sgpr_workgroup_info 0
		.amdhsa_system_vgpr_workitem_id 0
		.amdhsa_next_free_vgpr 11
		.amdhsa_next_free_sgpr 16
		.amdhsa_accum_offset 12
		.amdhsa_reserve_vcc 1
		.amdhsa_float_round_mode_32 0
		.amdhsa_float_round_mode_16_64 0
		.amdhsa_float_denorm_mode_32 3
		.amdhsa_float_denorm_mode_16_64 3
		.amdhsa_dx10_clamp 1
		.amdhsa_ieee_mode 1
		.amdhsa_fp16_overflow 0
		.amdhsa_tg_split 0
		.amdhsa_exception_fp_ieee_invalid_op 0
		.amdhsa_exception_fp_denorm_src 0
		.amdhsa_exception_fp_ieee_div_zero 0
		.amdhsa_exception_fp_ieee_overflow 0
		.amdhsa_exception_fp_ieee_underflow 0
		.amdhsa_exception_fp_ieee_inexact 0
		.amdhsa_exception_int_div_zero 0
	.end_amdhsa_kernel
	.section	.text._ZN2at6native14lpnorm_cleanupIN3c104HalfELNS0_8NormTypeE1ENS2_8BFloat16ELb0EfEEvPKT3_NS0_19TensorListAddressesEi,"axG",@progbits,_ZN2at6native14lpnorm_cleanupIN3c104HalfELNS0_8NormTypeE1ENS2_8BFloat16ELb0EfEEvPKT3_NS0_19TensorListAddressesEi,comdat
.Lfunc_end182:
	.size	_ZN2at6native14lpnorm_cleanupIN3c104HalfELNS0_8NormTypeE1ENS2_8BFloat16ELb0EfEEvPKT3_NS0_19TensorListAddressesEi, .Lfunc_end182-_ZN2at6native14lpnorm_cleanupIN3c104HalfELNS0_8NormTypeE1ENS2_8BFloat16ELb0EfEEvPKT3_NS0_19TensorListAddressesEi
                                        ; -- End function
	.set _ZN2at6native14lpnorm_cleanupIN3c104HalfELNS0_8NormTypeE1ENS2_8BFloat16ELb0EfEEvPKT3_NS0_19TensorListAddressesEi.num_vgpr, 11
	.set _ZN2at6native14lpnorm_cleanupIN3c104HalfELNS0_8NormTypeE1ENS2_8BFloat16ELb0EfEEvPKT3_NS0_19TensorListAddressesEi.num_agpr, 0
	.set _ZN2at6native14lpnorm_cleanupIN3c104HalfELNS0_8NormTypeE1ENS2_8BFloat16ELb0EfEEvPKT3_NS0_19TensorListAddressesEi.numbered_sgpr, 16
	.set _ZN2at6native14lpnorm_cleanupIN3c104HalfELNS0_8NormTypeE1ENS2_8BFloat16ELb0EfEEvPKT3_NS0_19TensorListAddressesEi.num_named_barrier, 0
	.set _ZN2at6native14lpnorm_cleanupIN3c104HalfELNS0_8NormTypeE1ENS2_8BFloat16ELb0EfEEvPKT3_NS0_19TensorListAddressesEi.private_seg_size, 0
	.set _ZN2at6native14lpnorm_cleanupIN3c104HalfELNS0_8NormTypeE1ENS2_8BFloat16ELb0EfEEvPKT3_NS0_19TensorListAddressesEi.uses_vcc, 1
	.set _ZN2at6native14lpnorm_cleanupIN3c104HalfELNS0_8NormTypeE1ENS2_8BFloat16ELb0EfEEvPKT3_NS0_19TensorListAddressesEi.uses_flat_scratch, 0
	.set _ZN2at6native14lpnorm_cleanupIN3c104HalfELNS0_8NormTypeE1ENS2_8BFloat16ELb0EfEEvPKT3_NS0_19TensorListAddressesEi.has_dyn_sized_stack, 0
	.set _ZN2at6native14lpnorm_cleanupIN3c104HalfELNS0_8NormTypeE1ENS2_8BFloat16ELb0EfEEvPKT3_NS0_19TensorListAddressesEi.has_recursion, 0
	.set _ZN2at6native14lpnorm_cleanupIN3c104HalfELNS0_8NormTypeE1ENS2_8BFloat16ELb0EfEEvPKT3_NS0_19TensorListAddressesEi.has_indirect_call, 0
	.section	.AMDGPU.csdata,"",@progbits
; Kernel info:
; codeLenInByte = 704
; TotalNumSgprs: 22
; NumVgprs: 11
; NumAgprs: 0
; TotalNumVgprs: 11
; ScratchSize: 0
; MemoryBound: 0
; FloatMode: 240
; IeeeMode: 1
; LDSByteSize: 2048 bytes/workgroup (compile time only)
; SGPRBlocks: 2
; VGPRBlocks: 1
; NumSGPRsForWavesPerEU: 22
; NumVGPRsForWavesPerEU: 11
; AccumOffset: 12
; Occupancy: 8
; WaveLimiterHint : 0
; COMPUTE_PGM_RSRC2:SCRATCH_EN: 0
; COMPUTE_PGM_RSRC2:USER_SGPR: 2
; COMPUTE_PGM_RSRC2:TRAP_HANDLER: 0
; COMPUTE_PGM_RSRC2:TGID_X_EN: 1
; COMPUTE_PGM_RSRC2:TGID_Y_EN: 0
; COMPUTE_PGM_RSRC2:TGID_Z_EN: 0
; COMPUTE_PGM_RSRC2:TIDIG_COMP_CNT: 0
; COMPUTE_PGM_RSRC3_GFX90A:ACCUM_OFFSET: 2
; COMPUTE_PGM_RSRC3_GFX90A:TG_SPLIT: 0
	.section	.text._ZN2at6native14lpnorm_cleanupIN3c104HalfELNS0_8NormTypeE2ENS2_8BFloat16ELb0EfEEvPKT3_NS0_19TensorListAddressesEi,"axG",@progbits,_ZN2at6native14lpnorm_cleanupIN3c104HalfELNS0_8NormTypeE2ENS2_8BFloat16ELb0EfEEvPKT3_NS0_19TensorListAddressesEi,comdat
	.protected	_ZN2at6native14lpnorm_cleanupIN3c104HalfELNS0_8NormTypeE2ENS2_8BFloat16ELb0EfEEvPKT3_NS0_19TensorListAddressesEi ; -- Begin function _ZN2at6native14lpnorm_cleanupIN3c104HalfELNS0_8NormTypeE2ENS2_8BFloat16ELb0EfEEvPKT3_NS0_19TensorListAddressesEi
	.globl	_ZN2at6native14lpnorm_cleanupIN3c104HalfELNS0_8NormTypeE2ENS2_8BFloat16ELb0EfEEvPKT3_NS0_19TensorListAddressesEi
	.p2align	8
	.type	_ZN2at6native14lpnorm_cleanupIN3c104HalfELNS0_8NormTypeE2ENS2_8BFloat16ELb0EfEEvPKT3_NS0_19TensorListAddressesEi,@function
_ZN2at6native14lpnorm_cleanupIN3c104HalfELNS0_8NormTypeE2ENS2_8BFloat16ELb0EfEEvPKT3_NS0_19TensorListAddressesEi: ; @_ZN2at6native14lpnorm_cleanupIN3c104HalfELNS0_8NormTypeE2ENS2_8BFloat16ELb0EfEEvPKT3_NS0_19TensorListAddressesEi
; %bb.0:
	s_load_dword s6, s[0:1], 0xc88
	v_mov_b32_e32 v1, 0
	s_waitcnt lgkmcnt(0)
	v_cmp_gt_u32_e32 vcc, s6, v0
	s_and_saveexec_b64 s[4:5], vcc
	s_cbranch_execz .LBB183_4
; %bb.1:
	s_load_dwordx2 s[12:13], s[0:1], 0x0
	s_load_dword s3, s[0:1], 0xc9c
	s_mul_i32 s8, s6, s2
	s_mov_b32 s9, 0
	s_ashr_i32 s7, s6, 31
	s_lshl_b64 s[14:15], s[8:9], 2
	s_waitcnt lgkmcnt(0)
	s_and_b32 s10, s3, 0xffff
	v_mov_b32_e32 v1, 0
	s_add_u32 s12, s12, s14
	v_lshlrev_b32_e32 v2, 2, v0
	v_mov_b32_e32 v3, v1
	s_addc_u32 s13, s13, s15
	s_mov_b32 s11, s9
	v_lshl_add_u64 v[2:3], s[12:13], 0, v[2:3]
	s_lshl_b32 s8, s10, 2
	s_mov_b64 s[12:13], 0
	v_mov_b64_e32 v[4:5], v[0:1]
.LBB183_2:                              ; =>This Inner Loop Header: Depth=1
	global_load_dword v6, v[2:3], off
	v_lshl_add_u64 v[4:5], v[4:5], 0, s[10:11]
	v_cmp_le_u64_e32 vcc, s[6:7], v[4:5]
	v_lshl_add_u64 v[2:3], v[2:3], 0, s[8:9]
	s_or_b64 s[12:13], vcc, s[12:13]
	s_waitcnt vmcnt(0)
	v_add_f32_e32 v1, v1, v6
	s_andn2_b64 exec, exec, s[12:13]
	s_cbranch_execnz .LBB183_2
; %bb.3:
	s_or_b64 exec, exec, s[12:13]
.LBB183_4:
	s_or_b64 exec, exec, s[4:5]
	v_mbcnt_lo_u32_b32 v2, -1, 0
	v_mbcnt_hi_u32_b32 v6, -1, v2
	v_mov_b32_e32 v2, 0x80
	v_lshl_or_b32 v2, v6, 2, v2
	ds_bpermute_b32 v3, v2, v1
	v_and_b32_e32 v7, 63, v6
	v_cmp_gt_u32_e32 vcc, 48, v7
	s_waitcnt lgkmcnt(0)
	s_barrier
	v_cndmask_b32_e64 v4, 0, 16, vcc
	v_add_f32_e32 v5, v1, v3
	v_add_lshl_u32 v1, v4, v6, 2
	ds_bpermute_b32 v4, v1, v5
	v_cmp_gt_u32_e32 vcc, 56, v7
	s_waitcnt lgkmcnt(0)
	v_add_f32_e32 v5, v5, v4
	v_cndmask_b32_e64 v3, 0, 8, vcc
	v_add_lshl_u32 v3, v3, v6, 2
	ds_bpermute_b32 v8, v3, v5
	v_cmp_gt_u32_e32 vcc, 60, v7
	s_waitcnt lgkmcnt(0)
	v_add_f32_e32 v8, v5, v8
	v_cndmask_b32_e64 v4, 0, 4, vcc
	;; [unrolled: 6-line block ×3, first 2 shown]
	v_add_lshl_u32 v5, v5, v6, 2
	ds_bpermute_b32 v10, v5, v9
	v_cmp_ne_u32_e32 vcc, 63, v7
	v_and_b32_e32 v8, 63, v0
	s_waitcnt lgkmcnt(0)
	v_add_f32_e32 v7, v9, v10
	v_addc_co_u32_e32 v6, vcc, 0, v6, vcc
	v_lshlrev_b32_e32 v6, 2, v6
	ds_bpermute_b32 v9, v6, v7
	v_cmp_eq_u32_e32 vcc, 0, v8
	s_and_saveexec_b64 s[4:5], vcc
	s_cbranch_execz .LBB183_6
; %bb.5:
	s_waitcnt lgkmcnt(0)
	v_add_f32_e32 v7, v7, v9
	v_lshrrev_b32_e32 v9, 4, v0
	ds_write_b32 v9, v7
.LBB183_6:
	s_or_b64 exec, exec, s[4:5]
	s_waitcnt lgkmcnt(0)
	s_barrier
	s_load_dword s3, s[0:1], 0xc9c
	v_mov_b32_e32 v7, 0
	s_waitcnt lgkmcnt(0)
	s_bfe_u32 s3, s3, 0xa0006
	v_cmp_gt_u32_e32 vcc, s3, v0
	s_and_saveexec_b64 s[4:5], vcc
; %bb.7:
	v_lshlrev_b32_e32 v7, 2, v8
	ds_read_b32 v7, v7
; %bb.8:
	s_or_b64 exec, exec, s[4:5]
	v_cmp_gt_u32_e32 vcc, 64, v0
	s_and_saveexec_b64 s[4:5], vcc
	s_cbranch_execz .LBB183_10
; %bb.9:
	s_waitcnt lgkmcnt(0)
	ds_bpermute_b32 v2, v2, v7
	s_waitcnt lgkmcnt(0)
	v_add_f32_e32 v2, v7, v2
	ds_bpermute_b32 v1, v1, v2
	s_waitcnt lgkmcnt(0)
	v_add_f32_e32 v1, v2, v1
	;; [unrolled: 3-line block ×6, first 2 shown]
.LBB183_10:
	s_or_b64 exec, exec, s[4:5]
	s_mov_b32 s3, 0
	v_cmp_eq_u32_e32 vcc, 0, v0
	s_and_saveexec_b64 s[4:5], vcc
	s_cbranch_execz .LBB183_12
; %bb.11:
	s_lshl_b64 s[2:3], s[2:3], 3
	s_add_u32 s0, s0, s2
	s_addc_u32 s1, s1, s3
	s_load_dwordx2 s[0:1], s[0:1], 0x8
	s_waitcnt lgkmcnt(0)
	v_bfe_u32 v0, v7, 16, 1
	s_movk_i32 s4, 0x7fff
	v_add3_u32 v0, v7, v0, s4
	v_cmp_o_f32_e32 vcc, v7, v7
	v_mov_b32_e32 v1, 0x7fc0
	s_nop 0
	v_cndmask_b32_sdwa v0, v1, v0, vcc dst_sel:DWORD dst_unused:UNUSED_PAD src0_sel:DWORD src1_sel:WORD_1
	v_mov_b32_e32 v1, 0
	global_store_short v1, v0, s[0:1]
.LBB183_12:
	s_endpgm
	.section	.rodata,"a",@progbits
	.p2align	6, 0x0
	.amdhsa_kernel _ZN2at6native14lpnorm_cleanupIN3c104HalfELNS0_8NormTypeE2ENS2_8BFloat16ELb0EfEEvPKT3_NS0_19TensorListAddressesEi
		.amdhsa_group_segment_fixed_size 2048
		.amdhsa_private_segment_fixed_size 0
		.amdhsa_kernarg_size 3472
		.amdhsa_user_sgpr_count 2
		.amdhsa_user_sgpr_dispatch_ptr 0
		.amdhsa_user_sgpr_queue_ptr 0
		.amdhsa_user_sgpr_kernarg_segment_ptr 1
		.amdhsa_user_sgpr_dispatch_id 0
		.amdhsa_user_sgpr_kernarg_preload_length 0
		.amdhsa_user_sgpr_kernarg_preload_offset 0
		.amdhsa_user_sgpr_private_segment_size 0
		.amdhsa_uses_dynamic_stack 0
		.amdhsa_enable_private_segment 0
		.amdhsa_system_sgpr_workgroup_id_x 1
		.amdhsa_system_sgpr_workgroup_id_y 0
		.amdhsa_system_sgpr_workgroup_id_z 0
		.amdhsa_system_sgpr_workgroup_info 0
		.amdhsa_system_vgpr_workitem_id 0
		.amdhsa_next_free_vgpr 11
		.amdhsa_next_free_sgpr 16
		.amdhsa_accum_offset 12
		.amdhsa_reserve_vcc 1
		.amdhsa_float_round_mode_32 0
		.amdhsa_float_round_mode_16_64 0
		.amdhsa_float_denorm_mode_32 3
		.amdhsa_float_denorm_mode_16_64 3
		.amdhsa_dx10_clamp 1
		.amdhsa_ieee_mode 1
		.amdhsa_fp16_overflow 0
		.amdhsa_tg_split 0
		.amdhsa_exception_fp_ieee_invalid_op 0
		.amdhsa_exception_fp_denorm_src 0
		.amdhsa_exception_fp_ieee_div_zero 0
		.amdhsa_exception_fp_ieee_overflow 0
		.amdhsa_exception_fp_ieee_underflow 0
		.amdhsa_exception_fp_ieee_inexact 0
		.amdhsa_exception_int_div_zero 0
	.end_amdhsa_kernel
	.section	.text._ZN2at6native14lpnorm_cleanupIN3c104HalfELNS0_8NormTypeE2ENS2_8BFloat16ELb0EfEEvPKT3_NS0_19TensorListAddressesEi,"axG",@progbits,_ZN2at6native14lpnorm_cleanupIN3c104HalfELNS0_8NormTypeE2ENS2_8BFloat16ELb0EfEEvPKT3_NS0_19TensorListAddressesEi,comdat
.Lfunc_end183:
	.size	_ZN2at6native14lpnorm_cleanupIN3c104HalfELNS0_8NormTypeE2ENS2_8BFloat16ELb0EfEEvPKT3_NS0_19TensorListAddressesEi, .Lfunc_end183-_ZN2at6native14lpnorm_cleanupIN3c104HalfELNS0_8NormTypeE2ENS2_8BFloat16ELb0EfEEvPKT3_NS0_19TensorListAddressesEi
                                        ; -- End function
	.set _ZN2at6native14lpnorm_cleanupIN3c104HalfELNS0_8NormTypeE2ENS2_8BFloat16ELb0EfEEvPKT3_NS0_19TensorListAddressesEi.num_vgpr, 11
	.set _ZN2at6native14lpnorm_cleanupIN3c104HalfELNS0_8NormTypeE2ENS2_8BFloat16ELb0EfEEvPKT3_NS0_19TensorListAddressesEi.num_agpr, 0
	.set _ZN2at6native14lpnorm_cleanupIN3c104HalfELNS0_8NormTypeE2ENS2_8BFloat16ELb0EfEEvPKT3_NS0_19TensorListAddressesEi.numbered_sgpr, 16
	.set _ZN2at6native14lpnorm_cleanupIN3c104HalfELNS0_8NormTypeE2ENS2_8BFloat16ELb0EfEEvPKT3_NS0_19TensorListAddressesEi.num_named_barrier, 0
	.set _ZN2at6native14lpnorm_cleanupIN3c104HalfELNS0_8NormTypeE2ENS2_8BFloat16ELb0EfEEvPKT3_NS0_19TensorListAddressesEi.private_seg_size, 0
	.set _ZN2at6native14lpnorm_cleanupIN3c104HalfELNS0_8NormTypeE2ENS2_8BFloat16ELb0EfEEvPKT3_NS0_19TensorListAddressesEi.uses_vcc, 1
	.set _ZN2at6native14lpnorm_cleanupIN3c104HalfELNS0_8NormTypeE2ENS2_8BFloat16ELb0EfEEvPKT3_NS0_19TensorListAddressesEi.uses_flat_scratch, 0
	.set _ZN2at6native14lpnorm_cleanupIN3c104HalfELNS0_8NormTypeE2ENS2_8BFloat16ELb0EfEEvPKT3_NS0_19TensorListAddressesEi.has_dyn_sized_stack, 0
	.set _ZN2at6native14lpnorm_cleanupIN3c104HalfELNS0_8NormTypeE2ENS2_8BFloat16ELb0EfEEvPKT3_NS0_19TensorListAddressesEi.has_recursion, 0
	.set _ZN2at6native14lpnorm_cleanupIN3c104HalfELNS0_8NormTypeE2ENS2_8BFloat16ELb0EfEEvPKT3_NS0_19TensorListAddressesEi.has_indirect_call, 0
	.section	.AMDGPU.csdata,"",@progbits
; Kernel info:
; codeLenInByte = 704
; TotalNumSgprs: 22
; NumVgprs: 11
; NumAgprs: 0
; TotalNumVgprs: 11
; ScratchSize: 0
; MemoryBound: 0
; FloatMode: 240
; IeeeMode: 1
; LDSByteSize: 2048 bytes/workgroup (compile time only)
; SGPRBlocks: 2
; VGPRBlocks: 1
; NumSGPRsForWavesPerEU: 22
; NumVGPRsForWavesPerEU: 11
; AccumOffset: 12
; Occupancy: 8
; WaveLimiterHint : 0
; COMPUTE_PGM_RSRC2:SCRATCH_EN: 0
; COMPUTE_PGM_RSRC2:USER_SGPR: 2
; COMPUTE_PGM_RSRC2:TRAP_HANDLER: 0
; COMPUTE_PGM_RSRC2:TGID_X_EN: 1
; COMPUTE_PGM_RSRC2:TGID_Y_EN: 0
; COMPUTE_PGM_RSRC2:TGID_Z_EN: 0
; COMPUTE_PGM_RSRC2:TIDIG_COMP_CNT: 0
; COMPUTE_PGM_RSRC3_GFX90A:ACCUM_OFFSET: 2
; COMPUTE_PGM_RSRC3_GFX90A:TG_SPLIT: 0
	.section	.text._ZN2at6native14lpnorm_cleanupIN3c108BFloat16ELNS0_8NormTypeE0EdLb0EdEEvPKT3_NS0_19TensorListAddressesEi,"axG",@progbits,_ZN2at6native14lpnorm_cleanupIN3c108BFloat16ELNS0_8NormTypeE0EdLb0EdEEvPKT3_NS0_19TensorListAddressesEi,comdat
	.protected	_ZN2at6native14lpnorm_cleanupIN3c108BFloat16ELNS0_8NormTypeE0EdLb0EdEEvPKT3_NS0_19TensorListAddressesEi ; -- Begin function _ZN2at6native14lpnorm_cleanupIN3c108BFloat16ELNS0_8NormTypeE0EdLb0EdEEvPKT3_NS0_19TensorListAddressesEi
	.globl	_ZN2at6native14lpnorm_cleanupIN3c108BFloat16ELNS0_8NormTypeE0EdLb0EdEEvPKT3_NS0_19TensorListAddressesEi
	.p2align	8
	.type	_ZN2at6native14lpnorm_cleanupIN3c108BFloat16ELNS0_8NormTypeE0EdLb0EdEEvPKT3_NS0_19TensorListAddressesEi,@function
_ZN2at6native14lpnorm_cleanupIN3c108BFloat16ELNS0_8NormTypeE0EdLb0EdEEvPKT3_NS0_19TensorListAddressesEi: ; @_ZN2at6native14lpnorm_cleanupIN3c108BFloat16ELNS0_8NormTypeE0EdLb0EdEEvPKT3_NS0_19TensorListAddressesEi
; %bb.0:
	s_load_dword s6, s[0:1], 0xc88
	v_mov_b64_e32 v[2:3], 0
	s_waitcnt lgkmcnt(0)
	v_cmp_gt_u32_e32 vcc, s6, v0
	s_and_saveexec_b64 s[4:5], vcc
	s_cbranch_execz .LBB184_4
; %bb.1:
	s_load_dwordx2 s[12:13], s[0:1], 0x0
	s_load_dword s3, s[0:1], 0xc9c
	s_mul_i32 s8, s6, s2
	s_mov_b32 s9, 0
	s_ashr_i32 s7, s6, 31
	s_lshl_b64 s[14:15], s[8:9], 3
	s_waitcnt lgkmcnt(0)
	s_and_b32 s10, s3, 0xffff
	v_mov_b32_e32 v1, 0
	s_add_u32 s12, s12, s14
	v_lshlrev_b32_e32 v2, 3, v0
	v_mov_b32_e32 v3, v1
	s_addc_u32 s13, s13, s15
	s_mov_b32 s11, s9
	v_lshl_add_u64 v[4:5], s[12:13], 0, v[2:3]
	s_lshl_b32 s8, s10, 3
	v_mov_b64_e32 v[2:3], 0
	s_mov_b64 s[12:13], 0
	v_mov_b64_e32 v[6:7], v[0:1]
.LBB184_2:                              ; =>This Inner Loop Header: Depth=1
	global_load_dwordx2 v[8:9], v[4:5], off
	v_lshl_add_u64 v[6:7], v[6:7], 0, s[10:11]
	v_cmp_le_u64_e32 vcc, s[6:7], v[6:7]
	v_lshl_add_u64 v[4:5], v[4:5], 0, s[8:9]
	s_or_b64 s[12:13], vcc, s[12:13]
	s_waitcnt vmcnt(0)
	v_add_f64 v[2:3], v[2:3], v[8:9]
	s_andn2_b64 exec, exec, s[12:13]
	s_cbranch_execnz .LBB184_2
; %bb.3:
	s_or_b64 exec, exec, s[12:13]
.LBB184_4:
	s_or_b64 exec, exec, s[4:5]
	v_mbcnt_lo_u32_b32 v1, -1, 0
	v_mbcnt_hi_u32_b32 v10, -1, v1
	v_mov_b32_e32 v1, 0x80
	v_lshl_or_b32 v1, v10, 2, v1
	ds_bpermute_b32 v4, v1, v2
	ds_bpermute_b32 v5, v1, v3
	v_and_b32_e32 v12, 63, v10
	v_cmp_gt_u32_e32 vcc, 48, v12
	v_and_b32_e32 v11, 63, v0
	s_waitcnt lgkmcnt(0)
	v_add_f64 v[2:3], v[2:3], v[4:5]
	v_cndmask_b32_e64 v4, 0, 16, vcc
	v_add_lshl_u32 v6, v4, v10, 2
	ds_bpermute_b32 v4, v6, v2
	ds_bpermute_b32 v5, v6, v3
	v_cmp_gt_u32_e32 vcc, 56, v12
	s_barrier
	s_waitcnt lgkmcnt(0)
	v_add_f64 v[2:3], v[2:3], v[4:5]
	v_cndmask_b32_e64 v4, 0, 8, vcc
	v_add_lshl_u32 v7, v4, v10, 2
	ds_bpermute_b32 v4, v7, v2
	ds_bpermute_b32 v5, v7, v3
	v_cmp_gt_u32_e32 vcc, 60, v12
	s_waitcnt lgkmcnt(0)
	v_add_f64 v[2:3], v[2:3], v[4:5]
	v_cndmask_b32_e64 v4, 0, 4, vcc
	v_add_lshl_u32 v8, v4, v10, 2
	ds_bpermute_b32 v4, v8, v2
	ds_bpermute_b32 v5, v8, v3
	v_cmp_gt_u32_e32 vcc, 62, v12
	s_waitcnt lgkmcnt(0)
	v_add_f64 v[2:3], v[2:3], v[4:5]
	v_cndmask_b32_e64 v4, 0, 2, vcc
	v_add_lshl_u32 v9, v4, v10, 2
	ds_bpermute_b32 v4, v9, v2
	ds_bpermute_b32 v5, v9, v3
	v_cmp_ne_u32_e32 vcc, 63, v12
	s_waitcnt lgkmcnt(0)
	v_add_f64 v[2:3], v[2:3], v[4:5]
	v_addc_co_u32_e32 v4, vcc, 0, v10, vcc
	v_lshlrev_b32_e32 v10, 2, v4
	ds_bpermute_b32 v4, v10, v2
	ds_bpermute_b32 v5, v10, v3
	v_cmp_eq_u32_e32 vcc, 0, v11
	s_and_saveexec_b64 s[4:5], vcc
	s_cbranch_execz .LBB184_6
; %bb.5:
	v_lshrrev_b32_e32 v12, 3, v0
	s_waitcnt lgkmcnt(0)
	v_add_f64 v[2:3], v[2:3], v[4:5]
	ds_write_b64 v12, v[2:3]
.LBB184_6:
	s_or_b64 exec, exec, s[4:5]
	s_waitcnt lgkmcnt(0)
	s_barrier
	s_load_dword s3, s[0:1], 0xc9c
	v_mov_b64_e32 v[2:3], 0
	s_waitcnt lgkmcnt(0)
	s_bfe_u32 s3, s3, 0xa0006
	v_cmp_gt_u32_e32 vcc, s3, v0
	s_and_saveexec_b64 s[4:5], vcc
; %bb.7:
	v_lshlrev_b32_e32 v2, 3, v11
	ds_read_b64 v[2:3], v2
; %bb.8:
	s_or_b64 exec, exec, s[4:5]
	v_cmp_gt_u32_e32 vcc, 64, v0
	s_and_saveexec_b64 s[4:5], vcc
	s_cbranch_execz .LBB184_10
; %bb.9:
	s_waitcnt lgkmcnt(0)
	ds_bpermute_b32 v4, v1, v2
	ds_bpermute_b32 v5, v1, v3
	s_waitcnt lgkmcnt(0)
	v_add_f64 v[2:3], v[2:3], v[4:5]
	ds_bpermute_b32 v4, v6, v2
	ds_bpermute_b32 v5, v6, v3
	s_waitcnt lgkmcnt(0)
	v_add_f64 v[2:3], v[2:3], v[4:5]
	;; [unrolled: 4-line block ×6, first 2 shown]
.LBB184_10:
	s_or_b64 exec, exec, s[4:5]
	s_mov_b32 s3, 0
	v_cmp_eq_u32_e32 vcc, 0, v0
	s_and_saveexec_b64 s[4:5], vcc
	s_cbranch_execz .LBB184_12
; %bb.11:
	s_lshl_b64 s[2:3], s[2:3], 3
	s_add_u32 s0, s0, s2
	s_addc_u32 s1, s1, s3
	s_load_dwordx2 s[0:1], s[0:1], 0x8
	v_mov_b32_e32 v0, 0
	s_waitcnt lgkmcnt(0)
	global_store_dwordx2 v0, v[2:3], s[0:1]
.LBB184_12:
	s_endpgm
	.section	.rodata,"a",@progbits
	.p2align	6, 0x0
	.amdhsa_kernel _ZN2at6native14lpnorm_cleanupIN3c108BFloat16ELNS0_8NormTypeE0EdLb0EdEEvPKT3_NS0_19TensorListAddressesEi
		.amdhsa_group_segment_fixed_size 4096
		.amdhsa_private_segment_fixed_size 0
		.amdhsa_kernarg_size 3472
		.amdhsa_user_sgpr_count 2
		.amdhsa_user_sgpr_dispatch_ptr 0
		.amdhsa_user_sgpr_queue_ptr 0
		.amdhsa_user_sgpr_kernarg_segment_ptr 1
		.amdhsa_user_sgpr_dispatch_id 0
		.amdhsa_user_sgpr_kernarg_preload_length 0
		.amdhsa_user_sgpr_kernarg_preload_offset 0
		.amdhsa_user_sgpr_private_segment_size 0
		.amdhsa_uses_dynamic_stack 0
		.amdhsa_enable_private_segment 0
		.amdhsa_system_sgpr_workgroup_id_x 1
		.amdhsa_system_sgpr_workgroup_id_y 0
		.amdhsa_system_sgpr_workgroup_id_z 0
		.amdhsa_system_sgpr_workgroup_info 0
		.amdhsa_system_vgpr_workitem_id 0
		.amdhsa_next_free_vgpr 13
		.amdhsa_next_free_sgpr 16
		.amdhsa_accum_offset 16
		.amdhsa_reserve_vcc 1
		.amdhsa_float_round_mode_32 0
		.amdhsa_float_round_mode_16_64 0
		.amdhsa_float_denorm_mode_32 3
		.amdhsa_float_denorm_mode_16_64 3
		.amdhsa_dx10_clamp 1
		.amdhsa_ieee_mode 1
		.amdhsa_fp16_overflow 0
		.amdhsa_tg_split 0
		.amdhsa_exception_fp_ieee_invalid_op 0
		.amdhsa_exception_fp_denorm_src 0
		.amdhsa_exception_fp_ieee_div_zero 0
		.amdhsa_exception_fp_ieee_overflow 0
		.amdhsa_exception_fp_ieee_underflow 0
		.amdhsa_exception_fp_ieee_inexact 0
		.amdhsa_exception_int_div_zero 0
	.end_amdhsa_kernel
	.section	.text._ZN2at6native14lpnorm_cleanupIN3c108BFloat16ELNS0_8NormTypeE0EdLb0EdEEvPKT3_NS0_19TensorListAddressesEi,"axG",@progbits,_ZN2at6native14lpnorm_cleanupIN3c108BFloat16ELNS0_8NormTypeE0EdLb0EdEEvPKT3_NS0_19TensorListAddressesEi,comdat
.Lfunc_end184:
	.size	_ZN2at6native14lpnorm_cleanupIN3c108BFloat16ELNS0_8NormTypeE0EdLb0EdEEvPKT3_NS0_19TensorListAddressesEi, .Lfunc_end184-_ZN2at6native14lpnorm_cleanupIN3c108BFloat16ELNS0_8NormTypeE0EdLb0EdEEvPKT3_NS0_19TensorListAddressesEi
                                        ; -- End function
	.set _ZN2at6native14lpnorm_cleanupIN3c108BFloat16ELNS0_8NormTypeE0EdLb0EdEEvPKT3_NS0_19TensorListAddressesEi.num_vgpr, 13
	.set _ZN2at6native14lpnorm_cleanupIN3c108BFloat16ELNS0_8NormTypeE0EdLb0EdEEvPKT3_NS0_19TensorListAddressesEi.num_agpr, 0
	.set _ZN2at6native14lpnorm_cleanupIN3c108BFloat16ELNS0_8NormTypeE0EdLb0EdEEvPKT3_NS0_19TensorListAddressesEi.numbered_sgpr, 16
	.set _ZN2at6native14lpnorm_cleanupIN3c108BFloat16ELNS0_8NormTypeE0EdLb0EdEEvPKT3_NS0_19TensorListAddressesEi.num_named_barrier, 0
	.set _ZN2at6native14lpnorm_cleanupIN3c108BFloat16ELNS0_8NormTypeE0EdLb0EdEEvPKT3_NS0_19TensorListAddressesEi.private_seg_size, 0
	.set _ZN2at6native14lpnorm_cleanupIN3c108BFloat16ELNS0_8NormTypeE0EdLb0EdEEvPKT3_NS0_19TensorListAddressesEi.uses_vcc, 1
	.set _ZN2at6native14lpnorm_cleanupIN3c108BFloat16ELNS0_8NormTypeE0EdLb0EdEEvPKT3_NS0_19TensorListAddressesEi.uses_flat_scratch, 0
	.set _ZN2at6native14lpnorm_cleanupIN3c108BFloat16ELNS0_8NormTypeE0EdLb0EdEEvPKT3_NS0_19TensorListAddressesEi.has_dyn_sized_stack, 0
	.set _ZN2at6native14lpnorm_cleanupIN3c108BFloat16ELNS0_8NormTypeE0EdLb0EdEEvPKT3_NS0_19TensorListAddressesEi.has_recursion, 0
	.set _ZN2at6native14lpnorm_cleanupIN3c108BFloat16ELNS0_8NormTypeE0EdLb0EdEEvPKT3_NS0_19TensorListAddressesEi.has_indirect_call, 0
	.section	.AMDGPU.csdata,"",@progbits
; Kernel info:
; codeLenInByte = 812
; TotalNumSgprs: 22
; NumVgprs: 13
; NumAgprs: 0
; TotalNumVgprs: 13
; ScratchSize: 0
; MemoryBound: 0
; FloatMode: 240
; IeeeMode: 1
; LDSByteSize: 4096 bytes/workgroup (compile time only)
; SGPRBlocks: 2
; VGPRBlocks: 1
; NumSGPRsForWavesPerEU: 22
; NumVGPRsForWavesPerEU: 13
; AccumOffset: 16
; Occupancy: 8
; WaveLimiterHint : 0
; COMPUTE_PGM_RSRC2:SCRATCH_EN: 0
; COMPUTE_PGM_RSRC2:USER_SGPR: 2
; COMPUTE_PGM_RSRC2:TRAP_HANDLER: 0
; COMPUTE_PGM_RSRC2:TGID_X_EN: 1
; COMPUTE_PGM_RSRC2:TGID_Y_EN: 0
; COMPUTE_PGM_RSRC2:TGID_Z_EN: 0
; COMPUTE_PGM_RSRC2:TIDIG_COMP_CNT: 0
; COMPUTE_PGM_RSRC3_GFX90A:ACCUM_OFFSET: 3
; COMPUTE_PGM_RSRC3_GFX90A:TG_SPLIT: 0
	.section	.text._ZN2at6native14lpnorm_cleanupIN3c108BFloat16ELNS0_8NormTypeE1EdLb0EdEEvPKT3_NS0_19TensorListAddressesEi,"axG",@progbits,_ZN2at6native14lpnorm_cleanupIN3c108BFloat16ELNS0_8NormTypeE1EdLb0EdEEvPKT3_NS0_19TensorListAddressesEi,comdat
	.protected	_ZN2at6native14lpnorm_cleanupIN3c108BFloat16ELNS0_8NormTypeE1EdLb0EdEEvPKT3_NS0_19TensorListAddressesEi ; -- Begin function _ZN2at6native14lpnorm_cleanupIN3c108BFloat16ELNS0_8NormTypeE1EdLb0EdEEvPKT3_NS0_19TensorListAddressesEi
	.globl	_ZN2at6native14lpnorm_cleanupIN3c108BFloat16ELNS0_8NormTypeE1EdLb0EdEEvPKT3_NS0_19TensorListAddressesEi
	.p2align	8
	.type	_ZN2at6native14lpnorm_cleanupIN3c108BFloat16ELNS0_8NormTypeE1EdLb0EdEEvPKT3_NS0_19TensorListAddressesEi,@function
_ZN2at6native14lpnorm_cleanupIN3c108BFloat16ELNS0_8NormTypeE1EdLb0EdEEvPKT3_NS0_19TensorListAddressesEi: ; @_ZN2at6native14lpnorm_cleanupIN3c108BFloat16ELNS0_8NormTypeE1EdLb0EdEEvPKT3_NS0_19TensorListAddressesEi
; %bb.0:
	s_load_dword s6, s[0:1], 0xc88
	v_mov_b64_e32 v[2:3], 0
	s_waitcnt lgkmcnt(0)
	v_cmp_gt_u32_e32 vcc, s6, v0
	s_and_saveexec_b64 s[4:5], vcc
	s_cbranch_execz .LBB185_4
; %bb.1:
	s_load_dwordx2 s[12:13], s[0:1], 0x0
	s_load_dword s3, s[0:1], 0xc9c
	s_mul_i32 s8, s6, s2
	s_mov_b32 s9, 0
	s_ashr_i32 s7, s6, 31
	s_lshl_b64 s[14:15], s[8:9], 3
	s_waitcnt lgkmcnt(0)
	s_and_b32 s10, s3, 0xffff
	v_mov_b32_e32 v1, 0
	s_add_u32 s12, s12, s14
	v_lshlrev_b32_e32 v2, 3, v0
	v_mov_b32_e32 v3, v1
	s_addc_u32 s13, s13, s15
	s_mov_b32 s11, s9
	v_lshl_add_u64 v[4:5], s[12:13], 0, v[2:3]
	s_lshl_b32 s8, s10, 3
	v_mov_b64_e32 v[2:3], 0
	s_mov_b64 s[12:13], 0
	v_mov_b64_e32 v[6:7], v[0:1]
.LBB185_2:                              ; =>This Inner Loop Header: Depth=1
	global_load_dwordx2 v[8:9], v[4:5], off
	v_lshl_add_u64 v[6:7], v[6:7], 0, s[10:11]
	v_cmp_le_u64_e32 vcc, s[6:7], v[6:7]
	v_lshl_add_u64 v[4:5], v[4:5], 0, s[8:9]
	s_or_b64 s[12:13], vcc, s[12:13]
	s_waitcnt vmcnt(0)
	v_add_f64 v[2:3], v[2:3], v[8:9]
	s_andn2_b64 exec, exec, s[12:13]
	s_cbranch_execnz .LBB185_2
; %bb.3:
	s_or_b64 exec, exec, s[12:13]
.LBB185_4:
	s_or_b64 exec, exec, s[4:5]
	v_mbcnt_lo_u32_b32 v1, -1, 0
	v_mbcnt_hi_u32_b32 v10, -1, v1
	v_mov_b32_e32 v1, 0x80
	v_lshl_or_b32 v1, v10, 2, v1
	ds_bpermute_b32 v4, v1, v2
	ds_bpermute_b32 v5, v1, v3
	v_and_b32_e32 v12, 63, v10
	v_cmp_gt_u32_e32 vcc, 48, v12
	v_and_b32_e32 v11, 63, v0
	s_waitcnt lgkmcnt(0)
	v_add_f64 v[2:3], v[2:3], v[4:5]
	v_cndmask_b32_e64 v4, 0, 16, vcc
	v_add_lshl_u32 v6, v4, v10, 2
	ds_bpermute_b32 v4, v6, v2
	ds_bpermute_b32 v5, v6, v3
	v_cmp_gt_u32_e32 vcc, 56, v12
	s_barrier
	s_waitcnt lgkmcnt(0)
	v_add_f64 v[2:3], v[2:3], v[4:5]
	v_cndmask_b32_e64 v4, 0, 8, vcc
	v_add_lshl_u32 v7, v4, v10, 2
	ds_bpermute_b32 v4, v7, v2
	ds_bpermute_b32 v5, v7, v3
	v_cmp_gt_u32_e32 vcc, 60, v12
	s_waitcnt lgkmcnt(0)
	v_add_f64 v[2:3], v[2:3], v[4:5]
	v_cndmask_b32_e64 v4, 0, 4, vcc
	v_add_lshl_u32 v8, v4, v10, 2
	ds_bpermute_b32 v4, v8, v2
	ds_bpermute_b32 v5, v8, v3
	v_cmp_gt_u32_e32 vcc, 62, v12
	s_waitcnt lgkmcnt(0)
	v_add_f64 v[2:3], v[2:3], v[4:5]
	v_cndmask_b32_e64 v4, 0, 2, vcc
	v_add_lshl_u32 v9, v4, v10, 2
	ds_bpermute_b32 v4, v9, v2
	ds_bpermute_b32 v5, v9, v3
	v_cmp_ne_u32_e32 vcc, 63, v12
	s_waitcnt lgkmcnt(0)
	v_add_f64 v[2:3], v[2:3], v[4:5]
	v_addc_co_u32_e32 v4, vcc, 0, v10, vcc
	v_lshlrev_b32_e32 v10, 2, v4
	ds_bpermute_b32 v4, v10, v2
	ds_bpermute_b32 v5, v10, v3
	v_cmp_eq_u32_e32 vcc, 0, v11
	s_and_saveexec_b64 s[4:5], vcc
	s_cbranch_execz .LBB185_6
; %bb.5:
	v_lshrrev_b32_e32 v12, 3, v0
	s_waitcnt lgkmcnt(0)
	v_add_f64 v[2:3], v[2:3], v[4:5]
	ds_write_b64 v12, v[2:3]
.LBB185_6:
	s_or_b64 exec, exec, s[4:5]
	s_waitcnt lgkmcnt(0)
	s_barrier
	s_load_dword s3, s[0:1], 0xc9c
	v_mov_b64_e32 v[2:3], 0
	s_waitcnt lgkmcnt(0)
	s_bfe_u32 s3, s3, 0xa0006
	v_cmp_gt_u32_e32 vcc, s3, v0
	s_and_saveexec_b64 s[4:5], vcc
; %bb.7:
	v_lshlrev_b32_e32 v2, 3, v11
	ds_read_b64 v[2:3], v2
; %bb.8:
	s_or_b64 exec, exec, s[4:5]
	v_cmp_gt_u32_e32 vcc, 64, v0
	s_and_saveexec_b64 s[4:5], vcc
	s_cbranch_execz .LBB185_10
; %bb.9:
	s_waitcnt lgkmcnt(0)
	ds_bpermute_b32 v4, v1, v2
	ds_bpermute_b32 v5, v1, v3
	s_waitcnt lgkmcnt(0)
	v_add_f64 v[2:3], v[2:3], v[4:5]
	ds_bpermute_b32 v4, v6, v2
	ds_bpermute_b32 v5, v6, v3
	s_waitcnt lgkmcnt(0)
	v_add_f64 v[2:3], v[2:3], v[4:5]
	;; [unrolled: 4-line block ×6, first 2 shown]
.LBB185_10:
	s_or_b64 exec, exec, s[4:5]
	s_mov_b32 s3, 0
	v_cmp_eq_u32_e32 vcc, 0, v0
	s_and_saveexec_b64 s[4:5], vcc
	s_cbranch_execz .LBB185_12
; %bb.11:
	s_lshl_b64 s[2:3], s[2:3], 3
	s_add_u32 s0, s0, s2
	s_addc_u32 s1, s1, s3
	s_load_dwordx2 s[0:1], s[0:1], 0x8
	v_mov_b32_e32 v0, 0
	s_waitcnt lgkmcnt(0)
	global_store_dwordx2 v0, v[2:3], s[0:1]
.LBB185_12:
	s_endpgm
	.section	.rodata,"a",@progbits
	.p2align	6, 0x0
	.amdhsa_kernel _ZN2at6native14lpnorm_cleanupIN3c108BFloat16ELNS0_8NormTypeE1EdLb0EdEEvPKT3_NS0_19TensorListAddressesEi
		.amdhsa_group_segment_fixed_size 4096
		.amdhsa_private_segment_fixed_size 0
		.amdhsa_kernarg_size 3472
		.amdhsa_user_sgpr_count 2
		.amdhsa_user_sgpr_dispatch_ptr 0
		.amdhsa_user_sgpr_queue_ptr 0
		.amdhsa_user_sgpr_kernarg_segment_ptr 1
		.amdhsa_user_sgpr_dispatch_id 0
		.amdhsa_user_sgpr_kernarg_preload_length 0
		.amdhsa_user_sgpr_kernarg_preload_offset 0
		.amdhsa_user_sgpr_private_segment_size 0
		.amdhsa_uses_dynamic_stack 0
		.amdhsa_enable_private_segment 0
		.amdhsa_system_sgpr_workgroup_id_x 1
		.amdhsa_system_sgpr_workgroup_id_y 0
		.amdhsa_system_sgpr_workgroup_id_z 0
		.amdhsa_system_sgpr_workgroup_info 0
		.amdhsa_system_vgpr_workitem_id 0
		.amdhsa_next_free_vgpr 13
		.amdhsa_next_free_sgpr 16
		.amdhsa_accum_offset 16
		.amdhsa_reserve_vcc 1
		.amdhsa_float_round_mode_32 0
		.amdhsa_float_round_mode_16_64 0
		.amdhsa_float_denorm_mode_32 3
		.amdhsa_float_denorm_mode_16_64 3
		.amdhsa_dx10_clamp 1
		.amdhsa_ieee_mode 1
		.amdhsa_fp16_overflow 0
		.amdhsa_tg_split 0
		.amdhsa_exception_fp_ieee_invalid_op 0
		.amdhsa_exception_fp_denorm_src 0
		.amdhsa_exception_fp_ieee_div_zero 0
		.amdhsa_exception_fp_ieee_overflow 0
		.amdhsa_exception_fp_ieee_underflow 0
		.amdhsa_exception_fp_ieee_inexact 0
		.amdhsa_exception_int_div_zero 0
	.end_amdhsa_kernel
	.section	.text._ZN2at6native14lpnorm_cleanupIN3c108BFloat16ELNS0_8NormTypeE1EdLb0EdEEvPKT3_NS0_19TensorListAddressesEi,"axG",@progbits,_ZN2at6native14lpnorm_cleanupIN3c108BFloat16ELNS0_8NormTypeE1EdLb0EdEEvPKT3_NS0_19TensorListAddressesEi,comdat
.Lfunc_end185:
	.size	_ZN2at6native14lpnorm_cleanupIN3c108BFloat16ELNS0_8NormTypeE1EdLb0EdEEvPKT3_NS0_19TensorListAddressesEi, .Lfunc_end185-_ZN2at6native14lpnorm_cleanupIN3c108BFloat16ELNS0_8NormTypeE1EdLb0EdEEvPKT3_NS0_19TensorListAddressesEi
                                        ; -- End function
	.set _ZN2at6native14lpnorm_cleanupIN3c108BFloat16ELNS0_8NormTypeE1EdLb0EdEEvPKT3_NS0_19TensorListAddressesEi.num_vgpr, 13
	.set _ZN2at6native14lpnorm_cleanupIN3c108BFloat16ELNS0_8NormTypeE1EdLb0EdEEvPKT3_NS0_19TensorListAddressesEi.num_agpr, 0
	.set _ZN2at6native14lpnorm_cleanupIN3c108BFloat16ELNS0_8NormTypeE1EdLb0EdEEvPKT3_NS0_19TensorListAddressesEi.numbered_sgpr, 16
	.set _ZN2at6native14lpnorm_cleanupIN3c108BFloat16ELNS0_8NormTypeE1EdLb0EdEEvPKT3_NS0_19TensorListAddressesEi.num_named_barrier, 0
	.set _ZN2at6native14lpnorm_cleanupIN3c108BFloat16ELNS0_8NormTypeE1EdLb0EdEEvPKT3_NS0_19TensorListAddressesEi.private_seg_size, 0
	.set _ZN2at6native14lpnorm_cleanupIN3c108BFloat16ELNS0_8NormTypeE1EdLb0EdEEvPKT3_NS0_19TensorListAddressesEi.uses_vcc, 1
	.set _ZN2at6native14lpnorm_cleanupIN3c108BFloat16ELNS0_8NormTypeE1EdLb0EdEEvPKT3_NS0_19TensorListAddressesEi.uses_flat_scratch, 0
	.set _ZN2at6native14lpnorm_cleanupIN3c108BFloat16ELNS0_8NormTypeE1EdLb0EdEEvPKT3_NS0_19TensorListAddressesEi.has_dyn_sized_stack, 0
	.set _ZN2at6native14lpnorm_cleanupIN3c108BFloat16ELNS0_8NormTypeE1EdLb0EdEEvPKT3_NS0_19TensorListAddressesEi.has_recursion, 0
	.set _ZN2at6native14lpnorm_cleanupIN3c108BFloat16ELNS0_8NormTypeE1EdLb0EdEEvPKT3_NS0_19TensorListAddressesEi.has_indirect_call, 0
	.section	.AMDGPU.csdata,"",@progbits
; Kernel info:
; codeLenInByte = 812
; TotalNumSgprs: 22
; NumVgprs: 13
; NumAgprs: 0
; TotalNumVgprs: 13
; ScratchSize: 0
; MemoryBound: 0
; FloatMode: 240
; IeeeMode: 1
; LDSByteSize: 4096 bytes/workgroup (compile time only)
; SGPRBlocks: 2
; VGPRBlocks: 1
; NumSGPRsForWavesPerEU: 22
; NumVGPRsForWavesPerEU: 13
; AccumOffset: 16
; Occupancy: 8
; WaveLimiterHint : 0
; COMPUTE_PGM_RSRC2:SCRATCH_EN: 0
; COMPUTE_PGM_RSRC2:USER_SGPR: 2
; COMPUTE_PGM_RSRC2:TRAP_HANDLER: 0
; COMPUTE_PGM_RSRC2:TGID_X_EN: 1
; COMPUTE_PGM_RSRC2:TGID_Y_EN: 0
; COMPUTE_PGM_RSRC2:TGID_Z_EN: 0
; COMPUTE_PGM_RSRC2:TIDIG_COMP_CNT: 0
; COMPUTE_PGM_RSRC3_GFX90A:ACCUM_OFFSET: 3
; COMPUTE_PGM_RSRC3_GFX90A:TG_SPLIT: 0
	.section	.text._ZN2at6native14lpnorm_cleanupIN3c108BFloat16ELNS0_8NormTypeE2EdLb0EdEEvPKT3_NS0_19TensorListAddressesEi,"axG",@progbits,_ZN2at6native14lpnorm_cleanupIN3c108BFloat16ELNS0_8NormTypeE2EdLb0EdEEvPKT3_NS0_19TensorListAddressesEi,comdat
	.protected	_ZN2at6native14lpnorm_cleanupIN3c108BFloat16ELNS0_8NormTypeE2EdLb0EdEEvPKT3_NS0_19TensorListAddressesEi ; -- Begin function _ZN2at6native14lpnorm_cleanupIN3c108BFloat16ELNS0_8NormTypeE2EdLb0EdEEvPKT3_NS0_19TensorListAddressesEi
	.globl	_ZN2at6native14lpnorm_cleanupIN3c108BFloat16ELNS0_8NormTypeE2EdLb0EdEEvPKT3_NS0_19TensorListAddressesEi
	.p2align	8
	.type	_ZN2at6native14lpnorm_cleanupIN3c108BFloat16ELNS0_8NormTypeE2EdLb0EdEEvPKT3_NS0_19TensorListAddressesEi,@function
_ZN2at6native14lpnorm_cleanupIN3c108BFloat16ELNS0_8NormTypeE2EdLb0EdEEvPKT3_NS0_19TensorListAddressesEi: ; @_ZN2at6native14lpnorm_cleanupIN3c108BFloat16ELNS0_8NormTypeE2EdLb0EdEEvPKT3_NS0_19TensorListAddressesEi
; %bb.0:
	s_load_dword s6, s[0:1], 0xc88
	v_mov_b64_e32 v[2:3], 0
	s_waitcnt lgkmcnt(0)
	v_cmp_gt_u32_e32 vcc, s6, v0
	s_and_saveexec_b64 s[4:5], vcc
	s_cbranch_execz .LBB186_4
; %bb.1:
	s_load_dwordx2 s[12:13], s[0:1], 0x0
	s_load_dword s3, s[0:1], 0xc9c
	s_mul_i32 s8, s6, s2
	s_mov_b32 s9, 0
	s_ashr_i32 s7, s6, 31
	s_lshl_b64 s[14:15], s[8:9], 3
	s_waitcnt lgkmcnt(0)
	s_and_b32 s10, s3, 0xffff
	v_mov_b32_e32 v1, 0
	s_add_u32 s12, s12, s14
	v_lshlrev_b32_e32 v2, 3, v0
	v_mov_b32_e32 v3, v1
	s_addc_u32 s13, s13, s15
	s_mov_b32 s11, s9
	v_lshl_add_u64 v[4:5], s[12:13], 0, v[2:3]
	s_lshl_b32 s8, s10, 3
	v_mov_b64_e32 v[2:3], 0
	s_mov_b64 s[12:13], 0
	v_mov_b64_e32 v[6:7], v[0:1]
.LBB186_2:                              ; =>This Inner Loop Header: Depth=1
	global_load_dwordx2 v[8:9], v[4:5], off
	v_lshl_add_u64 v[6:7], v[6:7], 0, s[10:11]
	v_cmp_le_u64_e32 vcc, s[6:7], v[6:7]
	v_lshl_add_u64 v[4:5], v[4:5], 0, s[8:9]
	s_or_b64 s[12:13], vcc, s[12:13]
	s_waitcnt vmcnt(0)
	v_add_f64 v[2:3], v[2:3], v[8:9]
	s_andn2_b64 exec, exec, s[12:13]
	s_cbranch_execnz .LBB186_2
; %bb.3:
	s_or_b64 exec, exec, s[12:13]
.LBB186_4:
	s_or_b64 exec, exec, s[4:5]
	v_mbcnt_lo_u32_b32 v1, -1, 0
	v_mbcnt_hi_u32_b32 v10, -1, v1
	v_mov_b32_e32 v1, 0x80
	v_lshl_or_b32 v1, v10, 2, v1
	ds_bpermute_b32 v4, v1, v2
	ds_bpermute_b32 v5, v1, v3
	v_and_b32_e32 v12, 63, v10
	v_cmp_gt_u32_e32 vcc, 48, v12
	v_and_b32_e32 v11, 63, v0
	s_waitcnt lgkmcnt(0)
	v_add_f64 v[2:3], v[2:3], v[4:5]
	v_cndmask_b32_e64 v4, 0, 16, vcc
	v_add_lshl_u32 v6, v4, v10, 2
	ds_bpermute_b32 v4, v6, v2
	ds_bpermute_b32 v5, v6, v3
	v_cmp_gt_u32_e32 vcc, 56, v12
	s_barrier
	s_waitcnt lgkmcnt(0)
	v_add_f64 v[2:3], v[2:3], v[4:5]
	v_cndmask_b32_e64 v4, 0, 8, vcc
	v_add_lshl_u32 v7, v4, v10, 2
	ds_bpermute_b32 v4, v7, v2
	ds_bpermute_b32 v5, v7, v3
	v_cmp_gt_u32_e32 vcc, 60, v12
	s_waitcnt lgkmcnt(0)
	v_add_f64 v[2:3], v[2:3], v[4:5]
	v_cndmask_b32_e64 v4, 0, 4, vcc
	v_add_lshl_u32 v8, v4, v10, 2
	ds_bpermute_b32 v4, v8, v2
	ds_bpermute_b32 v5, v8, v3
	v_cmp_gt_u32_e32 vcc, 62, v12
	s_waitcnt lgkmcnt(0)
	v_add_f64 v[2:3], v[2:3], v[4:5]
	v_cndmask_b32_e64 v4, 0, 2, vcc
	v_add_lshl_u32 v9, v4, v10, 2
	ds_bpermute_b32 v4, v9, v2
	ds_bpermute_b32 v5, v9, v3
	v_cmp_ne_u32_e32 vcc, 63, v12
	s_waitcnt lgkmcnt(0)
	v_add_f64 v[2:3], v[2:3], v[4:5]
	v_addc_co_u32_e32 v4, vcc, 0, v10, vcc
	v_lshlrev_b32_e32 v10, 2, v4
	ds_bpermute_b32 v4, v10, v2
	ds_bpermute_b32 v5, v10, v3
	v_cmp_eq_u32_e32 vcc, 0, v11
	s_and_saveexec_b64 s[4:5], vcc
	s_cbranch_execz .LBB186_6
; %bb.5:
	v_lshrrev_b32_e32 v12, 3, v0
	s_waitcnt lgkmcnt(0)
	v_add_f64 v[2:3], v[2:3], v[4:5]
	ds_write_b64 v12, v[2:3]
.LBB186_6:
	s_or_b64 exec, exec, s[4:5]
	s_waitcnt lgkmcnt(0)
	s_barrier
	s_load_dword s3, s[0:1], 0xc9c
	v_mov_b64_e32 v[2:3], 0
	s_waitcnt lgkmcnt(0)
	s_bfe_u32 s3, s3, 0xa0006
	v_cmp_gt_u32_e32 vcc, s3, v0
	s_and_saveexec_b64 s[4:5], vcc
; %bb.7:
	v_lshlrev_b32_e32 v2, 3, v11
	ds_read_b64 v[2:3], v2
; %bb.8:
	s_or_b64 exec, exec, s[4:5]
	v_cmp_gt_u32_e32 vcc, 64, v0
	s_and_saveexec_b64 s[4:5], vcc
	s_cbranch_execz .LBB186_10
; %bb.9:
	s_waitcnt lgkmcnt(0)
	ds_bpermute_b32 v4, v1, v2
	ds_bpermute_b32 v5, v1, v3
	s_waitcnt lgkmcnt(0)
	v_add_f64 v[2:3], v[2:3], v[4:5]
	ds_bpermute_b32 v4, v6, v2
	ds_bpermute_b32 v5, v6, v3
	s_waitcnt lgkmcnt(0)
	v_add_f64 v[2:3], v[2:3], v[4:5]
	;; [unrolled: 4-line block ×6, first 2 shown]
.LBB186_10:
	s_or_b64 exec, exec, s[4:5]
	s_mov_b32 s3, 0
	v_cmp_eq_u32_e32 vcc, 0, v0
	s_and_saveexec_b64 s[4:5], vcc
	s_cbranch_execz .LBB186_12
; %bb.11:
	s_lshl_b64 s[2:3], s[2:3], 3
	s_add_u32 s0, s0, s2
	s_addc_u32 s1, s1, s3
	s_load_dwordx2 s[0:1], s[0:1], 0x8
	v_mov_b32_e32 v0, 0
	s_waitcnt lgkmcnt(0)
	global_store_dwordx2 v0, v[2:3], s[0:1]
.LBB186_12:
	s_endpgm
	.section	.rodata,"a",@progbits
	.p2align	6, 0x0
	.amdhsa_kernel _ZN2at6native14lpnorm_cleanupIN3c108BFloat16ELNS0_8NormTypeE2EdLb0EdEEvPKT3_NS0_19TensorListAddressesEi
		.amdhsa_group_segment_fixed_size 4096
		.amdhsa_private_segment_fixed_size 0
		.amdhsa_kernarg_size 3472
		.amdhsa_user_sgpr_count 2
		.amdhsa_user_sgpr_dispatch_ptr 0
		.amdhsa_user_sgpr_queue_ptr 0
		.amdhsa_user_sgpr_kernarg_segment_ptr 1
		.amdhsa_user_sgpr_dispatch_id 0
		.amdhsa_user_sgpr_kernarg_preload_length 0
		.amdhsa_user_sgpr_kernarg_preload_offset 0
		.amdhsa_user_sgpr_private_segment_size 0
		.amdhsa_uses_dynamic_stack 0
		.amdhsa_enable_private_segment 0
		.amdhsa_system_sgpr_workgroup_id_x 1
		.amdhsa_system_sgpr_workgroup_id_y 0
		.amdhsa_system_sgpr_workgroup_id_z 0
		.amdhsa_system_sgpr_workgroup_info 0
		.amdhsa_system_vgpr_workitem_id 0
		.amdhsa_next_free_vgpr 13
		.amdhsa_next_free_sgpr 16
		.amdhsa_accum_offset 16
		.amdhsa_reserve_vcc 1
		.amdhsa_float_round_mode_32 0
		.amdhsa_float_round_mode_16_64 0
		.amdhsa_float_denorm_mode_32 3
		.amdhsa_float_denorm_mode_16_64 3
		.amdhsa_dx10_clamp 1
		.amdhsa_ieee_mode 1
		.amdhsa_fp16_overflow 0
		.amdhsa_tg_split 0
		.amdhsa_exception_fp_ieee_invalid_op 0
		.amdhsa_exception_fp_denorm_src 0
		.amdhsa_exception_fp_ieee_div_zero 0
		.amdhsa_exception_fp_ieee_overflow 0
		.amdhsa_exception_fp_ieee_underflow 0
		.amdhsa_exception_fp_ieee_inexact 0
		.amdhsa_exception_int_div_zero 0
	.end_amdhsa_kernel
	.section	.text._ZN2at6native14lpnorm_cleanupIN3c108BFloat16ELNS0_8NormTypeE2EdLb0EdEEvPKT3_NS0_19TensorListAddressesEi,"axG",@progbits,_ZN2at6native14lpnorm_cleanupIN3c108BFloat16ELNS0_8NormTypeE2EdLb0EdEEvPKT3_NS0_19TensorListAddressesEi,comdat
.Lfunc_end186:
	.size	_ZN2at6native14lpnorm_cleanupIN3c108BFloat16ELNS0_8NormTypeE2EdLb0EdEEvPKT3_NS0_19TensorListAddressesEi, .Lfunc_end186-_ZN2at6native14lpnorm_cleanupIN3c108BFloat16ELNS0_8NormTypeE2EdLb0EdEEvPKT3_NS0_19TensorListAddressesEi
                                        ; -- End function
	.set _ZN2at6native14lpnorm_cleanupIN3c108BFloat16ELNS0_8NormTypeE2EdLb0EdEEvPKT3_NS0_19TensorListAddressesEi.num_vgpr, 13
	.set _ZN2at6native14lpnorm_cleanupIN3c108BFloat16ELNS0_8NormTypeE2EdLb0EdEEvPKT3_NS0_19TensorListAddressesEi.num_agpr, 0
	.set _ZN2at6native14lpnorm_cleanupIN3c108BFloat16ELNS0_8NormTypeE2EdLb0EdEEvPKT3_NS0_19TensorListAddressesEi.numbered_sgpr, 16
	.set _ZN2at6native14lpnorm_cleanupIN3c108BFloat16ELNS0_8NormTypeE2EdLb0EdEEvPKT3_NS0_19TensorListAddressesEi.num_named_barrier, 0
	.set _ZN2at6native14lpnorm_cleanupIN3c108BFloat16ELNS0_8NormTypeE2EdLb0EdEEvPKT3_NS0_19TensorListAddressesEi.private_seg_size, 0
	.set _ZN2at6native14lpnorm_cleanupIN3c108BFloat16ELNS0_8NormTypeE2EdLb0EdEEvPKT3_NS0_19TensorListAddressesEi.uses_vcc, 1
	.set _ZN2at6native14lpnorm_cleanupIN3c108BFloat16ELNS0_8NormTypeE2EdLb0EdEEvPKT3_NS0_19TensorListAddressesEi.uses_flat_scratch, 0
	.set _ZN2at6native14lpnorm_cleanupIN3c108BFloat16ELNS0_8NormTypeE2EdLb0EdEEvPKT3_NS0_19TensorListAddressesEi.has_dyn_sized_stack, 0
	.set _ZN2at6native14lpnorm_cleanupIN3c108BFloat16ELNS0_8NormTypeE2EdLb0EdEEvPKT3_NS0_19TensorListAddressesEi.has_recursion, 0
	.set _ZN2at6native14lpnorm_cleanupIN3c108BFloat16ELNS0_8NormTypeE2EdLb0EdEEvPKT3_NS0_19TensorListAddressesEi.has_indirect_call, 0
	.section	.AMDGPU.csdata,"",@progbits
; Kernel info:
; codeLenInByte = 812
; TotalNumSgprs: 22
; NumVgprs: 13
; NumAgprs: 0
; TotalNumVgprs: 13
; ScratchSize: 0
; MemoryBound: 0
; FloatMode: 240
; IeeeMode: 1
; LDSByteSize: 4096 bytes/workgroup (compile time only)
; SGPRBlocks: 2
; VGPRBlocks: 1
; NumSGPRsForWavesPerEU: 22
; NumVGPRsForWavesPerEU: 13
; AccumOffset: 16
; Occupancy: 8
; WaveLimiterHint : 0
; COMPUTE_PGM_RSRC2:SCRATCH_EN: 0
; COMPUTE_PGM_RSRC2:USER_SGPR: 2
; COMPUTE_PGM_RSRC2:TRAP_HANDLER: 0
; COMPUTE_PGM_RSRC2:TGID_X_EN: 1
; COMPUTE_PGM_RSRC2:TGID_Y_EN: 0
; COMPUTE_PGM_RSRC2:TGID_Z_EN: 0
; COMPUTE_PGM_RSRC2:TIDIG_COMP_CNT: 0
; COMPUTE_PGM_RSRC3_GFX90A:ACCUM_OFFSET: 3
; COMPUTE_PGM_RSRC3_GFX90A:TG_SPLIT: 0
	.section	.text._ZN2at6native14lpnorm_cleanupIN3c108BFloat16ELNS0_8NormTypeE0EfLb0EfEEvPKT3_NS0_19TensorListAddressesEi,"axG",@progbits,_ZN2at6native14lpnorm_cleanupIN3c108BFloat16ELNS0_8NormTypeE0EfLb0EfEEvPKT3_NS0_19TensorListAddressesEi,comdat
	.protected	_ZN2at6native14lpnorm_cleanupIN3c108BFloat16ELNS0_8NormTypeE0EfLb0EfEEvPKT3_NS0_19TensorListAddressesEi ; -- Begin function _ZN2at6native14lpnorm_cleanupIN3c108BFloat16ELNS0_8NormTypeE0EfLb0EfEEvPKT3_NS0_19TensorListAddressesEi
	.globl	_ZN2at6native14lpnorm_cleanupIN3c108BFloat16ELNS0_8NormTypeE0EfLb0EfEEvPKT3_NS0_19TensorListAddressesEi
	.p2align	8
	.type	_ZN2at6native14lpnorm_cleanupIN3c108BFloat16ELNS0_8NormTypeE0EfLb0EfEEvPKT3_NS0_19TensorListAddressesEi,@function
_ZN2at6native14lpnorm_cleanupIN3c108BFloat16ELNS0_8NormTypeE0EfLb0EfEEvPKT3_NS0_19TensorListAddressesEi: ; @_ZN2at6native14lpnorm_cleanupIN3c108BFloat16ELNS0_8NormTypeE0EfLb0EfEEvPKT3_NS0_19TensorListAddressesEi
; %bb.0:
	s_load_dword s6, s[0:1], 0xc88
	v_mov_b32_e32 v1, 0
	s_waitcnt lgkmcnt(0)
	v_cmp_gt_u32_e32 vcc, s6, v0
	s_and_saveexec_b64 s[4:5], vcc
	s_cbranch_execz .LBB187_4
; %bb.1:
	s_load_dwordx2 s[12:13], s[0:1], 0x0
	s_load_dword s3, s[0:1], 0xc9c
	s_mul_i32 s8, s6, s2
	s_mov_b32 s9, 0
	s_ashr_i32 s7, s6, 31
	s_lshl_b64 s[14:15], s[8:9], 2
	s_waitcnt lgkmcnt(0)
	s_and_b32 s10, s3, 0xffff
	v_mov_b32_e32 v1, 0
	s_add_u32 s12, s12, s14
	v_lshlrev_b32_e32 v2, 2, v0
	v_mov_b32_e32 v3, v1
	s_addc_u32 s13, s13, s15
	s_mov_b32 s11, s9
	v_lshl_add_u64 v[2:3], s[12:13], 0, v[2:3]
	s_lshl_b32 s8, s10, 2
	s_mov_b64 s[12:13], 0
	v_mov_b64_e32 v[4:5], v[0:1]
.LBB187_2:                              ; =>This Inner Loop Header: Depth=1
	global_load_dword v6, v[2:3], off
	v_lshl_add_u64 v[4:5], v[4:5], 0, s[10:11]
	v_cmp_le_u64_e32 vcc, s[6:7], v[4:5]
	v_lshl_add_u64 v[2:3], v[2:3], 0, s[8:9]
	s_or_b64 s[12:13], vcc, s[12:13]
	s_waitcnt vmcnt(0)
	v_add_f32_e32 v1, v1, v6
	s_andn2_b64 exec, exec, s[12:13]
	s_cbranch_execnz .LBB187_2
; %bb.3:
	s_or_b64 exec, exec, s[12:13]
.LBB187_4:
	s_or_b64 exec, exec, s[4:5]
	v_mbcnt_lo_u32_b32 v2, -1, 0
	v_mbcnt_hi_u32_b32 v6, -1, v2
	v_mov_b32_e32 v2, 0x80
	v_lshl_or_b32 v2, v6, 2, v2
	ds_bpermute_b32 v3, v2, v1
	v_and_b32_e32 v7, 63, v6
	v_cmp_gt_u32_e32 vcc, 48, v7
	s_waitcnt lgkmcnt(0)
	s_barrier
	v_cndmask_b32_e64 v4, 0, 16, vcc
	v_add_f32_e32 v5, v1, v3
	v_add_lshl_u32 v1, v4, v6, 2
	ds_bpermute_b32 v4, v1, v5
	v_cmp_gt_u32_e32 vcc, 56, v7
	s_waitcnt lgkmcnt(0)
	v_add_f32_e32 v5, v5, v4
	v_cndmask_b32_e64 v3, 0, 8, vcc
	v_add_lshl_u32 v3, v3, v6, 2
	ds_bpermute_b32 v8, v3, v5
	v_cmp_gt_u32_e32 vcc, 60, v7
	s_waitcnt lgkmcnt(0)
	v_add_f32_e32 v8, v5, v8
	v_cndmask_b32_e64 v4, 0, 4, vcc
	;; [unrolled: 6-line block ×3, first 2 shown]
	v_add_lshl_u32 v5, v5, v6, 2
	ds_bpermute_b32 v10, v5, v9
	v_cmp_ne_u32_e32 vcc, 63, v7
	v_and_b32_e32 v8, 63, v0
	s_waitcnt lgkmcnt(0)
	v_add_f32_e32 v7, v9, v10
	v_addc_co_u32_e32 v6, vcc, 0, v6, vcc
	v_lshlrev_b32_e32 v6, 2, v6
	ds_bpermute_b32 v9, v6, v7
	v_cmp_eq_u32_e32 vcc, 0, v8
	s_and_saveexec_b64 s[4:5], vcc
	s_cbranch_execz .LBB187_6
; %bb.5:
	s_waitcnt lgkmcnt(0)
	v_add_f32_e32 v7, v7, v9
	v_lshrrev_b32_e32 v9, 4, v0
	ds_write_b32 v9, v7
.LBB187_6:
	s_or_b64 exec, exec, s[4:5]
	s_waitcnt lgkmcnt(0)
	s_barrier
	s_load_dword s3, s[0:1], 0xc9c
	v_mov_b32_e32 v7, 0
	s_waitcnt lgkmcnt(0)
	s_bfe_u32 s3, s3, 0xa0006
	v_cmp_gt_u32_e32 vcc, s3, v0
	s_and_saveexec_b64 s[4:5], vcc
; %bb.7:
	v_lshlrev_b32_e32 v7, 2, v8
	ds_read_b32 v7, v7
; %bb.8:
	s_or_b64 exec, exec, s[4:5]
	v_cmp_gt_u32_e32 vcc, 64, v0
	s_and_saveexec_b64 s[4:5], vcc
	s_cbranch_execz .LBB187_10
; %bb.9:
	s_waitcnt lgkmcnt(0)
	ds_bpermute_b32 v2, v2, v7
	s_waitcnt lgkmcnt(0)
	v_add_f32_e32 v2, v7, v2
	ds_bpermute_b32 v1, v1, v2
	s_waitcnt lgkmcnt(0)
	v_add_f32_e32 v1, v2, v1
	;; [unrolled: 3-line block ×6, first 2 shown]
.LBB187_10:
	s_or_b64 exec, exec, s[4:5]
	s_mov_b32 s3, 0
	v_cmp_eq_u32_e32 vcc, 0, v0
	s_and_saveexec_b64 s[4:5], vcc
	s_cbranch_execz .LBB187_12
; %bb.11:
	s_lshl_b64 s[2:3], s[2:3], 3
	s_add_u32 s0, s0, s2
	s_addc_u32 s1, s1, s3
	s_load_dwordx2 s[0:1], s[0:1], 0x8
	v_mov_b32_e32 v0, 0
	s_waitcnt lgkmcnt(0)
	global_store_dword v0, v7, s[0:1]
.LBB187_12:
	s_endpgm
	.section	.rodata,"a",@progbits
	.p2align	6, 0x0
	.amdhsa_kernel _ZN2at6native14lpnorm_cleanupIN3c108BFloat16ELNS0_8NormTypeE0EfLb0EfEEvPKT3_NS0_19TensorListAddressesEi
		.amdhsa_group_segment_fixed_size 2048
		.amdhsa_private_segment_fixed_size 0
		.amdhsa_kernarg_size 3472
		.amdhsa_user_sgpr_count 2
		.amdhsa_user_sgpr_dispatch_ptr 0
		.amdhsa_user_sgpr_queue_ptr 0
		.amdhsa_user_sgpr_kernarg_segment_ptr 1
		.amdhsa_user_sgpr_dispatch_id 0
		.amdhsa_user_sgpr_kernarg_preload_length 0
		.amdhsa_user_sgpr_kernarg_preload_offset 0
		.amdhsa_user_sgpr_private_segment_size 0
		.amdhsa_uses_dynamic_stack 0
		.amdhsa_enable_private_segment 0
		.amdhsa_system_sgpr_workgroup_id_x 1
		.amdhsa_system_sgpr_workgroup_id_y 0
		.amdhsa_system_sgpr_workgroup_id_z 0
		.amdhsa_system_sgpr_workgroup_info 0
		.amdhsa_system_vgpr_workitem_id 0
		.amdhsa_next_free_vgpr 11
		.amdhsa_next_free_sgpr 16
		.amdhsa_accum_offset 12
		.amdhsa_reserve_vcc 1
		.amdhsa_float_round_mode_32 0
		.amdhsa_float_round_mode_16_64 0
		.amdhsa_float_denorm_mode_32 3
		.amdhsa_float_denorm_mode_16_64 3
		.amdhsa_dx10_clamp 1
		.amdhsa_ieee_mode 1
		.amdhsa_fp16_overflow 0
		.amdhsa_tg_split 0
		.amdhsa_exception_fp_ieee_invalid_op 0
		.amdhsa_exception_fp_denorm_src 0
		.amdhsa_exception_fp_ieee_div_zero 0
		.amdhsa_exception_fp_ieee_overflow 0
		.amdhsa_exception_fp_ieee_underflow 0
		.amdhsa_exception_fp_ieee_inexact 0
		.amdhsa_exception_int_div_zero 0
	.end_amdhsa_kernel
	.section	.text._ZN2at6native14lpnorm_cleanupIN3c108BFloat16ELNS0_8NormTypeE0EfLb0EfEEvPKT3_NS0_19TensorListAddressesEi,"axG",@progbits,_ZN2at6native14lpnorm_cleanupIN3c108BFloat16ELNS0_8NormTypeE0EfLb0EfEEvPKT3_NS0_19TensorListAddressesEi,comdat
.Lfunc_end187:
	.size	_ZN2at6native14lpnorm_cleanupIN3c108BFloat16ELNS0_8NormTypeE0EfLb0EfEEvPKT3_NS0_19TensorListAddressesEi, .Lfunc_end187-_ZN2at6native14lpnorm_cleanupIN3c108BFloat16ELNS0_8NormTypeE0EfLb0EfEEvPKT3_NS0_19TensorListAddressesEi
                                        ; -- End function
	.set _ZN2at6native14lpnorm_cleanupIN3c108BFloat16ELNS0_8NormTypeE0EfLb0EfEEvPKT3_NS0_19TensorListAddressesEi.num_vgpr, 11
	.set _ZN2at6native14lpnorm_cleanupIN3c108BFloat16ELNS0_8NormTypeE0EfLb0EfEEvPKT3_NS0_19TensorListAddressesEi.num_agpr, 0
	.set _ZN2at6native14lpnorm_cleanupIN3c108BFloat16ELNS0_8NormTypeE0EfLb0EfEEvPKT3_NS0_19TensorListAddressesEi.numbered_sgpr, 16
	.set _ZN2at6native14lpnorm_cleanupIN3c108BFloat16ELNS0_8NormTypeE0EfLb0EfEEvPKT3_NS0_19TensorListAddressesEi.num_named_barrier, 0
	.set _ZN2at6native14lpnorm_cleanupIN3c108BFloat16ELNS0_8NormTypeE0EfLb0EfEEvPKT3_NS0_19TensorListAddressesEi.private_seg_size, 0
	.set _ZN2at6native14lpnorm_cleanupIN3c108BFloat16ELNS0_8NormTypeE0EfLb0EfEEvPKT3_NS0_19TensorListAddressesEi.uses_vcc, 1
	.set _ZN2at6native14lpnorm_cleanupIN3c108BFloat16ELNS0_8NormTypeE0EfLb0EfEEvPKT3_NS0_19TensorListAddressesEi.uses_flat_scratch, 0
	.set _ZN2at6native14lpnorm_cleanupIN3c108BFloat16ELNS0_8NormTypeE0EfLb0EfEEvPKT3_NS0_19TensorListAddressesEi.has_dyn_sized_stack, 0
	.set _ZN2at6native14lpnorm_cleanupIN3c108BFloat16ELNS0_8NormTypeE0EfLb0EfEEvPKT3_NS0_19TensorListAddressesEi.has_recursion, 0
	.set _ZN2at6native14lpnorm_cleanupIN3c108BFloat16ELNS0_8NormTypeE0EfLb0EfEEvPKT3_NS0_19TensorListAddressesEi.has_indirect_call, 0
	.section	.AMDGPU.csdata,"",@progbits
; Kernel info:
; codeLenInByte = 660
; TotalNumSgprs: 22
; NumVgprs: 11
; NumAgprs: 0
; TotalNumVgprs: 11
; ScratchSize: 0
; MemoryBound: 0
; FloatMode: 240
; IeeeMode: 1
; LDSByteSize: 2048 bytes/workgroup (compile time only)
; SGPRBlocks: 2
; VGPRBlocks: 1
; NumSGPRsForWavesPerEU: 22
; NumVGPRsForWavesPerEU: 11
; AccumOffset: 12
; Occupancy: 8
; WaveLimiterHint : 0
; COMPUTE_PGM_RSRC2:SCRATCH_EN: 0
; COMPUTE_PGM_RSRC2:USER_SGPR: 2
; COMPUTE_PGM_RSRC2:TRAP_HANDLER: 0
; COMPUTE_PGM_RSRC2:TGID_X_EN: 1
; COMPUTE_PGM_RSRC2:TGID_Y_EN: 0
; COMPUTE_PGM_RSRC2:TGID_Z_EN: 0
; COMPUTE_PGM_RSRC2:TIDIG_COMP_CNT: 0
; COMPUTE_PGM_RSRC3_GFX90A:ACCUM_OFFSET: 2
; COMPUTE_PGM_RSRC3_GFX90A:TG_SPLIT: 0
	.section	.text._ZN2at6native14lpnorm_cleanupIN3c108BFloat16ELNS0_8NormTypeE1EfLb0EfEEvPKT3_NS0_19TensorListAddressesEi,"axG",@progbits,_ZN2at6native14lpnorm_cleanupIN3c108BFloat16ELNS0_8NormTypeE1EfLb0EfEEvPKT3_NS0_19TensorListAddressesEi,comdat
	.protected	_ZN2at6native14lpnorm_cleanupIN3c108BFloat16ELNS0_8NormTypeE1EfLb0EfEEvPKT3_NS0_19TensorListAddressesEi ; -- Begin function _ZN2at6native14lpnorm_cleanupIN3c108BFloat16ELNS0_8NormTypeE1EfLb0EfEEvPKT3_NS0_19TensorListAddressesEi
	.globl	_ZN2at6native14lpnorm_cleanupIN3c108BFloat16ELNS0_8NormTypeE1EfLb0EfEEvPKT3_NS0_19TensorListAddressesEi
	.p2align	8
	.type	_ZN2at6native14lpnorm_cleanupIN3c108BFloat16ELNS0_8NormTypeE1EfLb0EfEEvPKT3_NS0_19TensorListAddressesEi,@function
_ZN2at6native14lpnorm_cleanupIN3c108BFloat16ELNS0_8NormTypeE1EfLb0EfEEvPKT3_NS0_19TensorListAddressesEi: ; @_ZN2at6native14lpnorm_cleanupIN3c108BFloat16ELNS0_8NormTypeE1EfLb0EfEEvPKT3_NS0_19TensorListAddressesEi
; %bb.0:
	s_load_dword s6, s[0:1], 0xc88
	v_mov_b32_e32 v1, 0
	s_waitcnt lgkmcnt(0)
	v_cmp_gt_u32_e32 vcc, s6, v0
	s_and_saveexec_b64 s[4:5], vcc
	s_cbranch_execz .LBB188_4
; %bb.1:
	s_load_dwordx2 s[12:13], s[0:1], 0x0
	s_load_dword s3, s[0:1], 0xc9c
	s_mul_i32 s8, s6, s2
	s_mov_b32 s9, 0
	s_ashr_i32 s7, s6, 31
	s_lshl_b64 s[14:15], s[8:9], 2
	s_waitcnt lgkmcnt(0)
	s_and_b32 s10, s3, 0xffff
	v_mov_b32_e32 v1, 0
	s_add_u32 s12, s12, s14
	v_lshlrev_b32_e32 v2, 2, v0
	v_mov_b32_e32 v3, v1
	s_addc_u32 s13, s13, s15
	s_mov_b32 s11, s9
	v_lshl_add_u64 v[2:3], s[12:13], 0, v[2:3]
	s_lshl_b32 s8, s10, 2
	s_mov_b64 s[12:13], 0
	v_mov_b64_e32 v[4:5], v[0:1]
.LBB188_2:                              ; =>This Inner Loop Header: Depth=1
	global_load_dword v6, v[2:3], off
	v_lshl_add_u64 v[4:5], v[4:5], 0, s[10:11]
	v_cmp_le_u64_e32 vcc, s[6:7], v[4:5]
	v_lshl_add_u64 v[2:3], v[2:3], 0, s[8:9]
	s_or_b64 s[12:13], vcc, s[12:13]
	s_waitcnt vmcnt(0)
	v_add_f32_e32 v1, v1, v6
	s_andn2_b64 exec, exec, s[12:13]
	s_cbranch_execnz .LBB188_2
; %bb.3:
	s_or_b64 exec, exec, s[12:13]
.LBB188_4:
	s_or_b64 exec, exec, s[4:5]
	v_mbcnt_lo_u32_b32 v2, -1, 0
	v_mbcnt_hi_u32_b32 v6, -1, v2
	v_mov_b32_e32 v2, 0x80
	v_lshl_or_b32 v2, v6, 2, v2
	ds_bpermute_b32 v3, v2, v1
	v_and_b32_e32 v7, 63, v6
	v_cmp_gt_u32_e32 vcc, 48, v7
	s_waitcnt lgkmcnt(0)
	s_barrier
	v_cndmask_b32_e64 v4, 0, 16, vcc
	v_add_f32_e32 v5, v1, v3
	v_add_lshl_u32 v1, v4, v6, 2
	ds_bpermute_b32 v4, v1, v5
	v_cmp_gt_u32_e32 vcc, 56, v7
	s_waitcnt lgkmcnt(0)
	v_add_f32_e32 v5, v5, v4
	v_cndmask_b32_e64 v3, 0, 8, vcc
	v_add_lshl_u32 v3, v3, v6, 2
	ds_bpermute_b32 v8, v3, v5
	v_cmp_gt_u32_e32 vcc, 60, v7
	s_waitcnt lgkmcnt(0)
	v_add_f32_e32 v8, v5, v8
	v_cndmask_b32_e64 v4, 0, 4, vcc
	;; [unrolled: 6-line block ×3, first 2 shown]
	v_add_lshl_u32 v5, v5, v6, 2
	ds_bpermute_b32 v10, v5, v9
	v_cmp_ne_u32_e32 vcc, 63, v7
	v_and_b32_e32 v8, 63, v0
	s_waitcnt lgkmcnt(0)
	v_add_f32_e32 v7, v9, v10
	v_addc_co_u32_e32 v6, vcc, 0, v6, vcc
	v_lshlrev_b32_e32 v6, 2, v6
	ds_bpermute_b32 v9, v6, v7
	v_cmp_eq_u32_e32 vcc, 0, v8
	s_and_saveexec_b64 s[4:5], vcc
	s_cbranch_execz .LBB188_6
; %bb.5:
	s_waitcnt lgkmcnt(0)
	v_add_f32_e32 v7, v7, v9
	v_lshrrev_b32_e32 v9, 4, v0
	ds_write_b32 v9, v7
.LBB188_6:
	s_or_b64 exec, exec, s[4:5]
	s_waitcnt lgkmcnt(0)
	s_barrier
	s_load_dword s3, s[0:1], 0xc9c
	v_mov_b32_e32 v7, 0
	s_waitcnt lgkmcnt(0)
	s_bfe_u32 s3, s3, 0xa0006
	v_cmp_gt_u32_e32 vcc, s3, v0
	s_and_saveexec_b64 s[4:5], vcc
; %bb.7:
	v_lshlrev_b32_e32 v7, 2, v8
	ds_read_b32 v7, v7
; %bb.8:
	s_or_b64 exec, exec, s[4:5]
	v_cmp_gt_u32_e32 vcc, 64, v0
	s_and_saveexec_b64 s[4:5], vcc
	s_cbranch_execz .LBB188_10
; %bb.9:
	s_waitcnt lgkmcnt(0)
	ds_bpermute_b32 v2, v2, v7
	s_waitcnt lgkmcnt(0)
	v_add_f32_e32 v2, v7, v2
	ds_bpermute_b32 v1, v1, v2
	s_waitcnt lgkmcnt(0)
	v_add_f32_e32 v1, v2, v1
	;; [unrolled: 3-line block ×6, first 2 shown]
.LBB188_10:
	s_or_b64 exec, exec, s[4:5]
	s_mov_b32 s3, 0
	v_cmp_eq_u32_e32 vcc, 0, v0
	s_and_saveexec_b64 s[4:5], vcc
	s_cbranch_execz .LBB188_12
; %bb.11:
	s_lshl_b64 s[2:3], s[2:3], 3
	s_add_u32 s0, s0, s2
	s_addc_u32 s1, s1, s3
	s_load_dwordx2 s[0:1], s[0:1], 0x8
	v_mov_b32_e32 v0, 0
	s_waitcnt lgkmcnt(0)
	global_store_dword v0, v7, s[0:1]
.LBB188_12:
	s_endpgm
	.section	.rodata,"a",@progbits
	.p2align	6, 0x0
	.amdhsa_kernel _ZN2at6native14lpnorm_cleanupIN3c108BFloat16ELNS0_8NormTypeE1EfLb0EfEEvPKT3_NS0_19TensorListAddressesEi
		.amdhsa_group_segment_fixed_size 2048
		.amdhsa_private_segment_fixed_size 0
		.amdhsa_kernarg_size 3472
		.amdhsa_user_sgpr_count 2
		.amdhsa_user_sgpr_dispatch_ptr 0
		.amdhsa_user_sgpr_queue_ptr 0
		.amdhsa_user_sgpr_kernarg_segment_ptr 1
		.amdhsa_user_sgpr_dispatch_id 0
		.amdhsa_user_sgpr_kernarg_preload_length 0
		.amdhsa_user_sgpr_kernarg_preload_offset 0
		.amdhsa_user_sgpr_private_segment_size 0
		.amdhsa_uses_dynamic_stack 0
		.amdhsa_enable_private_segment 0
		.amdhsa_system_sgpr_workgroup_id_x 1
		.amdhsa_system_sgpr_workgroup_id_y 0
		.amdhsa_system_sgpr_workgroup_id_z 0
		.amdhsa_system_sgpr_workgroup_info 0
		.amdhsa_system_vgpr_workitem_id 0
		.amdhsa_next_free_vgpr 11
		.amdhsa_next_free_sgpr 16
		.amdhsa_accum_offset 12
		.amdhsa_reserve_vcc 1
		.amdhsa_float_round_mode_32 0
		.amdhsa_float_round_mode_16_64 0
		.amdhsa_float_denorm_mode_32 3
		.amdhsa_float_denorm_mode_16_64 3
		.amdhsa_dx10_clamp 1
		.amdhsa_ieee_mode 1
		.amdhsa_fp16_overflow 0
		.amdhsa_tg_split 0
		.amdhsa_exception_fp_ieee_invalid_op 0
		.amdhsa_exception_fp_denorm_src 0
		.amdhsa_exception_fp_ieee_div_zero 0
		.amdhsa_exception_fp_ieee_overflow 0
		.amdhsa_exception_fp_ieee_underflow 0
		.amdhsa_exception_fp_ieee_inexact 0
		.amdhsa_exception_int_div_zero 0
	.end_amdhsa_kernel
	.section	.text._ZN2at6native14lpnorm_cleanupIN3c108BFloat16ELNS0_8NormTypeE1EfLb0EfEEvPKT3_NS0_19TensorListAddressesEi,"axG",@progbits,_ZN2at6native14lpnorm_cleanupIN3c108BFloat16ELNS0_8NormTypeE1EfLb0EfEEvPKT3_NS0_19TensorListAddressesEi,comdat
.Lfunc_end188:
	.size	_ZN2at6native14lpnorm_cleanupIN3c108BFloat16ELNS0_8NormTypeE1EfLb0EfEEvPKT3_NS0_19TensorListAddressesEi, .Lfunc_end188-_ZN2at6native14lpnorm_cleanupIN3c108BFloat16ELNS0_8NormTypeE1EfLb0EfEEvPKT3_NS0_19TensorListAddressesEi
                                        ; -- End function
	.set _ZN2at6native14lpnorm_cleanupIN3c108BFloat16ELNS0_8NormTypeE1EfLb0EfEEvPKT3_NS0_19TensorListAddressesEi.num_vgpr, 11
	.set _ZN2at6native14lpnorm_cleanupIN3c108BFloat16ELNS0_8NormTypeE1EfLb0EfEEvPKT3_NS0_19TensorListAddressesEi.num_agpr, 0
	.set _ZN2at6native14lpnorm_cleanupIN3c108BFloat16ELNS0_8NormTypeE1EfLb0EfEEvPKT3_NS0_19TensorListAddressesEi.numbered_sgpr, 16
	.set _ZN2at6native14lpnorm_cleanupIN3c108BFloat16ELNS0_8NormTypeE1EfLb0EfEEvPKT3_NS0_19TensorListAddressesEi.num_named_barrier, 0
	.set _ZN2at6native14lpnorm_cleanupIN3c108BFloat16ELNS0_8NormTypeE1EfLb0EfEEvPKT3_NS0_19TensorListAddressesEi.private_seg_size, 0
	.set _ZN2at6native14lpnorm_cleanupIN3c108BFloat16ELNS0_8NormTypeE1EfLb0EfEEvPKT3_NS0_19TensorListAddressesEi.uses_vcc, 1
	.set _ZN2at6native14lpnorm_cleanupIN3c108BFloat16ELNS0_8NormTypeE1EfLb0EfEEvPKT3_NS0_19TensorListAddressesEi.uses_flat_scratch, 0
	.set _ZN2at6native14lpnorm_cleanupIN3c108BFloat16ELNS0_8NormTypeE1EfLb0EfEEvPKT3_NS0_19TensorListAddressesEi.has_dyn_sized_stack, 0
	.set _ZN2at6native14lpnorm_cleanupIN3c108BFloat16ELNS0_8NormTypeE1EfLb0EfEEvPKT3_NS0_19TensorListAddressesEi.has_recursion, 0
	.set _ZN2at6native14lpnorm_cleanupIN3c108BFloat16ELNS0_8NormTypeE1EfLb0EfEEvPKT3_NS0_19TensorListAddressesEi.has_indirect_call, 0
	.section	.AMDGPU.csdata,"",@progbits
; Kernel info:
; codeLenInByte = 660
; TotalNumSgprs: 22
; NumVgprs: 11
; NumAgprs: 0
; TotalNumVgprs: 11
; ScratchSize: 0
; MemoryBound: 0
; FloatMode: 240
; IeeeMode: 1
; LDSByteSize: 2048 bytes/workgroup (compile time only)
; SGPRBlocks: 2
; VGPRBlocks: 1
; NumSGPRsForWavesPerEU: 22
; NumVGPRsForWavesPerEU: 11
; AccumOffset: 12
; Occupancy: 8
; WaveLimiterHint : 0
; COMPUTE_PGM_RSRC2:SCRATCH_EN: 0
; COMPUTE_PGM_RSRC2:USER_SGPR: 2
; COMPUTE_PGM_RSRC2:TRAP_HANDLER: 0
; COMPUTE_PGM_RSRC2:TGID_X_EN: 1
; COMPUTE_PGM_RSRC2:TGID_Y_EN: 0
; COMPUTE_PGM_RSRC2:TGID_Z_EN: 0
; COMPUTE_PGM_RSRC2:TIDIG_COMP_CNT: 0
; COMPUTE_PGM_RSRC3_GFX90A:ACCUM_OFFSET: 2
; COMPUTE_PGM_RSRC3_GFX90A:TG_SPLIT: 0
	.section	.text._ZN2at6native14lpnorm_cleanupIN3c108BFloat16ELNS0_8NormTypeE2EfLb0EfEEvPKT3_NS0_19TensorListAddressesEi,"axG",@progbits,_ZN2at6native14lpnorm_cleanupIN3c108BFloat16ELNS0_8NormTypeE2EfLb0EfEEvPKT3_NS0_19TensorListAddressesEi,comdat
	.protected	_ZN2at6native14lpnorm_cleanupIN3c108BFloat16ELNS0_8NormTypeE2EfLb0EfEEvPKT3_NS0_19TensorListAddressesEi ; -- Begin function _ZN2at6native14lpnorm_cleanupIN3c108BFloat16ELNS0_8NormTypeE2EfLb0EfEEvPKT3_NS0_19TensorListAddressesEi
	.globl	_ZN2at6native14lpnorm_cleanupIN3c108BFloat16ELNS0_8NormTypeE2EfLb0EfEEvPKT3_NS0_19TensorListAddressesEi
	.p2align	8
	.type	_ZN2at6native14lpnorm_cleanupIN3c108BFloat16ELNS0_8NormTypeE2EfLb0EfEEvPKT3_NS0_19TensorListAddressesEi,@function
_ZN2at6native14lpnorm_cleanupIN3c108BFloat16ELNS0_8NormTypeE2EfLb0EfEEvPKT3_NS0_19TensorListAddressesEi: ; @_ZN2at6native14lpnorm_cleanupIN3c108BFloat16ELNS0_8NormTypeE2EfLb0EfEEvPKT3_NS0_19TensorListAddressesEi
; %bb.0:
	s_load_dword s6, s[0:1], 0xc88
	v_mov_b32_e32 v1, 0
	s_waitcnt lgkmcnt(0)
	v_cmp_gt_u32_e32 vcc, s6, v0
	s_and_saveexec_b64 s[4:5], vcc
	s_cbranch_execz .LBB189_4
; %bb.1:
	s_load_dwordx2 s[12:13], s[0:1], 0x0
	s_load_dword s3, s[0:1], 0xc9c
	s_mul_i32 s8, s6, s2
	s_mov_b32 s9, 0
	s_ashr_i32 s7, s6, 31
	s_lshl_b64 s[14:15], s[8:9], 2
	s_waitcnt lgkmcnt(0)
	s_and_b32 s10, s3, 0xffff
	v_mov_b32_e32 v1, 0
	s_add_u32 s12, s12, s14
	v_lshlrev_b32_e32 v2, 2, v0
	v_mov_b32_e32 v3, v1
	s_addc_u32 s13, s13, s15
	s_mov_b32 s11, s9
	v_lshl_add_u64 v[2:3], s[12:13], 0, v[2:3]
	s_lshl_b32 s8, s10, 2
	s_mov_b64 s[12:13], 0
	v_mov_b64_e32 v[4:5], v[0:1]
.LBB189_2:                              ; =>This Inner Loop Header: Depth=1
	global_load_dword v6, v[2:3], off
	v_lshl_add_u64 v[4:5], v[4:5], 0, s[10:11]
	v_cmp_le_u64_e32 vcc, s[6:7], v[4:5]
	v_lshl_add_u64 v[2:3], v[2:3], 0, s[8:9]
	s_or_b64 s[12:13], vcc, s[12:13]
	s_waitcnt vmcnt(0)
	v_add_f32_e32 v1, v1, v6
	s_andn2_b64 exec, exec, s[12:13]
	s_cbranch_execnz .LBB189_2
; %bb.3:
	s_or_b64 exec, exec, s[12:13]
.LBB189_4:
	s_or_b64 exec, exec, s[4:5]
	v_mbcnt_lo_u32_b32 v2, -1, 0
	v_mbcnt_hi_u32_b32 v6, -1, v2
	v_mov_b32_e32 v2, 0x80
	v_lshl_or_b32 v2, v6, 2, v2
	ds_bpermute_b32 v3, v2, v1
	v_and_b32_e32 v7, 63, v6
	v_cmp_gt_u32_e32 vcc, 48, v7
	s_waitcnt lgkmcnt(0)
	s_barrier
	v_cndmask_b32_e64 v4, 0, 16, vcc
	v_add_f32_e32 v5, v1, v3
	v_add_lshl_u32 v1, v4, v6, 2
	ds_bpermute_b32 v4, v1, v5
	v_cmp_gt_u32_e32 vcc, 56, v7
	s_waitcnt lgkmcnt(0)
	v_add_f32_e32 v5, v5, v4
	v_cndmask_b32_e64 v3, 0, 8, vcc
	v_add_lshl_u32 v3, v3, v6, 2
	ds_bpermute_b32 v8, v3, v5
	v_cmp_gt_u32_e32 vcc, 60, v7
	s_waitcnt lgkmcnt(0)
	v_add_f32_e32 v8, v5, v8
	v_cndmask_b32_e64 v4, 0, 4, vcc
	;; [unrolled: 6-line block ×3, first 2 shown]
	v_add_lshl_u32 v5, v5, v6, 2
	ds_bpermute_b32 v10, v5, v9
	v_cmp_ne_u32_e32 vcc, 63, v7
	v_and_b32_e32 v8, 63, v0
	s_waitcnt lgkmcnt(0)
	v_add_f32_e32 v7, v9, v10
	v_addc_co_u32_e32 v6, vcc, 0, v6, vcc
	v_lshlrev_b32_e32 v6, 2, v6
	ds_bpermute_b32 v9, v6, v7
	v_cmp_eq_u32_e32 vcc, 0, v8
	s_and_saveexec_b64 s[4:5], vcc
	s_cbranch_execz .LBB189_6
; %bb.5:
	s_waitcnt lgkmcnt(0)
	v_add_f32_e32 v7, v7, v9
	v_lshrrev_b32_e32 v9, 4, v0
	ds_write_b32 v9, v7
.LBB189_6:
	s_or_b64 exec, exec, s[4:5]
	s_waitcnt lgkmcnt(0)
	s_barrier
	s_load_dword s3, s[0:1], 0xc9c
	v_mov_b32_e32 v7, 0
	s_waitcnt lgkmcnt(0)
	s_bfe_u32 s3, s3, 0xa0006
	v_cmp_gt_u32_e32 vcc, s3, v0
	s_and_saveexec_b64 s[4:5], vcc
; %bb.7:
	v_lshlrev_b32_e32 v7, 2, v8
	ds_read_b32 v7, v7
; %bb.8:
	s_or_b64 exec, exec, s[4:5]
	v_cmp_gt_u32_e32 vcc, 64, v0
	s_and_saveexec_b64 s[4:5], vcc
	s_cbranch_execz .LBB189_10
; %bb.9:
	s_waitcnt lgkmcnt(0)
	ds_bpermute_b32 v2, v2, v7
	s_waitcnt lgkmcnt(0)
	v_add_f32_e32 v2, v7, v2
	ds_bpermute_b32 v1, v1, v2
	s_waitcnt lgkmcnt(0)
	v_add_f32_e32 v1, v2, v1
	ds_bpermute_b32 v2, v3, v1
	s_waitcnt lgkmcnt(0)
	v_add_f32_e32 v1, v1, v2
	ds_bpermute_b32 v2, v4, v1
	s_waitcnt lgkmcnt(0)
	v_add_f32_e32 v1, v1, v2
	ds_bpermute_b32 v2, v5, v1
	s_waitcnt lgkmcnt(0)
	v_add_f32_e32 v1, v1, v2
	ds_bpermute_b32 v2, v6, v1
	s_waitcnt lgkmcnt(0)
	v_add_f32_e32 v7, v1, v2
.LBB189_10:
	s_or_b64 exec, exec, s[4:5]
	s_mov_b32 s3, 0
	v_cmp_eq_u32_e32 vcc, 0, v0
	s_and_saveexec_b64 s[4:5], vcc
	s_cbranch_execz .LBB189_12
; %bb.11:
	s_lshl_b64 s[2:3], s[2:3], 3
	s_add_u32 s0, s0, s2
	s_addc_u32 s1, s1, s3
	s_load_dwordx2 s[0:1], s[0:1], 0x8
	v_mov_b32_e32 v0, 0
	s_waitcnt lgkmcnt(0)
	global_store_dword v0, v7, s[0:1]
.LBB189_12:
	s_endpgm
	.section	.rodata,"a",@progbits
	.p2align	6, 0x0
	.amdhsa_kernel _ZN2at6native14lpnorm_cleanupIN3c108BFloat16ELNS0_8NormTypeE2EfLb0EfEEvPKT3_NS0_19TensorListAddressesEi
		.amdhsa_group_segment_fixed_size 2048
		.amdhsa_private_segment_fixed_size 0
		.amdhsa_kernarg_size 3472
		.amdhsa_user_sgpr_count 2
		.amdhsa_user_sgpr_dispatch_ptr 0
		.amdhsa_user_sgpr_queue_ptr 0
		.amdhsa_user_sgpr_kernarg_segment_ptr 1
		.amdhsa_user_sgpr_dispatch_id 0
		.amdhsa_user_sgpr_kernarg_preload_length 0
		.amdhsa_user_sgpr_kernarg_preload_offset 0
		.amdhsa_user_sgpr_private_segment_size 0
		.amdhsa_uses_dynamic_stack 0
		.amdhsa_enable_private_segment 0
		.amdhsa_system_sgpr_workgroup_id_x 1
		.amdhsa_system_sgpr_workgroup_id_y 0
		.amdhsa_system_sgpr_workgroup_id_z 0
		.amdhsa_system_sgpr_workgroup_info 0
		.amdhsa_system_vgpr_workitem_id 0
		.amdhsa_next_free_vgpr 11
		.amdhsa_next_free_sgpr 16
		.amdhsa_accum_offset 12
		.amdhsa_reserve_vcc 1
		.amdhsa_float_round_mode_32 0
		.amdhsa_float_round_mode_16_64 0
		.amdhsa_float_denorm_mode_32 3
		.amdhsa_float_denorm_mode_16_64 3
		.amdhsa_dx10_clamp 1
		.amdhsa_ieee_mode 1
		.amdhsa_fp16_overflow 0
		.amdhsa_tg_split 0
		.amdhsa_exception_fp_ieee_invalid_op 0
		.amdhsa_exception_fp_denorm_src 0
		.amdhsa_exception_fp_ieee_div_zero 0
		.amdhsa_exception_fp_ieee_overflow 0
		.amdhsa_exception_fp_ieee_underflow 0
		.amdhsa_exception_fp_ieee_inexact 0
		.amdhsa_exception_int_div_zero 0
	.end_amdhsa_kernel
	.section	.text._ZN2at6native14lpnorm_cleanupIN3c108BFloat16ELNS0_8NormTypeE2EfLb0EfEEvPKT3_NS0_19TensorListAddressesEi,"axG",@progbits,_ZN2at6native14lpnorm_cleanupIN3c108BFloat16ELNS0_8NormTypeE2EfLb0EfEEvPKT3_NS0_19TensorListAddressesEi,comdat
.Lfunc_end189:
	.size	_ZN2at6native14lpnorm_cleanupIN3c108BFloat16ELNS0_8NormTypeE2EfLb0EfEEvPKT3_NS0_19TensorListAddressesEi, .Lfunc_end189-_ZN2at6native14lpnorm_cleanupIN3c108BFloat16ELNS0_8NormTypeE2EfLb0EfEEvPKT3_NS0_19TensorListAddressesEi
                                        ; -- End function
	.set _ZN2at6native14lpnorm_cleanupIN3c108BFloat16ELNS0_8NormTypeE2EfLb0EfEEvPKT3_NS0_19TensorListAddressesEi.num_vgpr, 11
	.set _ZN2at6native14lpnorm_cleanupIN3c108BFloat16ELNS0_8NormTypeE2EfLb0EfEEvPKT3_NS0_19TensorListAddressesEi.num_agpr, 0
	.set _ZN2at6native14lpnorm_cleanupIN3c108BFloat16ELNS0_8NormTypeE2EfLb0EfEEvPKT3_NS0_19TensorListAddressesEi.numbered_sgpr, 16
	.set _ZN2at6native14lpnorm_cleanupIN3c108BFloat16ELNS0_8NormTypeE2EfLb0EfEEvPKT3_NS0_19TensorListAddressesEi.num_named_barrier, 0
	.set _ZN2at6native14lpnorm_cleanupIN3c108BFloat16ELNS0_8NormTypeE2EfLb0EfEEvPKT3_NS0_19TensorListAddressesEi.private_seg_size, 0
	.set _ZN2at6native14lpnorm_cleanupIN3c108BFloat16ELNS0_8NormTypeE2EfLb0EfEEvPKT3_NS0_19TensorListAddressesEi.uses_vcc, 1
	.set _ZN2at6native14lpnorm_cleanupIN3c108BFloat16ELNS0_8NormTypeE2EfLb0EfEEvPKT3_NS0_19TensorListAddressesEi.uses_flat_scratch, 0
	.set _ZN2at6native14lpnorm_cleanupIN3c108BFloat16ELNS0_8NormTypeE2EfLb0EfEEvPKT3_NS0_19TensorListAddressesEi.has_dyn_sized_stack, 0
	.set _ZN2at6native14lpnorm_cleanupIN3c108BFloat16ELNS0_8NormTypeE2EfLb0EfEEvPKT3_NS0_19TensorListAddressesEi.has_recursion, 0
	.set _ZN2at6native14lpnorm_cleanupIN3c108BFloat16ELNS0_8NormTypeE2EfLb0EfEEvPKT3_NS0_19TensorListAddressesEi.has_indirect_call, 0
	.section	.AMDGPU.csdata,"",@progbits
; Kernel info:
; codeLenInByte = 660
; TotalNumSgprs: 22
; NumVgprs: 11
; NumAgprs: 0
; TotalNumVgprs: 11
; ScratchSize: 0
; MemoryBound: 0
; FloatMode: 240
; IeeeMode: 1
; LDSByteSize: 2048 bytes/workgroup (compile time only)
; SGPRBlocks: 2
; VGPRBlocks: 1
; NumSGPRsForWavesPerEU: 22
; NumVGPRsForWavesPerEU: 11
; AccumOffset: 12
; Occupancy: 8
; WaveLimiterHint : 0
; COMPUTE_PGM_RSRC2:SCRATCH_EN: 0
; COMPUTE_PGM_RSRC2:USER_SGPR: 2
; COMPUTE_PGM_RSRC2:TRAP_HANDLER: 0
; COMPUTE_PGM_RSRC2:TGID_X_EN: 1
; COMPUTE_PGM_RSRC2:TGID_Y_EN: 0
; COMPUTE_PGM_RSRC2:TGID_Z_EN: 0
; COMPUTE_PGM_RSRC2:TIDIG_COMP_CNT: 0
; COMPUTE_PGM_RSRC3_GFX90A:ACCUM_OFFSET: 2
; COMPUTE_PGM_RSRC3_GFX90A:TG_SPLIT: 0
	.section	.text._ZN2at6native14lpnorm_cleanupIN3c108BFloat16ELNS0_8NormTypeE0ENS2_4HalfELb0EfEEvPKT3_NS0_19TensorListAddressesEi,"axG",@progbits,_ZN2at6native14lpnorm_cleanupIN3c108BFloat16ELNS0_8NormTypeE0ENS2_4HalfELb0EfEEvPKT3_NS0_19TensorListAddressesEi,comdat
	.protected	_ZN2at6native14lpnorm_cleanupIN3c108BFloat16ELNS0_8NormTypeE0ENS2_4HalfELb0EfEEvPKT3_NS0_19TensorListAddressesEi ; -- Begin function _ZN2at6native14lpnorm_cleanupIN3c108BFloat16ELNS0_8NormTypeE0ENS2_4HalfELb0EfEEvPKT3_NS0_19TensorListAddressesEi
	.globl	_ZN2at6native14lpnorm_cleanupIN3c108BFloat16ELNS0_8NormTypeE0ENS2_4HalfELb0EfEEvPKT3_NS0_19TensorListAddressesEi
	.p2align	8
	.type	_ZN2at6native14lpnorm_cleanupIN3c108BFloat16ELNS0_8NormTypeE0ENS2_4HalfELb0EfEEvPKT3_NS0_19TensorListAddressesEi,@function
_ZN2at6native14lpnorm_cleanupIN3c108BFloat16ELNS0_8NormTypeE0ENS2_4HalfELb0EfEEvPKT3_NS0_19TensorListAddressesEi: ; @_ZN2at6native14lpnorm_cleanupIN3c108BFloat16ELNS0_8NormTypeE0ENS2_4HalfELb0EfEEvPKT3_NS0_19TensorListAddressesEi
; %bb.0:
	s_load_dword s6, s[0:1], 0xc88
	v_mov_b32_e32 v1, 0
	s_waitcnt lgkmcnt(0)
	v_cmp_gt_u32_e32 vcc, s6, v0
	s_and_saveexec_b64 s[4:5], vcc
	s_cbranch_execz .LBB190_4
; %bb.1:
	s_load_dwordx2 s[12:13], s[0:1], 0x0
	s_load_dword s3, s[0:1], 0xc9c
	s_mul_i32 s8, s6, s2
	s_mov_b32 s9, 0
	s_ashr_i32 s7, s6, 31
	s_lshl_b64 s[14:15], s[8:9], 2
	s_waitcnt lgkmcnt(0)
	s_and_b32 s10, s3, 0xffff
	v_mov_b32_e32 v1, 0
	s_add_u32 s12, s12, s14
	v_lshlrev_b32_e32 v2, 2, v0
	v_mov_b32_e32 v3, v1
	s_addc_u32 s13, s13, s15
	s_mov_b32 s11, s9
	v_lshl_add_u64 v[2:3], s[12:13], 0, v[2:3]
	s_lshl_b32 s8, s10, 2
	s_mov_b64 s[12:13], 0
	v_mov_b64_e32 v[4:5], v[0:1]
.LBB190_2:                              ; =>This Inner Loop Header: Depth=1
	global_load_dword v6, v[2:3], off
	v_lshl_add_u64 v[4:5], v[4:5], 0, s[10:11]
	v_cmp_le_u64_e32 vcc, s[6:7], v[4:5]
	v_lshl_add_u64 v[2:3], v[2:3], 0, s[8:9]
	s_or_b64 s[12:13], vcc, s[12:13]
	s_waitcnt vmcnt(0)
	v_add_f32_e32 v1, v1, v6
	s_andn2_b64 exec, exec, s[12:13]
	s_cbranch_execnz .LBB190_2
; %bb.3:
	s_or_b64 exec, exec, s[12:13]
.LBB190_4:
	s_or_b64 exec, exec, s[4:5]
	v_mbcnt_lo_u32_b32 v2, -1, 0
	v_mbcnt_hi_u32_b32 v6, -1, v2
	v_mov_b32_e32 v2, 0x80
	v_lshl_or_b32 v2, v6, 2, v2
	ds_bpermute_b32 v3, v2, v1
	v_and_b32_e32 v7, 63, v6
	v_cmp_gt_u32_e32 vcc, 48, v7
	s_waitcnt lgkmcnt(0)
	s_barrier
	v_cndmask_b32_e64 v4, 0, 16, vcc
	v_add_f32_e32 v5, v1, v3
	v_add_lshl_u32 v1, v4, v6, 2
	ds_bpermute_b32 v4, v1, v5
	v_cmp_gt_u32_e32 vcc, 56, v7
	s_waitcnt lgkmcnt(0)
	v_add_f32_e32 v5, v5, v4
	v_cndmask_b32_e64 v3, 0, 8, vcc
	v_add_lshl_u32 v3, v3, v6, 2
	ds_bpermute_b32 v8, v3, v5
	v_cmp_gt_u32_e32 vcc, 60, v7
	s_waitcnt lgkmcnt(0)
	v_add_f32_e32 v8, v5, v8
	v_cndmask_b32_e64 v4, 0, 4, vcc
	;; [unrolled: 6-line block ×3, first 2 shown]
	v_add_lshl_u32 v5, v5, v6, 2
	ds_bpermute_b32 v10, v5, v9
	v_cmp_ne_u32_e32 vcc, 63, v7
	v_and_b32_e32 v8, 63, v0
	s_waitcnt lgkmcnt(0)
	v_add_f32_e32 v7, v9, v10
	v_addc_co_u32_e32 v6, vcc, 0, v6, vcc
	v_lshlrev_b32_e32 v6, 2, v6
	ds_bpermute_b32 v9, v6, v7
	v_cmp_eq_u32_e32 vcc, 0, v8
	s_and_saveexec_b64 s[4:5], vcc
	s_cbranch_execz .LBB190_6
; %bb.5:
	s_waitcnt lgkmcnt(0)
	v_add_f32_e32 v7, v7, v9
	v_lshrrev_b32_e32 v9, 4, v0
	ds_write_b32 v9, v7
.LBB190_6:
	s_or_b64 exec, exec, s[4:5]
	s_waitcnt lgkmcnt(0)
	s_barrier
	s_load_dword s3, s[0:1], 0xc9c
	v_mov_b32_e32 v7, 0
	s_waitcnt lgkmcnt(0)
	s_bfe_u32 s3, s3, 0xa0006
	v_cmp_gt_u32_e32 vcc, s3, v0
	s_and_saveexec_b64 s[4:5], vcc
; %bb.7:
	v_lshlrev_b32_e32 v7, 2, v8
	ds_read_b32 v7, v7
; %bb.8:
	s_or_b64 exec, exec, s[4:5]
	v_cmp_gt_u32_e32 vcc, 64, v0
	s_and_saveexec_b64 s[4:5], vcc
	s_cbranch_execz .LBB190_10
; %bb.9:
	s_waitcnt lgkmcnt(0)
	ds_bpermute_b32 v2, v2, v7
	s_waitcnt lgkmcnt(0)
	v_add_f32_e32 v2, v7, v2
	ds_bpermute_b32 v1, v1, v2
	s_waitcnt lgkmcnt(0)
	v_add_f32_e32 v1, v2, v1
	;; [unrolled: 3-line block ×6, first 2 shown]
.LBB190_10:
	s_or_b64 exec, exec, s[4:5]
	s_mov_b32 s3, 0
	v_cmp_eq_u32_e32 vcc, 0, v0
	s_and_saveexec_b64 s[4:5], vcc
	s_cbranch_execz .LBB190_12
; %bb.11:
	s_lshl_b64 s[2:3], s[2:3], 3
	s_add_u32 s0, s0, s2
	s_addc_u32 s1, s1, s3
	s_load_dwordx2 s[0:1], s[0:1], 0x8
	s_waitcnt lgkmcnt(0)
	v_cvt_f16_f32_e32 v0, v7
	v_mov_b32_e32 v1, 0
	global_store_short v1, v0, s[0:1]
.LBB190_12:
	s_endpgm
	.section	.rodata,"a",@progbits
	.p2align	6, 0x0
	.amdhsa_kernel _ZN2at6native14lpnorm_cleanupIN3c108BFloat16ELNS0_8NormTypeE0ENS2_4HalfELb0EfEEvPKT3_NS0_19TensorListAddressesEi
		.amdhsa_group_segment_fixed_size 2048
		.amdhsa_private_segment_fixed_size 0
		.amdhsa_kernarg_size 3472
		.amdhsa_user_sgpr_count 2
		.amdhsa_user_sgpr_dispatch_ptr 0
		.amdhsa_user_sgpr_queue_ptr 0
		.amdhsa_user_sgpr_kernarg_segment_ptr 1
		.amdhsa_user_sgpr_dispatch_id 0
		.amdhsa_user_sgpr_kernarg_preload_length 0
		.amdhsa_user_sgpr_kernarg_preload_offset 0
		.amdhsa_user_sgpr_private_segment_size 0
		.amdhsa_uses_dynamic_stack 0
		.amdhsa_enable_private_segment 0
		.amdhsa_system_sgpr_workgroup_id_x 1
		.amdhsa_system_sgpr_workgroup_id_y 0
		.amdhsa_system_sgpr_workgroup_id_z 0
		.amdhsa_system_sgpr_workgroup_info 0
		.amdhsa_system_vgpr_workitem_id 0
		.amdhsa_next_free_vgpr 11
		.amdhsa_next_free_sgpr 16
		.amdhsa_accum_offset 12
		.amdhsa_reserve_vcc 1
		.amdhsa_float_round_mode_32 0
		.amdhsa_float_round_mode_16_64 0
		.amdhsa_float_denorm_mode_32 3
		.amdhsa_float_denorm_mode_16_64 3
		.amdhsa_dx10_clamp 1
		.amdhsa_ieee_mode 1
		.amdhsa_fp16_overflow 0
		.amdhsa_tg_split 0
		.amdhsa_exception_fp_ieee_invalid_op 0
		.amdhsa_exception_fp_denorm_src 0
		.amdhsa_exception_fp_ieee_div_zero 0
		.amdhsa_exception_fp_ieee_overflow 0
		.amdhsa_exception_fp_ieee_underflow 0
		.amdhsa_exception_fp_ieee_inexact 0
		.amdhsa_exception_int_div_zero 0
	.end_amdhsa_kernel
	.section	.text._ZN2at6native14lpnorm_cleanupIN3c108BFloat16ELNS0_8NormTypeE0ENS2_4HalfELb0EfEEvPKT3_NS0_19TensorListAddressesEi,"axG",@progbits,_ZN2at6native14lpnorm_cleanupIN3c108BFloat16ELNS0_8NormTypeE0ENS2_4HalfELb0EfEEvPKT3_NS0_19TensorListAddressesEi,comdat
.Lfunc_end190:
	.size	_ZN2at6native14lpnorm_cleanupIN3c108BFloat16ELNS0_8NormTypeE0ENS2_4HalfELb0EfEEvPKT3_NS0_19TensorListAddressesEi, .Lfunc_end190-_ZN2at6native14lpnorm_cleanupIN3c108BFloat16ELNS0_8NormTypeE0ENS2_4HalfELb0EfEEvPKT3_NS0_19TensorListAddressesEi
                                        ; -- End function
	.set _ZN2at6native14lpnorm_cleanupIN3c108BFloat16ELNS0_8NormTypeE0ENS2_4HalfELb0EfEEvPKT3_NS0_19TensorListAddressesEi.num_vgpr, 11
	.set _ZN2at6native14lpnorm_cleanupIN3c108BFloat16ELNS0_8NormTypeE0ENS2_4HalfELb0EfEEvPKT3_NS0_19TensorListAddressesEi.num_agpr, 0
	.set _ZN2at6native14lpnorm_cleanupIN3c108BFloat16ELNS0_8NormTypeE0ENS2_4HalfELb0EfEEvPKT3_NS0_19TensorListAddressesEi.numbered_sgpr, 16
	.set _ZN2at6native14lpnorm_cleanupIN3c108BFloat16ELNS0_8NormTypeE0ENS2_4HalfELb0EfEEvPKT3_NS0_19TensorListAddressesEi.num_named_barrier, 0
	.set _ZN2at6native14lpnorm_cleanupIN3c108BFloat16ELNS0_8NormTypeE0ENS2_4HalfELb0EfEEvPKT3_NS0_19TensorListAddressesEi.private_seg_size, 0
	.set _ZN2at6native14lpnorm_cleanupIN3c108BFloat16ELNS0_8NormTypeE0ENS2_4HalfELb0EfEEvPKT3_NS0_19TensorListAddressesEi.uses_vcc, 1
	.set _ZN2at6native14lpnorm_cleanupIN3c108BFloat16ELNS0_8NormTypeE0ENS2_4HalfELb0EfEEvPKT3_NS0_19TensorListAddressesEi.uses_flat_scratch, 0
	.set _ZN2at6native14lpnorm_cleanupIN3c108BFloat16ELNS0_8NormTypeE0ENS2_4HalfELb0EfEEvPKT3_NS0_19TensorListAddressesEi.has_dyn_sized_stack, 0
	.set _ZN2at6native14lpnorm_cleanupIN3c108BFloat16ELNS0_8NormTypeE0ENS2_4HalfELb0EfEEvPKT3_NS0_19TensorListAddressesEi.has_recursion, 0
	.set _ZN2at6native14lpnorm_cleanupIN3c108BFloat16ELNS0_8NormTypeE0ENS2_4HalfELb0EfEEvPKT3_NS0_19TensorListAddressesEi.has_indirect_call, 0
	.section	.AMDGPU.csdata,"",@progbits
; Kernel info:
; codeLenInByte = 664
; TotalNumSgprs: 22
; NumVgprs: 11
; NumAgprs: 0
; TotalNumVgprs: 11
; ScratchSize: 0
; MemoryBound: 0
; FloatMode: 240
; IeeeMode: 1
; LDSByteSize: 2048 bytes/workgroup (compile time only)
; SGPRBlocks: 2
; VGPRBlocks: 1
; NumSGPRsForWavesPerEU: 22
; NumVGPRsForWavesPerEU: 11
; AccumOffset: 12
; Occupancy: 8
; WaveLimiterHint : 0
; COMPUTE_PGM_RSRC2:SCRATCH_EN: 0
; COMPUTE_PGM_RSRC2:USER_SGPR: 2
; COMPUTE_PGM_RSRC2:TRAP_HANDLER: 0
; COMPUTE_PGM_RSRC2:TGID_X_EN: 1
; COMPUTE_PGM_RSRC2:TGID_Y_EN: 0
; COMPUTE_PGM_RSRC2:TGID_Z_EN: 0
; COMPUTE_PGM_RSRC2:TIDIG_COMP_CNT: 0
; COMPUTE_PGM_RSRC3_GFX90A:ACCUM_OFFSET: 2
; COMPUTE_PGM_RSRC3_GFX90A:TG_SPLIT: 0
	.section	.text._ZN2at6native14lpnorm_cleanupIN3c108BFloat16ELNS0_8NormTypeE1ENS2_4HalfELb0EfEEvPKT3_NS0_19TensorListAddressesEi,"axG",@progbits,_ZN2at6native14lpnorm_cleanupIN3c108BFloat16ELNS0_8NormTypeE1ENS2_4HalfELb0EfEEvPKT3_NS0_19TensorListAddressesEi,comdat
	.protected	_ZN2at6native14lpnorm_cleanupIN3c108BFloat16ELNS0_8NormTypeE1ENS2_4HalfELb0EfEEvPKT3_NS0_19TensorListAddressesEi ; -- Begin function _ZN2at6native14lpnorm_cleanupIN3c108BFloat16ELNS0_8NormTypeE1ENS2_4HalfELb0EfEEvPKT3_NS0_19TensorListAddressesEi
	.globl	_ZN2at6native14lpnorm_cleanupIN3c108BFloat16ELNS0_8NormTypeE1ENS2_4HalfELb0EfEEvPKT3_NS0_19TensorListAddressesEi
	.p2align	8
	.type	_ZN2at6native14lpnorm_cleanupIN3c108BFloat16ELNS0_8NormTypeE1ENS2_4HalfELb0EfEEvPKT3_NS0_19TensorListAddressesEi,@function
_ZN2at6native14lpnorm_cleanupIN3c108BFloat16ELNS0_8NormTypeE1ENS2_4HalfELb0EfEEvPKT3_NS0_19TensorListAddressesEi: ; @_ZN2at6native14lpnorm_cleanupIN3c108BFloat16ELNS0_8NormTypeE1ENS2_4HalfELb0EfEEvPKT3_NS0_19TensorListAddressesEi
; %bb.0:
	s_load_dword s6, s[0:1], 0xc88
	v_mov_b32_e32 v1, 0
	s_waitcnt lgkmcnt(0)
	v_cmp_gt_u32_e32 vcc, s6, v0
	s_and_saveexec_b64 s[4:5], vcc
	s_cbranch_execz .LBB191_4
; %bb.1:
	s_load_dwordx2 s[12:13], s[0:1], 0x0
	s_load_dword s3, s[0:1], 0xc9c
	s_mul_i32 s8, s6, s2
	s_mov_b32 s9, 0
	s_ashr_i32 s7, s6, 31
	s_lshl_b64 s[14:15], s[8:9], 2
	s_waitcnt lgkmcnt(0)
	s_and_b32 s10, s3, 0xffff
	v_mov_b32_e32 v1, 0
	s_add_u32 s12, s12, s14
	v_lshlrev_b32_e32 v2, 2, v0
	v_mov_b32_e32 v3, v1
	s_addc_u32 s13, s13, s15
	s_mov_b32 s11, s9
	v_lshl_add_u64 v[2:3], s[12:13], 0, v[2:3]
	s_lshl_b32 s8, s10, 2
	s_mov_b64 s[12:13], 0
	v_mov_b64_e32 v[4:5], v[0:1]
.LBB191_2:                              ; =>This Inner Loop Header: Depth=1
	global_load_dword v6, v[2:3], off
	v_lshl_add_u64 v[4:5], v[4:5], 0, s[10:11]
	v_cmp_le_u64_e32 vcc, s[6:7], v[4:5]
	v_lshl_add_u64 v[2:3], v[2:3], 0, s[8:9]
	s_or_b64 s[12:13], vcc, s[12:13]
	s_waitcnt vmcnt(0)
	v_add_f32_e32 v1, v1, v6
	s_andn2_b64 exec, exec, s[12:13]
	s_cbranch_execnz .LBB191_2
; %bb.3:
	s_or_b64 exec, exec, s[12:13]
.LBB191_4:
	s_or_b64 exec, exec, s[4:5]
	v_mbcnt_lo_u32_b32 v2, -1, 0
	v_mbcnt_hi_u32_b32 v6, -1, v2
	v_mov_b32_e32 v2, 0x80
	v_lshl_or_b32 v2, v6, 2, v2
	ds_bpermute_b32 v3, v2, v1
	v_and_b32_e32 v7, 63, v6
	v_cmp_gt_u32_e32 vcc, 48, v7
	s_waitcnt lgkmcnt(0)
	s_barrier
	v_cndmask_b32_e64 v4, 0, 16, vcc
	v_add_f32_e32 v5, v1, v3
	v_add_lshl_u32 v1, v4, v6, 2
	ds_bpermute_b32 v4, v1, v5
	v_cmp_gt_u32_e32 vcc, 56, v7
	s_waitcnt lgkmcnt(0)
	v_add_f32_e32 v5, v5, v4
	v_cndmask_b32_e64 v3, 0, 8, vcc
	v_add_lshl_u32 v3, v3, v6, 2
	ds_bpermute_b32 v8, v3, v5
	v_cmp_gt_u32_e32 vcc, 60, v7
	s_waitcnt lgkmcnt(0)
	v_add_f32_e32 v8, v5, v8
	v_cndmask_b32_e64 v4, 0, 4, vcc
	;; [unrolled: 6-line block ×3, first 2 shown]
	v_add_lshl_u32 v5, v5, v6, 2
	ds_bpermute_b32 v10, v5, v9
	v_cmp_ne_u32_e32 vcc, 63, v7
	v_and_b32_e32 v8, 63, v0
	s_waitcnt lgkmcnt(0)
	v_add_f32_e32 v7, v9, v10
	v_addc_co_u32_e32 v6, vcc, 0, v6, vcc
	v_lshlrev_b32_e32 v6, 2, v6
	ds_bpermute_b32 v9, v6, v7
	v_cmp_eq_u32_e32 vcc, 0, v8
	s_and_saveexec_b64 s[4:5], vcc
	s_cbranch_execz .LBB191_6
; %bb.5:
	s_waitcnt lgkmcnt(0)
	v_add_f32_e32 v7, v7, v9
	v_lshrrev_b32_e32 v9, 4, v0
	ds_write_b32 v9, v7
.LBB191_6:
	s_or_b64 exec, exec, s[4:5]
	s_waitcnt lgkmcnt(0)
	s_barrier
	s_load_dword s3, s[0:1], 0xc9c
	v_mov_b32_e32 v7, 0
	s_waitcnt lgkmcnt(0)
	s_bfe_u32 s3, s3, 0xa0006
	v_cmp_gt_u32_e32 vcc, s3, v0
	s_and_saveexec_b64 s[4:5], vcc
; %bb.7:
	v_lshlrev_b32_e32 v7, 2, v8
	ds_read_b32 v7, v7
; %bb.8:
	s_or_b64 exec, exec, s[4:5]
	v_cmp_gt_u32_e32 vcc, 64, v0
	s_and_saveexec_b64 s[4:5], vcc
	s_cbranch_execz .LBB191_10
; %bb.9:
	s_waitcnt lgkmcnt(0)
	ds_bpermute_b32 v2, v2, v7
	s_waitcnt lgkmcnt(0)
	v_add_f32_e32 v2, v7, v2
	ds_bpermute_b32 v1, v1, v2
	s_waitcnt lgkmcnt(0)
	v_add_f32_e32 v1, v2, v1
	;; [unrolled: 3-line block ×6, first 2 shown]
.LBB191_10:
	s_or_b64 exec, exec, s[4:5]
	s_mov_b32 s3, 0
	v_cmp_eq_u32_e32 vcc, 0, v0
	s_and_saveexec_b64 s[4:5], vcc
	s_cbranch_execz .LBB191_12
; %bb.11:
	s_lshl_b64 s[2:3], s[2:3], 3
	s_add_u32 s0, s0, s2
	s_addc_u32 s1, s1, s3
	s_load_dwordx2 s[0:1], s[0:1], 0x8
	s_waitcnt lgkmcnt(0)
	v_cvt_f16_f32_e32 v0, v7
	v_mov_b32_e32 v1, 0
	global_store_short v1, v0, s[0:1]
.LBB191_12:
	s_endpgm
	.section	.rodata,"a",@progbits
	.p2align	6, 0x0
	.amdhsa_kernel _ZN2at6native14lpnorm_cleanupIN3c108BFloat16ELNS0_8NormTypeE1ENS2_4HalfELb0EfEEvPKT3_NS0_19TensorListAddressesEi
		.amdhsa_group_segment_fixed_size 2048
		.amdhsa_private_segment_fixed_size 0
		.amdhsa_kernarg_size 3472
		.amdhsa_user_sgpr_count 2
		.amdhsa_user_sgpr_dispatch_ptr 0
		.amdhsa_user_sgpr_queue_ptr 0
		.amdhsa_user_sgpr_kernarg_segment_ptr 1
		.amdhsa_user_sgpr_dispatch_id 0
		.amdhsa_user_sgpr_kernarg_preload_length 0
		.amdhsa_user_sgpr_kernarg_preload_offset 0
		.amdhsa_user_sgpr_private_segment_size 0
		.amdhsa_uses_dynamic_stack 0
		.amdhsa_enable_private_segment 0
		.amdhsa_system_sgpr_workgroup_id_x 1
		.amdhsa_system_sgpr_workgroup_id_y 0
		.amdhsa_system_sgpr_workgroup_id_z 0
		.amdhsa_system_sgpr_workgroup_info 0
		.amdhsa_system_vgpr_workitem_id 0
		.amdhsa_next_free_vgpr 11
		.amdhsa_next_free_sgpr 16
		.amdhsa_accum_offset 12
		.amdhsa_reserve_vcc 1
		.amdhsa_float_round_mode_32 0
		.amdhsa_float_round_mode_16_64 0
		.amdhsa_float_denorm_mode_32 3
		.amdhsa_float_denorm_mode_16_64 3
		.amdhsa_dx10_clamp 1
		.amdhsa_ieee_mode 1
		.amdhsa_fp16_overflow 0
		.amdhsa_tg_split 0
		.amdhsa_exception_fp_ieee_invalid_op 0
		.amdhsa_exception_fp_denorm_src 0
		.amdhsa_exception_fp_ieee_div_zero 0
		.amdhsa_exception_fp_ieee_overflow 0
		.amdhsa_exception_fp_ieee_underflow 0
		.amdhsa_exception_fp_ieee_inexact 0
		.amdhsa_exception_int_div_zero 0
	.end_amdhsa_kernel
	.section	.text._ZN2at6native14lpnorm_cleanupIN3c108BFloat16ELNS0_8NormTypeE1ENS2_4HalfELb0EfEEvPKT3_NS0_19TensorListAddressesEi,"axG",@progbits,_ZN2at6native14lpnorm_cleanupIN3c108BFloat16ELNS0_8NormTypeE1ENS2_4HalfELb0EfEEvPKT3_NS0_19TensorListAddressesEi,comdat
.Lfunc_end191:
	.size	_ZN2at6native14lpnorm_cleanupIN3c108BFloat16ELNS0_8NormTypeE1ENS2_4HalfELb0EfEEvPKT3_NS0_19TensorListAddressesEi, .Lfunc_end191-_ZN2at6native14lpnorm_cleanupIN3c108BFloat16ELNS0_8NormTypeE1ENS2_4HalfELb0EfEEvPKT3_NS0_19TensorListAddressesEi
                                        ; -- End function
	.set _ZN2at6native14lpnorm_cleanupIN3c108BFloat16ELNS0_8NormTypeE1ENS2_4HalfELb0EfEEvPKT3_NS0_19TensorListAddressesEi.num_vgpr, 11
	.set _ZN2at6native14lpnorm_cleanupIN3c108BFloat16ELNS0_8NormTypeE1ENS2_4HalfELb0EfEEvPKT3_NS0_19TensorListAddressesEi.num_agpr, 0
	.set _ZN2at6native14lpnorm_cleanupIN3c108BFloat16ELNS0_8NormTypeE1ENS2_4HalfELb0EfEEvPKT3_NS0_19TensorListAddressesEi.numbered_sgpr, 16
	.set _ZN2at6native14lpnorm_cleanupIN3c108BFloat16ELNS0_8NormTypeE1ENS2_4HalfELb0EfEEvPKT3_NS0_19TensorListAddressesEi.num_named_barrier, 0
	.set _ZN2at6native14lpnorm_cleanupIN3c108BFloat16ELNS0_8NormTypeE1ENS2_4HalfELb0EfEEvPKT3_NS0_19TensorListAddressesEi.private_seg_size, 0
	.set _ZN2at6native14lpnorm_cleanupIN3c108BFloat16ELNS0_8NormTypeE1ENS2_4HalfELb0EfEEvPKT3_NS0_19TensorListAddressesEi.uses_vcc, 1
	.set _ZN2at6native14lpnorm_cleanupIN3c108BFloat16ELNS0_8NormTypeE1ENS2_4HalfELb0EfEEvPKT3_NS0_19TensorListAddressesEi.uses_flat_scratch, 0
	.set _ZN2at6native14lpnorm_cleanupIN3c108BFloat16ELNS0_8NormTypeE1ENS2_4HalfELb0EfEEvPKT3_NS0_19TensorListAddressesEi.has_dyn_sized_stack, 0
	.set _ZN2at6native14lpnorm_cleanupIN3c108BFloat16ELNS0_8NormTypeE1ENS2_4HalfELb0EfEEvPKT3_NS0_19TensorListAddressesEi.has_recursion, 0
	.set _ZN2at6native14lpnorm_cleanupIN3c108BFloat16ELNS0_8NormTypeE1ENS2_4HalfELb0EfEEvPKT3_NS0_19TensorListAddressesEi.has_indirect_call, 0
	.section	.AMDGPU.csdata,"",@progbits
; Kernel info:
; codeLenInByte = 664
; TotalNumSgprs: 22
; NumVgprs: 11
; NumAgprs: 0
; TotalNumVgprs: 11
; ScratchSize: 0
; MemoryBound: 0
; FloatMode: 240
; IeeeMode: 1
; LDSByteSize: 2048 bytes/workgroup (compile time only)
; SGPRBlocks: 2
; VGPRBlocks: 1
; NumSGPRsForWavesPerEU: 22
; NumVGPRsForWavesPerEU: 11
; AccumOffset: 12
; Occupancy: 8
; WaveLimiterHint : 0
; COMPUTE_PGM_RSRC2:SCRATCH_EN: 0
; COMPUTE_PGM_RSRC2:USER_SGPR: 2
; COMPUTE_PGM_RSRC2:TRAP_HANDLER: 0
; COMPUTE_PGM_RSRC2:TGID_X_EN: 1
; COMPUTE_PGM_RSRC2:TGID_Y_EN: 0
; COMPUTE_PGM_RSRC2:TGID_Z_EN: 0
; COMPUTE_PGM_RSRC2:TIDIG_COMP_CNT: 0
; COMPUTE_PGM_RSRC3_GFX90A:ACCUM_OFFSET: 2
; COMPUTE_PGM_RSRC3_GFX90A:TG_SPLIT: 0
	.section	.text._ZN2at6native14lpnorm_cleanupIN3c108BFloat16ELNS0_8NormTypeE2ENS2_4HalfELb0EfEEvPKT3_NS0_19TensorListAddressesEi,"axG",@progbits,_ZN2at6native14lpnorm_cleanupIN3c108BFloat16ELNS0_8NormTypeE2ENS2_4HalfELb0EfEEvPKT3_NS0_19TensorListAddressesEi,comdat
	.protected	_ZN2at6native14lpnorm_cleanupIN3c108BFloat16ELNS0_8NormTypeE2ENS2_4HalfELb0EfEEvPKT3_NS0_19TensorListAddressesEi ; -- Begin function _ZN2at6native14lpnorm_cleanupIN3c108BFloat16ELNS0_8NormTypeE2ENS2_4HalfELb0EfEEvPKT3_NS0_19TensorListAddressesEi
	.globl	_ZN2at6native14lpnorm_cleanupIN3c108BFloat16ELNS0_8NormTypeE2ENS2_4HalfELb0EfEEvPKT3_NS0_19TensorListAddressesEi
	.p2align	8
	.type	_ZN2at6native14lpnorm_cleanupIN3c108BFloat16ELNS0_8NormTypeE2ENS2_4HalfELb0EfEEvPKT3_NS0_19TensorListAddressesEi,@function
_ZN2at6native14lpnorm_cleanupIN3c108BFloat16ELNS0_8NormTypeE2ENS2_4HalfELb0EfEEvPKT3_NS0_19TensorListAddressesEi: ; @_ZN2at6native14lpnorm_cleanupIN3c108BFloat16ELNS0_8NormTypeE2ENS2_4HalfELb0EfEEvPKT3_NS0_19TensorListAddressesEi
; %bb.0:
	s_load_dword s6, s[0:1], 0xc88
	v_mov_b32_e32 v1, 0
	s_waitcnt lgkmcnt(0)
	v_cmp_gt_u32_e32 vcc, s6, v0
	s_and_saveexec_b64 s[4:5], vcc
	s_cbranch_execz .LBB192_4
; %bb.1:
	s_load_dwordx2 s[12:13], s[0:1], 0x0
	s_load_dword s3, s[0:1], 0xc9c
	s_mul_i32 s8, s6, s2
	s_mov_b32 s9, 0
	s_ashr_i32 s7, s6, 31
	s_lshl_b64 s[14:15], s[8:9], 2
	s_waitcnt lgkmcnt(0)
	s_and_b32 s10, s3, 0xffff
	v_mov_b32_e32 v1, 0
	s_add_u32 s12, s12, s14
	v_lshlrev_b32_e32 v2, 2, v0
	v_mov_b32_e32 v3, v1
	s_addc_u32 s13, s13, s15
	s_mov_b32 s11, s9
	v_lshl_add_u64 v[2:3], s[12:13], 0, v[2:3]
	s_lshl_b32 s8, s10, 2
	s_mov_b64 s[12:13], 0
	v_mov_b64_e32 v[4:5], v[0:1]
.LBB192_2:                              ; =>This Inner Loop Header: Depth=1
	global_load_dword v6, v[2:3], off
	v_lshl_add_u64 v[4:5], v[4:5], 0, s[10:11]
	v_cmp_le_u64_e32 vcc, s[6:7], v[4:5]
	v_lshl_add_u64 v[2:3], v[2:3], 0, s[8:9]
	s_or_b64 s[12:13], vcc, s[12:13]
	s_waitcnt vmcnt(0)
	v_add_f32_e32 v1, v1, v6
	s_andn2_b64 exec, exec, s[12:13]
	s_cbranch_execnz .LBB192_2
; %bb.3:
	s_or_b64 exec, exec, s[12:13]
.LBB192_4:
	s_or_b64 exec, exec, s[4:5]
	v_mbcnt_lo_u32_b32 v2, -1, 0
	v_mbcnt_hi_u32_b32 v6, -1, v2
	v_mov_b32_e32 v2, 0x80
	v_lshl_or_b32 v2, v6, 2, v2
	ds_bpermute_b32 v3, v2, v1
	v_and_b32_e32 v7, 63, v6
	v_cmp_gt_u32_e32 vcc, 48, v7
	s_waitcnt lgkmcnt(0)
	s_barrier
	v_cndmask_b32_e64 v4, 0, 16, vcc
	v_add_f32_e32 v5, v1, v3
	v_add_lshl_u32 v1, v4, v6, 2
	ds_bpermute_b32 v4, v1, v5
	v_cmp_gt_u32_e32 vcc, 56, v7
	s_waitcnt lgkmcnt(0)
	v_add_f32_e32 v5, v5, v4
	v_cndmask_b32_e64 v3, 0, 8, vcc
	v_add_lshl_u32 v3, v3, v6, 2
	ds_bpermute_b32 v8, v3, v5
	v_cmp_gt_u32_e32 vcc, 60, v7
	s_waitcnt lgkmcnt(0)
	v_add_f32_e32 v8, v5, v8
	v_cndmask_b32_e64 v4, 0, 4, vcc
	v_add_lshl_u32 v4, v4, v6, 2
	ds_bpermute_b32 v9, v4, v8
	v_cmp_gt_u32_e32 vcc, 62, v7
	s_waitcnt lgkmcnt(0)
	v_add_f32_e32 v9, v8, v9
	v_cndmask_b32_e64 v5, 0, 2, vcc
	v_add_lshl_u32 v5, v5, v6, 2
	ds_bpermute_b32 v10, v5, v9
	v_cmp_ne_u32_e32 vcc, 63, v7
	v_and_b32_e32 v8, 63, v0
	s_waitcnt lgkmcnt(0)
	v_add_f32_e32 v7, v9, v10
	v_addc_co_u32_e32 v6, vcc, 0, v6, vcc
	v_lshlrev_b32_e32 v6, 2, v6
	ds_bpermute_b32 v9, v6, v7
	v_cmp_eq_u32_e32 vcc, 0, v8
	s_and_saveexec_b64 s[4:5], vcc
	s_cbranch_execz .LBB192_6
; %bb.5:
	s_waitcnt lgkmcnt(0)
	v_add_f32_e32 v7, v7, v9
	v_lshrrev_b32_e32 v9, 4, v0
	ds_write_b32 v9, v7
.LBB192_6:
	s_or_b64 exec, exec, s[4:5]
	s_waitcnt lgkmcnt(0)
	s_barrier
	s_load_dword s3, s[0:1], 0xc9c
	v_mov_b32_e32 v7, 0
	s_waitcnt lgkmcnt(0)
	s_bfe_u32 s3, s3, 0xa0006
	v_cmp_gt_u32_e32 vcc, s3, v0
	s_and_saveexec_b64 s[4:5], vcc
; %bb.7:
	v_lshlrev_b32_e32 v7, 2, v8
	ds_read_b32 v7, v7
; %bb.8:
	s_or_b64 exec, exec, s[4:5]
	v_cmp_gt_u32_e32 vcc, 64, v0
	s_and_saveexec_b64 s[4:5], vcc
	s_cbranch_execz .LBB192_10
; %bb.9:
	s_waitcnt lgkmcnt(0)
	ds_bpermute_b32 v2, v2, v7
	s_waitcnt lgkmcnt(0)
	v_add_f32_e32 v2, v7, v2
	ds_bpermute_b32 v1, v1, v2
	s_waitcnt lgkmcnt(0)
	v_add_f32_e32 v1, v2, v1
	;; [unrolled: 3-line block ×6, first 2 shown]
.LBB192_10:
	s_or_b64 exec, exec, s[4:5]
	s_mov_b32 s3, 0
	v_cmp_eq_u32_e32 vcc, 0, v0
	s_and_saveexec_b64 s[4:5], vcc
	s_cbranch_execz .LBB192_12
; %bb.11:
	s_lshl_b64 s[2:3], s[2:3], 3
	s_add_u32 s0, s0, s2
	s_addc_u32 s1, s1, s3
	s_load_dwordx2 s[0:1], s[0:1], 0x8
	s_waitcnt lgkmcnt(0)
	v_cvt_f16_f32_e32 v0, v7
	v_mov_b32_e32 v1, 0
	global_store_short v1, v0, s[0:1]
.LBB192_12:
	s_endpgm
	.section	.rodata,"a",@progbits
	.p2align	6, 0x0
	.amdhsa_kernel _ZN2at6native14lpnorm_cleanupIN3c108BFloat16ELNS0_8NormTypeE2ENS2_4HalfELb0EfEEvPKT3_NS0_19TensorListAddressesEi
		.amdhsa_group_segment_fixed_size 2048
		.amdhsa_private_segment_fixed_size 0
		.amdhsa_kernarg_size 3472
		.amdhsa_user_sgpr_count 2
		.amdhsa_user_sgpr_dispatch_ptr 0
		.amdhsa_user_sgpr_queue_ptr 0
		.amdhsa_user_sgpr_kernarg_segment_ptr 1
		.amdhsa_user_sgpr_dispatch_id 0
		.amdhsa_user_sgpr_kernarg_preload_length 0
		.amdhsa_user_sgpr_kernarg_preload_offset 0
		.amdhsa_user_sgpr_private_segment_size 0
		.amdhsa_uses_dynamic_stack 0
		.amdhsa_enable_private_segment 0
		.amdhsa_system_sgpr_workgroup_id_x 1
		.amdhsa_system_sgpr_workgroup_id_y 0
		.amdhsa_system_sgpr_workgroup_id_z 0
		.amdhsa_system_sgpr_workgroup_info 0
		.amdhsa_system_vgpr_workitem_id 0
		.amdhsa_next_free_vgpr 11
		.amdhsa_next_free_sgpr 16
		.amdhsa_accum_offset 12
		.amdhsa_reserve_vcc 1
		.amdhsa_float_round_mode_32 0
		.amdhsa_float_round_mode_16_64 0
		.amdhsa_float_denorm_mode_32 3
		.amdhsa_float_denorm_mode_16_64 3
		.amdhsa_dx10_clamp 1
		.amdhsa_ieee_mode 1
		.amdhsa_fp16_overflow 0
		.amdhsa_tg_split 0
		.amdhsa_exception_fp_ieee_invalid_op 0
		.amdhsa_exception_fp_denorm_src 0
		.amdhsa_exception_fp_ieee_div_zero 0
		.amdhsa_exception_fp_ieee_overflow 0
		.amdhsa_exception_fp_ieee_underflow 0
		.amdhsa_exception_fp_ieee_inexact 0
		.amdhsa_exception_int_div_zero 0
	.end_amdhsa_kernel
	.section	.text._ZN2at6native14lpnorm_cleanupIN3c108BFloat16ELNS0_8NormTypeE2ENS2_4HalfELb0EfEEvPKT3_NS0_19TensorListAddressesEi,"axG",@progbits,_ZN2at6native14lpnorm_cleanupIN3c108BFloat16ELNS0_8NormTypeE2ENS2_4HalfELb0EfEEvPKT3_NS0_19TensorListAddressesEi,comdat
.Lfunc_end192:
	.size	_ZN2at6native14lpnorm_cleanupIN3c108BFloat16ELNS0_8NormTypeE2ENS2_4HalfELb0EfEEvPKT3_NS0_19TensorListAddressesEi, .Lfunc_end192-_ZN2at6native14lpnorm_cleanupIN3c108BFloat16ELNS0_8NormTypeE2ENS2_4HalfELb0EfEEvPKT3_NS0_19TensorListAddressesEi
                                        ; -- End function
	.set _ZN2at6native14lpnorm_cleanupIN3c108BFloat16ELNS0_8NormTypeE2ENS2_4HalfELb0EfEEvPKT3_NS0_19TensorListAddressesEi.num_vgpr, 11
	.set _ZN2at6native14lpnorm_cleanupIN3c108BFloat16ELNS0_8NormTypeE2ENS2_4HalfELb0EfEEvPKT3_NS0_19TensorListAddressesEi.num_agpr, 0
	.set _ZN2at6native14lpnorm_cleanupIN3c108BFloat16ELNS0_8NormTypeE2ENS2_4HalfELb0EfEEvPKT3_NS0_19TensorListAddressesEi.numbered_sgpr, 16
	.set _ZN2at6native14lpnorm_cleanupIN3c108BFloat16ELNS0_8NormTypeE2ENS2_4HalfELb0EfEEvPKT3_NS0_19TensorListAddressesEi.num_named_barrier, 0
	.set _ZN2at6native14lpnorm_cleanupIN3c108BFloat16ELNS0_8NormTypeE2ENS2_4HalfELb0EfEEvPKT3_NS0_19TensorListAddressesEi.private_seg_size, 0
	.set _ZN2at6native14lpnorm_cleanupIN3c108BFloat16ELNS0_8NormTypeE2ENS2_4HalfELb0EfEEvPKT3_NS0_19TensorListAddressesEi.uses_vcc, 1
	.set _ZN2at6native14lpnorm_cleanupIN3c108BFloat16ELNS0_8NormTypeE2ENS2_4HalfELb0EfEEvPKT3_NS0_19TensorListAddressesEi.uses_flat_scratch, 0
	.set _ZN2at6native14lpnorm_cleanupIN3c108BFloat16ELNS0_8NormTypeE2ENS2_4HalfELb0EfEEvPKT3_NS0_19TensorListAddressesEi.has_dyn_sized_stack, 0
	.set _ZN2at6native14lpnorm_cleanupIN3c108BFloat16ELNS0_8NormTypeE2ENS2_4HalfELb0EfEEvPKT3_NS0_19TensorListAddressesEi.has_recursion, 0
	.set _ZN2at6native14lpnorm_cleanupIN3c108BFloat16ELNS0_8NormTypeE2ENS2_4HalfELb0EfEEvPKT3_NS0_19TensorListAddressesEi.has_indirect_call, 0
	.section	.AMDGPU.csdata,"",@progbits
; Kernel info:
; codeLenInByte = 664
; TotalNumSgprs: 22
; NumVgprs: 11
; NumAgprs: 0
; TotalNumVgprs: 11
; ScratchSize: 0
; MemoryBound: 0
; FloatMode: 240
; IeeeMode: 1
; LDSByteSize: 2048 bytes/workgroup (compile time only)
; SGPRBlocks: 2
; VGPRBlocks: 1
; NumSGPRsForWavesPerEU: 22
; NumVGPRsForWavesPerEU: 11
; AccumOffset: 12
; Occupancy: 8
; WaveLimiterHint : 0
; COMPUTE_PGM_RSRC2:SCRATCH_EN: 0
; COMPUTE_PGM_RSRC2:USER_SGPR: 2
; COMPUTE_PGM_RSRC2:TRAP_HANDLER: 0
; COMPUTE_PGM_RSRC2:TGID_X_EN: 1
; COMPUTE_PGM_RSRC2:TGID_Y_EN: 0
; COMPUTE_PGM_RSRC2:TGID_Z_EN: 0
; COMPUTE_PGM_RSRC2:TIDIG_COMP_CNT: 0
; COMPUTE_PGM_RSRC3_GFX90A:ACCUM_OFFSET: 2
; COMPUTE_PGM_RSRC3_GFX90A:TG_SPLIT: 0
	.section	.text._ZN2at6native14lpnorm_cleanupIN3c108BFloat16ELNS0_8NormTypeE0ES3_Lb0EfEEvPKT3_NS0_19TensorListAddressesEi,"axG",@progbits,_ZN2at6native14lpnorm_cleanupIN3c108BFloat16ELNS0_8NormTypeE0ES3_Lb0EfEEvPKT3_NS0_19TensorListAddressesEi,comdat
	.protected	_ZN2at6native14lpnorm_cleanupIN3c108BFloat16ELNS0_8NormTypeE0ES3_Lb0EfEEvPKT3_NS0_19TensorListAddressesEi ; -- Begin function _ZN2at6native14lpnorm_cleanupIN3c108BFloat16ELNS0_8NormTypeE0ES3_Lb0EfEEvPKT3_NS0_19TensorListAddressesEi
	.globl	_ZN2at6native14lpnorm_cleanupIN3c108BFloat16ELNS0_8NormTypeE0ES3_Lb0EfEEvPKT3_NS0_19TensorListAddressesEi
	.p2align	8
	.type	_ZN2at6native14lpnorm_cleanupIN3c108BFloat16ELNS0_8NormTypeE0ES3_Lb0EfEEvPKT3_NS0_19TensorListAddressesEi,@function
_ZN2at6native14lpnorm_cleanupIN3c108BFloat16ELNS0_8NormTypeE0ES3_Lb0EfEEvPKT3_NS0_19TensorListAddressesEi: ; @_ZN2at6native14lpnorm_cleanupIN3c108BFloat16ELNS0_8NormTypeE0ES3_Lb0EfEEvPKT3_NS0_19TensorListAddressesEi
; %bb.0:
	s_load_dword s6, s[0:1], 0xc88
	v_mov_b32_e32 v1, 0
	s_waitcnt lgkmcnt(0)
	v_cmp_gt_u32_e32 vcc, s6, v0
	s_and_saveexec_b64 s[4:5], vcc
	s_cbranch_execz .LBB193_4
; %bb.1:
	s_load_dwordx2 s[12:13], s[0:1], 0x0
	s_load_dword s3, s[0:1], 0xc9c
	s_mul_i32 s8, s6, s2
	s_mov_b32 s9, 0
	s_ashr_i32 s7, s6, 31
	s_lshl_b64 s[14:15], s[8:9], 2
	s_waitcnt lgkmcnt(0)
	s_and_b32 s10, s3, 0xffff
	v_mov_b32_e32 v1, 0
	s_add_u32 s12, s12, s14
	v_lshlrev_b32_e32 v2, 2, v0
	v_mov_b32_e32 v3, v1
	s_addc_u32 s13, s13, s15
	s_mov_b32 s11, s9
	v_lshl_add_u64 v[2:3], s[12:13], 0, v[2:3]
	s_lshl_b32 s8, s10, 2
	s_mov_b64 s[12:13], 0
	v_mov_b64_e32 v[4:5], v[0:1]
.LBB193_2:                              ; =>This Inner Loop Header: Depth=1
	global_load_dword v6, v[2:3], off
	v_lshl_add_u64 v[4:5], v[4:5], 0, s[10:11]
	v_cmp_le_u64_e32 vcc, s[6:7], v[4:5]
	v_lshl_add_u64 v[2:3], v[2:3], 0, s[8:9]
	s_or_b64 s[12:13], vcc, s[12:13]
	s_waitcnt vmcnt(0)
	v_add_f32_e32 v1, v1, v6
	s_andn2_b64 exec, exec, s[12:13]
	s_cbranch_execnz .LBB193_2
; %bb.3:
	s_or_b64 exec, exec, s[12:13]
.LBB193_4:
	s_or_b64 exec, exec, s[4:5]
	v_mbcnt_lo_u32_b32 v2, -1, 0
	v_mbcnt_hi_u32_b32 v6, -1, v2
	v_mov_b32_e32 v2, 0x80
	v_lshl_or_b32 v2, v6, 2, v2
	ds_bpermute_b32 v3, v2, v1
	v_and_b32_e32 v7, 63, v6
	v_cmp_gt_u32_e32 vcc, 48, v7
	s_waitcnt lgkmcnt(0)
	s_barrier
	v_cndmask_b32_e64 v4, 0, 16, vcc
	v_add_f32_e32 v5, v1, v3
	v_add_lshl_u32 v1, v4, v6, 2
	ds_bpermute_b32 v4, v1, v5
	v_cmp_gt_u32_e32 vcc, 56, v7
	s_waitcnt lgkmcnt(0)
	v_add_f32_e32 v5, v5, v4
	v_cndmask_b32_e64 v3, 0, 8, vcc
	v_add_lshl_u32 v3, v3, v6, 2
	ds_bpermute_b32 v8, v3, v5
	v_cmp_gt_u32_e32 vcc, 60, v7
	s_waitcnt lgkmcnt(0)
	v_add_f32_e32 v8, v5, v8
	v_cndmask_b32_e64 v4, 0, 4, vcc
	;; [unrolled: 6-line block ×3, first 2 shown]
	v_add_lshl_u32 v5, v5, v6, 2
	ds_bpermute_b32 v10, v5, v9
	v_cmp_ne_u32_e32 vcc, 63, v7
	v_and_b32_e32 v8, 63, v0
	s_waitcnt lgkmcnt(0)
	v_add_f32_e32 v7, v9, v10
	v_addc_co_u32_e32 v6, vcc, 0, v6, vcc
	v_lshlrev_b32_e32 v6, 2, v6
	ds_bpermute_b32 v9, v6, v7
	v_cmp_eq_u32_e32 vcc, 0, v8
	s_and_saveexec_b64 s[4:5], vcc
	s_cbranch_execz .LBB193_6
; %bb.5:
	s_waitcnt lgkmcnt(0)
	v_add_f32_e32 v7, v7, v9
	v_lshrrev_b32_e32 v9, 4, v0
	ds_write_b32 v9, v7
.LBB193_6:
	s_or_b64 exec, exec, s[4:5]
	s_waitcnt lgkmcnt(0)
	s_barrier
	s_load_dword s3, s[0:1], 0xc9c
	v_mov_b32_e32 v7, 0
	s_waitcnt lgkmcnt(0)
	s_bfe_u32 s3, s3, 0xa0006
	v_cmp_gt_u32_e32 vcc, s3, v0
	s_and_saveexec_b64 s[4:5], vcc
; %bb.7:
	v_lshlrev_b32_e32 v7, 2, v8
	ds_read_b32 v7, v7
; %bb.8:
	s_or_b64 exec, exec, s[4:5]
	v_cmp_gt_u32_e32 vcc, 64, v0
	s_and_saveexec_b64 s[4:5], vcc
	s_cbranch_execz .LBB193_10
; %bb.9:
	s_waitcnt lgkmcnt(0)
	ds_bpermute_b32 v2, v2, v7
	s_waitcnt lgkmcnt(0)
	v_add_f32_e32 v2, v7, v2
	ds_bpermute_b32 v1, v1, v2
	s_waitcnt lgkmcnt(0)
	v_add_f32_e32 v1, v2, v1
	;; [unrolled: 3-line block ×6, first 2 shown]
.LBB193_10:
	s_or_b64 exec, exec, s[4:5]
	s_mov_b32 s3, 0
	v_cmp_eq_u32_e32 vcc, 0, v0
	s_and_saveexec_b64 s[4:5], vcc
	s_cbranch_execz .LBB193_12
; %bb.11:
	s_lshl_b64 s[2:3], s[2:3], 3
	s_add_u32 s0, s0, s2
	s_addc_u32 s1, s1, s3
	s_load_dwordx2 s[0:1], s[0:1], 0x8
	s_waitcnt lgkmcnt(0)
	v_bfe_u32 v0, v7, 16, 1
	s_movk_i32 s4, 0x7fff
	v_add3_u32 v0, v7, v0, s4
	v_cmp_o_f32_e32 vcc, v7, v7
	v_mov_b32_e32 v1, 0x7fc0
	s_nop 0
	v_cndmask_b32_sdwa v0, v1, v0, vcc dst_sel:DWORD dst_unused:UNUSED_PAD src0_sel:DWORD src1_sel:WORD_1
	v_mov_b32_e32 v1, 0
	global_store_short v1, v0, s[0:1]
.LBB193_12:
	s_endpgm
	.section	.rodata,"a",@progbits
	.p2align	6, 0x0
	.amdhsa_kernel _ZN2at6native14lpnorm_cleanupIN3c108BFloat16ELNS0_8NormTypeE0ES3_Lb0EfEEvPKT3_NS0_19TensorListAddressesEi
		.amdhsa_group_segment_fixed_size 2048
		.amdhsa_private_segment_fixed_size 0
		.amdhsa_kernarg_size 3472
		.amdhsa_user_sgpr_count 2
		.amdhsa_user_sgpr_dispatch_ptr 0
		.amdhsa_user_sgpr_queue_ptr 0
		.amdhsa_user_sgpr_kernarg_segment_ptr 1
		.amdhsa_user_sgpr_dispatch_id 0
		.amdhsa_user_sgpr_kernarg_preload_length 0
		.amdhsa_user_sgpr_kernarg_preload_offset 0
		.amdhsa_user_sgpr_private_segment_size 0
		.amdhsa_uses_dynamic_stack 0
		.amdhsa_enable_private_segment 0
		.amdhsa_system_sgpr_workgroup_id_x 1
		.amdhsa_system_sgpr_workgroup_id_y 0
		.amdhsa_system_sgpr_workgroup_id_z 0
		.amdhsa_system_sgpr_workgroup_info 0
		.amdhsa_system_vgpr_workitem_id 0
		.amdhsa_next_free_vgpr 11
		.amdhsa_next_free_sgpr 16
		.amdhsa_accum_offset 12
		.amdhsa_reserve_vcc 1
		.amdhsa_float_round_mode_32 0
		.amdhsa_float_round_mode_16_64 0
		.amdhsa_float_denorm_mode_32 3
		.amdhsa_float_denorm_mode_16_64 3
		.amdhsa_dx10_clamp 1
		.amdhsa_ieee_mode 1
		.amdhsa_fp16_overflow 0
		.amdhsa_tg_split 0
		.amdhsa_exception_fp_ieee_invalid_op 0
		.amdhsa_exception_fp_denorm_src 0
		.amdhsa_exception_fp_ieee_div_zero 0
		.amdhsa_exception_fp_ieee_overflow 0
		.amdhsa_exception_fp_ieee_underflow 0
		.amdhsa_exception_fp_ieee_inexact 0
		.amdhsa_exception_int_div_zero 0
	.end_amdhsa_kernel
	.section	.text._ZN2at6native14lpnorm_cleanupIN3c108BFloat16ELNS0_8NormTypeE0ES3_Lb0EfEEvPKT3_NS0_19TensorListAddressesEi,"axG",@progbits,_ZN2at6native14lpnorm_cleanupIN3c108BFloat16ELNS0_8NormTypeE0ES3_Lb0EfEEvPKT3_NS0_19TensorListAddressesEi,comdat
.Lfunc_end193:
	.size	_ZN2at6native14lpnorm_cleanupIN3c108BFloat16ELNS0_8NormTypeE0ES3_Lb0EfEEvPKT3_NS0_19TensorListAddressesEi, .Lfunc_end193-_ZN2at6native14lpnorm_cleanupIN3c108BFloat16ELNS0_8NormTypeE0ES3_Lb0EfEEvPKT3_NS0_19TensorListAddressesEi
                                        ; -- End function
	.set _ZN2at6native14lpnorm_cleanupIN3c108BFloat16ELNS0_8NormTypeE0ES3_Lb0EfEEvPKT3_NS0_19TensorListAddressesEi.num_vgpr, 11
	.set _ZN2at6native14lpnorm_cleanupIN3c108BFloat16ELNS0_8NormTypeE0ES3_Lb0EfEEvPKT3_NS0_19TensorListAddressesEi.num_agpr, 0
	.set _ZN2at6native14lpnorm_cleanupIN3c108BFloat16ELNS0_8NormTypeE0ES3_Lb0EfEEvPKT3_NS0_19TensorListAddressesEi.numbered_sgpr, 16
	.set _ZN2at6native14lpnorm_cleanupIN3c108BFloat16ELNS0_8NormTypeE0ES3_Lb0EfEEvPKT3_NS0_19TensorListAddressesEi.num_named_barrier, 0
	.set _ZN2at6native14lpnorm_cleanupIN3c108BFloat16ELNS0_8NormTypeE0ES3_Lb0EfEEvPKT3_NS0_19TensorListAddressesEi.private_seg_size, 0
	.set _ZN2at6native14lpnorm_cleanupIN3c108BFloat16ELNS0_8NormTypeE0ES3_Lb0EfEEvPKT3_NS0_19TensorListAddressesEi.uses_vcc, 1
	.set _ZN2at6native14lpnorm_cleanupIN3c108BFloat16ELNS0_8NormTypeE0ES3_Lb0EfEEvPKT3_NS0_19TensorListAddressesEi.uses_flat_scratch, 0
	.set _ZN2at6native14lpnorm_cleanupIN3c108BFloat16ELNS0_8NormTypeE0ES3_Lb0EfEEvPKT3_NS0_19TensorListAddressesEi.has_dyn_sized_stack, 0
	.set _ZN2at6native14lpnorm_cleanupIN3c108BFloat16ELNS0_8NormTypeE0ES3_Lb0EfEEvPKT3_NS0_19TensorListAddressesEi.has_recursion, 0
	.set _ZN2at6native14lpnorm_cleanupIN3c108BFloat16ELNS0_8NormTypeE0ES3_Lb0EfEEvPKT3_NS0_19TensorListAddressesEi.has_indirect_call, 0
	.section	.AMDGPU.csdata,"",@progbits
; Kernel info:
; codeLenInByte = 704
; TotalNumSgprs: 22
; NumVgprs: 11
; NumAgprs: 0
; TotalNumVgprs: 11
; ScratchSize: 0
; MemoryBound: 0
; FloatMode: 240
; IeeeMode: 1
; LDSByteSize: 2048 bytes/workgroup (compile time only)
; SGPRBlocks: 2
; VGPRBlocks: 1
; NumSGPRsForWavesPerEU: 22
; NumVGPRsForWavesPerEU: 11
; AccumOffset: 12
; Occupancy: 8
; WaveLimiterHint : 0
; COMPUTE_PGM_RSRC2:SCRATCH_EN: 0
; COMPUTE_PGM_RSRC2:USER_SGPR: 2
; COMPUTE_PGM_RSRC2:TRAP_HANDLER: 0
; COMPUTE_PGM_RSRC2:TGID_X_EN: 1
; COMPUTE_PGM_RSRC2:TGID_Y_EN: 0
; COMPUTE_PGM_RSRC2:TGID_Z_EN: 0
; COMPUTE_PGM_RSRC2:TIDIG_COMP_CNT: 0
; COMPUTE_PGM_RSRC3_GFX90A:ACCUM_OFFSET: 2
; COMPUTE_PGM_RSRC3_GFX90A:TG_SPLIT: 0
	.section	.text._ZN2at6native14lpnorm_cleanupIN3c108BFloat16ELNS0_8NormTypeE1ES3_Lb0EfEEvPKT3_NS0_19TensorListAddressesEi,"axG",@progbits,_ZN2at6native14lpnorm_cleanupIN3c108BFloat16ELNS0_8NormTypeE1ES3_Lb0EfEEvPKT3_NS0_19TensorListAddressesEi,comdat
	.protected	_ZN2at6native14lpnorm_cleanupIN3c108BFloat16ELNS0_8NormTypeE1ES3_Lb0EfEEvPKT3_NS0_19TensorListAddressesEi ; -- Begin function _ZN2at6native14lpnorm_cleanupIN3c108BFloat16ELNS0_8NormTypeE1ES3_Lb0EfEEvPKT3_NS0_19TensorListAddressesEi
	.globl	_ZN2at6native14lpnorm_cleanupIN3c108BFloat16ELNS0_8NormTypeE1ES3_Lb0EfEEvPKT3_NS0_19TensorListAddressesEi
	.p2align	8
	.type	_ZN2at6native14lpnorm_cleanupIN3c108BFloat16ELNS0_8NormTypeE1ES3_Lb0EfEEvPKT3_NS0_19TensorListAddressesEi,@function
_ZN2at6native14lpnorm_cleanupIN3c108BFloat16ELNS0_8NormTypeE1ES3_Lb0EfEEvPKT3_NS0_19TensorListAddressesEi: ; @_ZN2at6native14lpnorm_cleanupIN3c108BFloat16ELNS0_8NormTypeE1ES3_Lb0EfEEvPKT3_NS0_19TensorListAddressesEi
; %bb.0:
	s_load_dword s6, s[0:1], 0xc88
	v_mov_b32_e32 v1, 0
	s_waitcnt lgkmcnt(0)
	v_cmp_gt_u32_e32 vcc, s6, v0
	s_and_saveexec_b64 s[4:5], vcc
	s_cbranch_execz .LBB194_4
; %bb.1:
	s_load_dwordx2 s[12:13], s[0:1], 0x0
	s_load_dword s3, s[0:1], 0xc9c
	s_mul_i32 s8, s6, s2
	s_mov_b32 s9, 0
	s_ashr_i32 s7, s6, 31
	s_lshl_b64 s[14:15], s[8:9], 2
	s_waitcnt lgkmcnt(0)
	s_and_b32 s10, s3, 0xffff
	v_mov_b32_e32 v1, 0
	s_add_u32 s12, s12, s14
	v_lshlrev_b32_e32 v2, 2, v0
	v_mov_b32_e32 v3, v1
	s_addc_u32 s13, s13, s15
	s_mov_b32 s11, s9
	v_lshl_add_u64 v[2:3], s[12:13], 0, v[2:3]
	s_lshl_b32 s8, s10, 2
	s_mov_b64 s[12:13], 0
	v_mov_b64_e32 v[4:5], v[0:1]
.LBB194_2:                              ; =>This Inner Loop Header: Depth=1
	global_load_dword v6, v[2:3], off
	v_lshl_add_u64 v[4:5], v[4:5], 0, s[10:11]
	v_cmp_le_u64_e32 vcc, s[6:7], v[4:5]
	v_lshl_add_u64 v[2:3], v[2:3], 0, s[8:9]
	s_or_b64 s[12:13], vcc, s[12:13]
	s_waitcnt vmcnt(0)
	v_add_f32_e32 v1, v1, v6
	s_andn2_b64 exec, exec, s[12:13]
	s_cbranch_execnz .LBB194_2
; %bb.3:
	s_or_b64 exec, exec, s[12:13]
.LBB194_4:
	s_or_b64 exec, exec, s[4:5]
	v_mbcnt_lo_u32_b32 v2, -1, 0
	v_mbcnt_hi_u32_b32 v6, -1, v2
	v_mov_b32_e32 v2, 0x80
	v_lshl_or_b32 v2, v6, 2, v2
	ds_bpermute_b32 v3, v2, v1
	v_and_b32_e32 v7, 63, v6
	v_cmp_gt_u32_e32 vcc, 48, v7
	s_waitcnt lgkmcnt(0)
	s_barrier
	v_cndmask_b32_e64 v4, 0, 16, vcc
	v_add_f32_e32 v5, v1, v3
	v_add_lshl_u32 v1, v4, v6, 2
	ds_bpermute_b32 v4, v1, v5
	v_cmp_gt_u32_e32 vcc, 56, v7
	s_waitcnt lgkmcnt(0)
	v_add_f32_e32 v5, v5, v4
	v_cndmask_b32_e64 v3, 0, 8, vcc
	v_add_lshl_u32 v3, v3, v6, 2
	ds_bpermute_b32 v8, v3, v5
	v_cmp_gt_u32_e32 vcc, 60, v7
	s_waitcnt lgkmcnt(0)
	v_add_f32_e32 v8, v5, v8
	v_cndmask_b32_e64 v4, 0, 4, vcc
	v_add_lshl_u32 v4, v4, v6, 2
	ds_bpermute_b32 v9, v4, v8
	v_cmp_gt_u32_e32 vcc, 62, v7
	s_waitcnt lgkmcnt(0)
	v_add_f32_e32 v9, v8, v9
	v_cndmask_b32_e64 v5, 0, 2, vcc
	v_add_lshl_u32 v5, v5, v6, 2
	ds_bpermute_b32 v10, v5, v9
	v_cmp_ne_u32_e32 vcc, 63, v7
	v_and_b32_e32 v8, 63, v0
	s_waitcnt lgkmcnt(0)
	v_add_f32_e32 v7, v9, v10
	v_addc_co_u32_e32 v6, vcc, 0, v6, vcc
	v_lshlrev_b32_e32 v6, 2, v6
	ds_bpermute_b32 v9, v6, v7
	v_cmp_eq_u32_e32 vcc, 0, v8
	s_and_saveexec_b64 s[4:5], vcc
	s_cbranch_execz .LBB194_6
; %bb.5:
	s_waitcnt lgkmcnt(0)
	v_add_f32_e32 v7, v7, v9
	v_lshrrev_b32_e32 v9, 4, v0
	ds_write_b32 v9, v7
.LBB194_6:
	s_or_b64 exec, exec, s[4:5]
	s_waitcnt lgkmcnt(0)
	s_barrier
	s_load_dword s3, s[0:1], 0xc9c
	v_mov_b32_e32 v7, 0
	s_waitcnt lgkmcnt(0)
	s_bfe_u32 s3, s3, 0xa0006
	v_cmp_gt_u32_e32 vcc, s3, v0
	s_and_saveexec_b64 s[4:5], vcc
; %bb.7:
	v_lshlrev_b32_e32 v7, 2, v8
	ds_read_b32 v7, v7
; %bb.8:
	s_or_b64 exec, exec, s[4:5]
	v_cmp_gt_u32_e32 vcc, 64, v0
	s_and_saveexec_b64 s[4:5], vcc
	s_cbranch_execz .LBB194_10
; %bb.9:
	s_waitcnt lgkmcnt(0)
	ds_bpermute_b32 v2, v2, v7
	s_waitcnt lgkmcnt(0)
	v_add_f32_e32 v2, v7, v2
	ds_bpermute_b32 v1, v1, v2
	s_waitcnt lgkmcnt(0)
	v_add_f32_e32 v1, v2, v1
	;; [unrolled: 3-line block ×6, first 2 shown]
.LBB194_10:
	s_or_b64 exec, exec, s[4:5]
	s_mov_b32 s3, 0
	v_cmp_eq_u32_e32 vcc, 0, v0
	s_and_saveexec_b64 s[4:5], vcc
	s_cbranch_execz .LBB194_12
; %bb.11:
	s_lshl_b64 s[2:3], s[2:3], 3
	s_add_u32 s0, s0, s2
	s_addc_u32 s1, s1, s3
	s_load_dwordx2 s[0:1], s[0:1], 0x8
	s_waitcnt lgkmcnt(0)
	v_bfe_u32 v0, v7, 16, 1
	s_movk_i32 s4, 0x7fff
	v_add3_u32 v0, v7, v0, s4
	v_cmp_o_f32_e32 vcc, v7, v7
	v_mov_b32_e32 v1, 0x7fc0
	s_nop 0
	v_cndmask_b32_sdwa v0, v1, v0, vcc dst_sel:DWORD dst_unused:UNUSED_PAD src0_sel:DWORD src1_sel:WORD_1
	v_mov_b32_e32 v1, 0
	global_store_short v1, v0, s[0:1]
.LBB194_12:
	s_endpgm
	.section	.rodata,"a",@progbits
	.p2align	6, 0x0
	.amdhsa_kernel _ZN2at6native14lpnorm_cleanupIN3c108BFloat16ELNS0_8NormTypeE1ES3_Lb0EfEEvPKT3_NS0_19TensorListAddressesEi
		.amdhsa_group_segment_fixed_size 2048
		.amdhsa_private_segment_fixed_size 0
		.amdhsa_kernarg_size 3472
		.amdhsa_user_sgpr_count 2
		.amdhsa_user_sgpr_dispatch_ptr 0
		.amdhsa_user_sgpr_queue_ptr 0
		.amdhsa_user_sgpr_kernarg_segment_ptr 1
		.amdhsa_user_sgpr_dispatch_id 0
		.amdhsa_user_sgpr_kernarg_preload_length 0
		.amdhsa_user_sgpr_kernarg_preload_offset 0
		.amdhsa_user_sgpr_private_segment_size 0
		.amdhsa_uses_dynamic_stack 0
		.amdhsa_enable_private_segment 0
		.amdhsa_system_sgpr_workgroup_id_x 1
		.amdhsa_system_sgpr_workgroup_id_y 0
		.amdhsa_system_sgpr_workgroup_id_z 0
		.amdhsa_system_sgpr_workgroup_info 0
		.amdhsa_system_vgpr_workitem_id 0
		.amdhsa_next_free_vgpr 11
		.amdhsa_next_free_sgpr 16
		.amdhsa_accum_offset 12
		.amdhsa_reserve_vcc 1
		.amdhsa_float_round_mode_32 0
		.amdhsa_float_round_mode_16_64 0
		.amdhsa_float_denorm_mode_32 3
		.amdhsa_float_denorm_mode_16_64 3
		.amdhsa_dx10_clamp 1
		.amdhsa_ieee_mode 1
		.amdhsa_fp16_overflow 0
		.amdhsa_tg_split 0
		.amdhsa_exception_fp_ieee_invalid_op 0
		.amdhsa_exception_fp_denorm_src 0
		.amdhsa_exception_fp_ieee_div_zero 0
		.amdhsa_exception_fp_ieee_overflow 0
		.amdhsa_exception_fp_ieee_underflow 0
		.amdhsa_exception_fp_ieee_inexact 0
		.amdhsa_exception_int_div_zero 0
	.end_amdhsa_kernel
	.section	.text._ZN2at6native14lpnorm_cleanupIN3c108BFloat16ELNS0_8NormTypeE1ES3_Lb0EfEEvPKT3_NS0_19TensorListAddressesEi,"axG",@progbits,_ZN2at6native14lpnorm_cleanupIN3c108BFloat16ELNS0_8NormTypeE1ES3_Lb0EfEEvPKT3_NS0_19TensorListAddressesEi,comdat
.Lfunc_end194:
	.size	_ZN2at6native14lpnorm_cleanupIN3c108BFloat16ELNS0_8NormTypeE1ES3_Lb0EfEEvPKT3_NS0_19TensorListAddressesEi, .Lfunc_end194-_ZN2at6native14lpnorm_cleanupIN3c108BFloat16ELNS0_8NormTypeE1ES3_Lb0EfEEvPKT3_NS0_19TensorListAddressesEi
                                        ; -- End function
	.set _ZN2at6native14lpnorm_cleanupIN3c108BFloat16ELNS0_8NormTypeE1ES3_Lb0EfEEvPKT3_NS0_19TensorListAddressesEi.num_vgpr, 11
	.set _ZN2at6native14lpnorm_cleanupIN3c108BFloat16ELNS0_8NormTypeE1ES3_Lb0EfEEvPKT3_NS0_19TensorListAddressesEi.num_agpr, 0
	.set _ZN2at6native14lpnorm_cleanupIN3c108BFloat16ELNS0_8NormTypeE1ES3_Lb0EfEEvPKT3_NS0_19TensorListAddressesEi.numbered_sgpr, 16
	.set _ZN2at6native14lpnorm_cleanupIN3c108BFloat16ELNS0_8NormTypeE1ES3_Lb0EfEEvPKT3_NS0_19TensorListAddressesEi.num_named_barrier, 0
	.set _ZN2at6native14lpnorm_cleanupIN3c108BFloat16ELNS0_8NormTypeE1ES3_Lb0EfEEvPKT3_NS0_19TensorListAddressesEi.private_seg_size, 0
	.set _ZN2at6native14lpnorm_cleanupIN3c108BFloat16ELNS0_8NormTypeE1ES3_Lb0EfEEvPKT3_NS0_19TensorListAddressesEi.uses_vcc, 1
	.set _ZN2at6native14lpnorm_cleanupIN3c108BFloat16ELNS0_8NormTypeE1ES3_Lb0EfEEvPKT3_NS0_19TensorListAddressesEi.uses_flat_scratch, 0
	.set _ZN2at6native14lpnorm_cleanupIN3c108BFloat16ELNS0_8NormTypeE1ES3_Lb0EfEEvPKT3_NS0_19TensorListAddressesEi.has_dyn_sized_stack, 0
	.set _ZN2at6native14lpnorm_cleanupIN3c108BFloat16ELNS0_8NormTypeE1ES3_Lb0EfEEvPKT3_NS0_19TensorListAddressesEi.has_recursion, 0
	.set _ZN2at6native14lpnorm_cleanupIN3c108BFloat16ELNS0_8NormTypeE1ES3_Lb0EfEEvPKT3_NS0_19TensorListAddressesEi.has_indirect_call, 0
	.section	.AMDGPU.csdata,"",@progbits
; Kernel info:
; codeLenInByte = 704
; TotalNumSgprs: 22
; NumVgprs: 11
; NumAgprs: 0
; TotalNumVgprs: 11
; ScratchSize: 0
; MemoryBound: 0
; FloatMode: 240
; IeeeMode: 1
; LDSByteSize: 2048 bytes/workgroup (compile time only)
; SGPRBlocks: 2
; VGPRBlocks: 1
; NumSGPRsForWavesPerEU: 22
; NumVGPRsForWavesPerEU: 11
; AccumOffset: 12
; Occupancy: 8
; WaveLimiterHint : 0
; COMPUTE_PGM_RSRC2:SCRATCH_EN: 0
; COMPUTE_PGM_RSRC2:USER_SGPR: 2
; COMPUTE_PGM_RSRC2:TRAP_HANDLER: 0
; COMPUTE_PGM_RSRC2:TGID_X_EN: 1
; COMPUTE_PGM_RSRC2:TGID_Y_EN: 0
; COMPUTE_PGM_RSRC2:TGID_Z_EN: 0
; COMPUTE_PGM_RSRC2:TIDIG_COMP_CNT: 0
; COMPUTE_PGM_RSRC3_GFX90A:ACCUM_OFFSET: 2
; COMPUTE_PGM_RSRC3_GFX90A:TG_SPLIT: 0
	.section	.text._ZN2at6native14lpnorm_cleanupIN3c108BFloat16ELNS0_8NormTypeE2ES3_Lb0EfEEvPKT3_NS0_19TensorListAddressesEi,"axG",@progbits,_ZN2at6native14lpnorm_cleanupIN3c108BFloat16ELNS0_8NormTypeE2ES3_Lb0EfEEvPKT3_NS0_19TensorListAddressesEi,comdat
	.protected	_ZN2at6native14lpnorm_cleanupIN3c108BFloat16ELNS0_8NormTypeE2ES3_Lb0EfEEvPKT3_NS0_19TensorListAddressesEi ; -- Begin function _ZN2at6native14lpnorm_cleanupIN3c108BFloat16ELNS0_8NormTypeE2ES3_Lb0EfEEvPKT3_NS0_19TensorListAddressesEi
	.globl	_ZN2at6native14lpnorm_cleanupIN3c108BFloat16ELNS0_8NormTypeE2ES3_Lb0EfEEvPKT3_NS0_19TensorListAddressesEi
	.p2align	8
	.type	_ZN2at6native14lpnorm_cleanupIN3c108BFloat16ELNS0_8NormTypeE2ES3_Lb0EfEEvPKT3_NS0_19TensorListAddressesEi,@function
_ZN2at6native14lpnorm_cleanupIN3c108BFloat16ELNS0_8NormTypeE2ES3_Lb0EfEEvPKT3_NS0_19TensorListAddressesEi: ; @_ZN2at6native14lpnorm_cleanupIN3c108BFloat16ELNS0_8NormTypeE2ES3_Lb0EfEEvPKT3_NS0_19TensorListAddressesEi
; %bb.0:
	s_load_dword s6, s[0:1], 0xc88
	v_mov_b32_e32 v1, 0
	s_waitcnt lgkmcnt(0)
	v_cmp_gt_u32_e32 vcc, s6, v0
	s_and_saveexec_b64 s[4:5], vcc
	s_cbranch_execz .LBB195_4
; %bb.1:
	s_load_dwordx2 s[12:13], s[0:1], 0x0
	s_load_dword s3, s[0:1], 0xc9c
	s_mul_i32 s8, s6, s2
	s_mov_b32 s9, 0
	s_ashr_i32 s7, s6, 31
	s_lshl_b64 s[14:15], s[8:9], 2
	s_waitcnt lgkmcnt(0)
	s_and_b32 s10, s3, 0xffff
	v_mov_b32_e32 v1, 0
	s_add_u32 s12, s12, s14
	v_lshlrev_b32_e32 v2, 2, v0
	v_mov_b32_e32 v3, v1
	s_addc_u32 s13, s13, s15
	s_mov_b32 s11, s9
	v_lshl_add_u64 v[2:3], s[12:13], 0, v[2:3]
	s_lshl_b32 s8, s10, 2
	s_mov_b64 s[12:13], 0
	v_mov_b64_e32 v[4:5], v[0:1]
.LBB195_2:                              ; =>This Inner Loop Header: Depth=1
	global_load_dword v6, v[2:3], off
	v_lshl_add_u64 v[4:5], v[4:5], 0, s[10:11]
	v_cmp_le_u64_e32 vcc, s[6:7], v[4:5]
	v_lshl_add_u64 v[2:3], v[2:3], 0, s[8:9]
	s_or_b64 s[12:13], vcc, s[12:13]
	s_waitcnt vmcnt(0)
	v_add_f32_e32 v1, v1, v6
	s_andn2_b64 exec, exec, s[12:13]
	s_cbranch_execnz .LBB195_2
; %bb.3:
	s_or_b64 exec, exec, s[12:13]
.LBB195_4:
	s_or_b64 exec, exec, s[4:5]
	v_mbcnt_lo_u32_b32 v2, -1, 0
	v_mbcnt_hi_u32_b32 v6, -1, v2
	v_mov_b32_e32 v2, 0x80
	v_lshl_or_b32 v2, v6, 2, v2
	ds_bpermute_b32 v3, v2, v1
	v_and_b32_e32 v7, 63, v6
	v_cmp_gt_u32_e32 vcc, 48, v7
	s_waitcnt lgkmcnt(0)
	s_barrier
	v_cndmask_b32_e64 v4, 0, 16, vcc
	v_add_f32_e32 v5, v1, v3
	v_add_lshl_u32 v1, v4, v6, 2
	ds_bpermute_b32 v4, v1, v5
	v_cmp_gt_u32_e32 vcc, 56, v7
	s_waitcnt lgkmcnt(0)
	v_add_f32_e32 v5, v5, v4
	v_cndmask_b32_e64 v3, 0, 8, vcc
	v_add_lshl_u32 v3, v3, v6, 2
	ds_bpermute_b32 v8, v3, v5
	v_cmp_gt_u32_e32 vcc, 60, v7
	s_waitcnt lgkmcnt(0)
	v_add_f32_e32 v8, v5, v8
	v_cndmask_b32_e64 v4, 0, 4, vcc
	v_add_lshl_u32 v4, v4, v6, 2
	ds_bpermute_b32 v9, v4, v8
	v_cmp_gt_u32_e32 vcc, 62, v7
	s_waitcnt lgkmcnt(0)
	v_add_f32_e32 v9, v8, v9
	v_cndmask_b32_e64 v5, 0, 2, vcc
	v_add_lshl_u32 v5, v5, v6, 2
	ds_bpermute_b32 v10, v5, v9
	v_cmp_ne_u32_e32 vcc, 63, v7
	v_and_b32_e32 v8, 63, v0
	s_waitcnt lgkmcnt(0)
	v_add_f32_e32 v7, v9, v10
	v_addc_co_u32_e32 v6, vcc, 0, v6, vcc
	v_lshlrev_b32_e32 v6, 2, v6
	ds_bpermute_b32 v9, v6, v7
	v_cmp_eq_u32_e32 vcc, 0, v8
	s_and_saveexec_b64 s[4:5], vcc
	s_cbranch_execz .LBB195_6
; %bb.5:
	s_waitcnt lgkmcnt(0)
	v_add_f32_e32 v7, v7, v9
	v_lshrrev_b32_e32 v9, 4, v0
	ds_write_b32 v9, v7
.LBB195_6:
	s_or_b64 exec, exec, s[4:5]
	s_waitcnt lgkmcnt(0)
	s_barrier
	s_load_dword s3, s[0:1], 0xc9c
	v_mov_b32_e32 v7, 0
	s_waitcnt lgkmcnt(0)
	s_bfe_u32 s3, s3, 0xa0006
	v_cmp_gt_u32_e32 vcc, s3, v0
	s_and_saveexec_b64 s[4:5], vcc
; %bb.7:
	v_lshlrev_b32_e32 v7, 2, v8
	ds_read_b32 v7, v7
; %bb.8:
	s_or_b64 exec, exec, s[4:5]
	v_cmp_gt_u32_e32 vcc, 64, v0
	s_and_saveexec_b64 s[4:5], vcc
	s_cbranch_execz .LBB195_10
; %bb.9:
	s_waitcnt lgkmcnt(0)
	ds_bpermute_b32 v2, v2, v7
	s_waitcnt lgkmcnt(0)
	v_add_f32_e32 v2, v7, v2
	ds_bpermute_b32 v1, v1, v2
	s_waitcnt lgkmcnt(0)
	v_add_f32_e32 v1, v2, v1
	;; [unrolled: 3-line block ×6, first 2 shown]
.LBB195_10:
	s_or_b64 exec, exec, s[4:5]
	s_mov_b32 s3, 0
	v_cmp_eq_u32_e32 vcc, 0, v0
	s_and_saveexec_b64 s[4:5], vcc
	s_cbranch_execz .LBB195_12
; %bb.11:
	s_lshl_b64 s[2:3], s[2:3], 3
	s_add_u32 s0, s0, s2
	s_addc_u32 s1, s1, s3
	s_load_dwordx2 s[0:1], s[0:1], 0x8
	s_waitcnt lgkmcnt(0)
	v_bfe_u32 v0, v7, 16, 1
	s_movk_i32 s4, 0x7fff
	v_add3_u32 v0, v7, v0, s4
	v_cmp_o_f32_e32 vcc, v7, v7
	v_mov_b32_e32 v1, 0x7fc0
	s_nop 0
	v_cndmask_b32_sdwa v0, v1, v0, vcc dst_sel:DWORD dst_unused:UNUSED_PAD src0_sel:DWORD src1_sel:WORD_1
	v_mov_b32_e32 v1, 0
	global_store_short v1, v0, s[0:1]
.LBB195_12:
	s_endpgm
	.section	.rodata,"a",@progbits
	.p2align	6, 0x0
	.amdhsa_kernel _ZN2at6native14lpnorm_cleanupIN3c108BFloat16ELNS0_8NormTypeE2ES3_Lb0EfEEvPKT3_NS0_19TensorListAddressesEi
		.amdhsa_group_segment_fixed_size 2048
		.amdhsa_private_segment_fixed_size 0
		.amdhsa_kernarg_size 3472
		.amdhsa_user_sgpr_count 2
		.amdhsa_user_sgpr_dispatch_ptr 0
		.amdhsa_user_sgpr_queue_ptr 0
		.amdhsa_user_sgpr_kernarg_segment_ptr 1
		.amdhsa_user_sgpr_dispatch_id 0
		.amdhsa_user_sgpr_kernarg_preload_length 0
		.amdhsa_user_sgpr_kernarg_preload_offset 0
		.amdhsa_user_sgpr_private_segment_size 0
		.amdhsa_uses_dynamic_stack 0
		.amdhsa_enable_private_segment 0
		.amdhsa_system_sgpr_workgroup_id_x 1
		.amdhsa_system_sgpr_workgroup_id_y 0
		.amdhsa_system_sgpr_workgroup_id_z 0
		.amdhsa_system_sgpr_workgroup_info 0
		.amdhsa_system_vgpr_workitem_id 0
		.amdhsa_next_free_vgpr 11
		.amdhsa_next_free_sgpr 16
		.amdhsa_accum_offset 12
		.amdhsa_reserve_vcc 1
		.amdhsa_float_round_mode_32 0
		.amdhsa_float_round_mode_16_64 0
		.amdhsa_float_denorm_mode_32 3
		.amdhsa_float_denorm_mode_16_64 3
		.amdhsa_dx10_clamp 1
		.amdhsa_ieee_mode 1
		.amdhsa_fp16_overflow 0
		.amdhsa_tg_split 0
		.amdhsa_exception_fp_ieee_invalid_op 0
		.amdhsa_exception_fp_denorm_src 0
		.amdhsa_exception_fp_ieee_div_zero 0
		.amdhsa_exception_fp_ieee_overflow 0
		.amdhsa_exception_fp_ieee_underflow 0
		.amdhsa_exception_fp_ieee_inexact 0
		.amdhsa_exception_int_div_zero 0
	.end_amdhsa_kernel
	.section	.text._ZN2at6native14lpnorm_cleanupIN3c108BFloat16ELNS0_8NormTypeE2ES3_Lb0EfEEvPKT3_NS0_19TensorListAddressesEi,"axG",@progbits,_ZN2at6native14lpnorm_cleanupIN3c108BFloat16ELNS0_8NormTypeE2ES3_Lb0EfEEvPKT3_NS0_19TensorListAddressesEi,comdat
.Lfunc_end195:
	.size	_ZN2at6native14lpnorm_cleanupIN3c108BFloat16ELNS0_8NormTypeE2ES3_Lb0EfEEvPKT3_NS0_19TensorListAddressesEi, .Lfunc_end195-_ZN2at6native14lpnorm_cleanupIN3c108BFloat16ELNS0_8NormTypeE2ES3_Lb0EfEEvPKT3_NS0_19TensorListAddressesEi
                                        ; -- End function
	.set _ZN2at6native14lpnorm_cleanupIN3c108BFloat16ELNS0_8NormTypeE2ES3_Lb0EfEEvPKT3_NS0_19TensorListAddressesEi.num_vgpr, 11
	.set _ZN2at6native14lpnorm_cleanupIN3c108BFloat16ELNS0_8NormTypeE2ES3_Lb0EfEEvPKT3_NS0_19TensorListAddressesEi.num_agpr, 0
	.set _ZN2at6native14lpnorm_cleanupIN3c108BFloat16ELNS0_8NormTypeE2ES3_Lb0EfEEvPKT3_NS0_19TensorListAddressesEi.numbered_sgpr, 16
	.set _ZN2at6native14lpnorm_cleanupIN3c108BFloat16ELNS0_8NormTypeE2ES3_Lb0EfEEvPKT3_NS0_19TensorListAddressesEi.num_named_barrier, 0
	.set _ZN2at6native14lpnorm_cleanupIN3c108BFloat16ELNS0_8NormTypeE2ES3_Lb0EfEEvPKT3_NS0_19TensorListAddressesEi.private_seg_size, 0
	.set _ZN2at6native14lpnorm_cleanupIN3c108BFloat16ELNS0_8NormTypeE2ES3_Lb0EfEEvPKT3_NS0_19TensorListAddressesEi.uses_vcc, 1
	.set _ZN2at6native14lpnorm_cleanupIN3c108BFloat16ELNS0_8NormTypeE2ES3_Lb0EfEEvPKT3_NS0_19TensorListAddressesEi.uses_flat_scratch, 0
	.set _ZN2at6native14lpnorm_cleanupIN3c108BFloat16ELNS0_8NormTypeE2ES3_Lb0EfEEvPKT3_NS0_19TensorListAddressesEi.has_dyn_sized_stack, 0
	.set _ZN2at6native14lpnorm_cleanupIN3c108BFloat16ELNS0_8NormTypeE2ES3_Lb0EfEEvPKT3_NS0_19TensorListAddressesEi.has_recursion, 0
	.set _ZN2at6native14lpnorm_cleanupIN3c108BFloat16ELNS0_8NormTypeE2ES3_Lb0EfEEvPKT3_NS0_19TensorListAddressesEi.has_indirect_call, 0
	.section	.AMDGPU.csdata,"",@progbits
; Kernel info:
; codeLenInByte = 704
; TotalNumSgprs: 22
; NumVgprs: 11
; NumAgprs: 0
; TotalNumVgprs: 11
; ScratchSize: 0
; MemoryBound: 0
; FloatMode: 240
; IeeeMode: 1
; LDSByteSize: 2048 bytes/workgroup (compile time only)
; SGPRBlocks: 2
; VGPRBlocks: 1
; NumSGPRsForWavesPerEU: 22
; NumVGPRsForWavesPerEU: 11
; AccumOffset: 12
; Occupancy: 8
; WaveLimiterHint : 0
; COMPUTE_PGM_RSRC2:SCRATCH_EN: 0
; COMPUTE_PGM_RSRC2:USER_SGPR: 2
; COMPUTE_PGM_RSRC2:TRAP_HANDLER: 0
; COMPUTE_PGM_RSRC2:TGID_X_EN: 1
; COMPUTE_PGM_RSRC2:TGID_Y_EN: 0
; COMPUTE_PGM_RSRC2:TGID_Z_EN: 0
; COMPUTE_PGM_RSRC2:TIDIG_COMP_CNT: 0
; COMPUTE_PGM_RSRC3_GFX90A:ACCUM_OFFSET: 2
; COMPUTE_PGM_RSRC3_GFX90A:TG_SPLIT: 0
	.section	.AMDGPU.gpr_maximums,"",@progbits
	.set amdgpu.max_num_vgpr, 0
	.set amdgpu.max_num_agpr, 0
	.set amdgpu.max_num_sgpr, 0
	.section	.AMDGPU.csdata,"",@progbits
	.type	__hip_cuid_be577a7d6449c04f,@object ; @__hip_cuid_be577a7d6449c04f
	.section	.bss,"aw",@nobits
	.globl	__hip_cuid_be577a7d6449c04f
__hip_cuid_be577a7d6449c04f:
	.byte	0                               ; 0x0
	.size	__hip_cuid_be577a7d6449c04f, 1

	.ident	"AMD clang version 22.0.0git (https://github.com/RadeonOpenCompute/llvm-project roc-7.2.4 26084 f58b06dce1f9c15707c5f808fd002e18c2accf7e)"
	.section	".note.GNU-stack","",@progbits
	.addrsig
	.addrsig_sym __hip_cuid_be577a7d6449c04f
	.amdgpu_metadata
---
amdhsa.kernels:
  - .agpr_count:     0
    .args:
      - .offset:         0
        .size:           3368
        .value_kind:     by_value
      - .offset:         3368
        .size:           1
        .value_kind:     by_value
      - .address_space:  global
        .offset:         3376
        .size:           8
        .value_kind:     global_buffer
      - .offset:         3384
        .size:           4
        .value_kind:     by_value
      - .offset:         3392
        .size:           4
        .value_kind:     hidden_block_count_x
      - .offset:         3396
        .size:           4
        .value_kind:     hidden_block_count_y
      - .offset:         3400
        .size:           4
        .value_kind:     hidden_block_count_z
      - .offset:         3404
        .size:           2
        .value_kind:     hidden_group_size_x
      - .offset:         3406
        .size:           2
        .value_kind:     hidden_group_size_y
      - .offset:         3408
        .size:           2
        .value_kind:     hidden_group_size_z
      - .offset:         3410
        .size:           2
        .value_kind:     hidden_remainder_x
      - .offset:         3412
        .size:           2
        .value_kind:     hidden_remainder_y
      - .offset:         3414
        .size:           2
        .value_kind:     hidden_remainder_z
      - .offset:         3432
        .size:           8
        .value_kind:     hidden_global_offset_x
      - .offset:         3440
        .size:           8
        .value_kind:     hidden_global_offset_y
      - .offset:         3448
        .size:           8
        .value_kind:     hidden_global_offset_z
      - .offset:         3456
        .size:           2
        .value_kind:     hidden_grid_dims
    .group_segment_fixed_size: 512
    .kernarg_segment_align: 8
    .kernarg_segment_size: 3648
    .language:       OpenCL C
    .language_version:
      - 2
      - 0
    .max_flat_workgroup_size: 512
    .name:           _ZN2at6native12_GLOBAL__N_125multi_tensor_apply_kernelINS1_18TensorListMetadataILi1EEENS0_12LpMaxFunctorIhLi1ELi1ELi0EEEJPhiEEEvT_T0_DpT1_
    .private_segment_fixed_size: 0
    .sgpr_count:     30
    .sgpr_spill_count: 0
    .symbol:         _ZN2at6native12_GLOBAL__N_125multi_tensor_apply_kernelINS1_18TensorListMetadataILi1EEENS0_12LpMaxFunctorIhLi1ELi1ELi0EEEJPhiEEEvT_T0_DpT1_.kd
    .uniform_work_group_size: 1
    .uses_dynamic_stack: false
    .vgpr_count:     14
    .vgpr_spill_count: 0
    .wavefront_size: 64
  - .agpr_count:     0
    .args:
      - .address_space:  global
        .offset:         0
        .size:           8
        .value_kind:     global_buffer
      - .offset:         8
        .size:           3200
        .value_kind:     by_value
      - .offset:         3208
        .size:           4
        .value_kind:     by_value
      - .offset:         3216
        .size:           4
        .value_kind:     hidden_block_count_x
      - .offset:         3220
        .size:           4
        .value_kind:     hidden_block_count_y
      - .offset:         3224
        .size:           4
        .value_kind:     hidden_block_count_z
      - .offset:         3228
        .size:           2
        .value_kind:     hidden_group_size_x
      - .offset:         3230
        .size:           2
        .value_kind:     hidden_group_size_y
      - .offset:         3232
        .size:           2
        .value_kind:     hidden_group_size_z
      - .offset:         3234
        .size:           2
        .value_kind:     hidden_remainder_x
      - .offset:         3236
        .size:           2
        .value_kind:     hidden_remainder_y
      - .offset:         3238
        .size:           2
        .value_kind:     hidden_remainder_z
      - .offset:         3256
        .size:           8
        .value_kind:     hidden_global_offset_x
      - .offset:         3264
        .size:           8
        .value_kind:     hidden_global_offset_y
      - .offset:         3272
        .size:           8
        .value_kind:     hidden_global_offset_z
      - .offset:         3280
        .size:           2
        .value_kind:     hidden_grid_dims
    .group_segment_fixed_size: 512
    .kernarg_segment_align: 8
    .kernarg_segment_size: 3472
    .language:       OpenCL C
    .language_version:
      - 2
      - 0
    .max_flat_workgroup_size: 1024
    .name:           _ZN2at6native13lpmax_cleanupIhEEvPKT_NS0_19TensorListAddressesEi
    .private_segment_fixed_size: 0
    .sgpr_count:     20
    .sgpr_spill_count: 0
    .symbol:         _ZN2at6native13lpmax_cleanupIhEEvPKT_NS0_19TensorListAddressesEi.kd
    .uniform_work_group_size: 1
    .uses_dynamic_stack: false
    .vgpr_count:     11
    .vgpr_spill_count: 0
    .wavefront_size: 64
  - .agpr_count:     0
    .args:
      - .offset:         0
        .size:           3368
        .value_kind:     by_value
      - .offset:         3368
        .size:           1
        .value_kind:     by_value
      - .address_space:  global
        .offset:         3376
        .size:           8
        .value_kind:     global_buffer
      - .offset:         3384
        .size:           4
        .value_kind:     by_value
      - .offset:         3392
        .size:           4
        .value_kind:     hidden_block_count_x
      - .offset:         3396
        .size:           4
        .value_kind:     hidden_block_count_y
      - .offset:         3400
        .size:           4
        .value_kind:     hidden_block_count_z
      - .offset:         3404
        .size:           2
        .value_kind:     hidden_group_size_x
      - .offset:         3406
        .size:           2
        .value_kind:     hidden_group_size_y
      - .offset:         3408
        .size:           2
        .value_kind:     hidden_group_size_z
      - .offset:         3410
        .size:           2
        .value_kind:     hidden_remainder_x
      - .offset:         3412
        .size:           2
        .value_kind:     hidden_remainder_y
      - .offset:         3414
        .size:           2
        .value_kind:     hidden_remainder_z
      - .offset:         3432
        .size:           8
        .value_kind:     hidden_global_offset_x
      - .offset:         3440
        .size:           8
        .value_kind:     hidden_global_offset_y
      - .offset:         3448
        .size:           8
        .value_kind:     hidden_global_offset_z
      - .offset:         3456
        .size:           2
        .value_kind:     hidden_grid_dims
    .group_segment_fixed_size: 512
    .kernarg_segment_align: 8
    .kernarg_segment_size: 3648
    .language:       OpenCL C
    .language_version:
      - 2
      - 0
    .max_flat_workgroup_size: 512
    .name:           _ZN2at6native12_GLOBAL__N_125multi_tensor_apply_kernelINS1_18TensorListMetadataILi1EEENS0_12LpMaxFunctorIaLi1ELi1ELi0EEEJPaiEEEvT_T0_DpT1_
    .private_segment_fixed_size: 0
    .sgpr_count:     26
    .sgpr_spill_count: 0
    .symbol:         _ZN2at6native12_GLOBAL__N_125multi_tensor_apply_kernelINS1_18TensorListMetadataILi1EEENS0_12LpMaxFunctorIaLi1ELi1ELi0EEEJPaiEEEvT_T0_DpT1_.kd
    .uniform_work_group_size: 1
    .uses_dynamic_stack: false
    .vgpr_count:     16
    .vgpr_spill_count: 0
    .wavefront_size: 64
  - .agpr_count:     0
    .args:
      - .address_space:  global
        .offset:         0
        .size:           8
        .value_kind:     global_buffer
      - .offset:         8
        .size:           3200
        .value_kind:     by_value
      - .offset:         3208
        .size:           4
        .value_kind:     by_value
      - .offset:         3216
        .size:           4
        .value_kind:     hidden_block_count_x
      - .offset:         3220
        .size:           4
        .value_kind:     hidden_block_count_y
      - .offset:         3224
        .size:           4
        .value_kind:     hidden_block_count_z
      - .offset:         3228
        .size:           2
        .value_kind:     hidden_group_size_x
      - .offset:         3230
        .size:           2
        .value_kind:     hidden_group_size_y
      - .offset:         3232
        .size:           2
        .value_kind:     hidden_group_size_z
      - .offset:         3234
        .size:           2
        .value_kind:     hidden_remainder_x
      - .offset:         3236
        .size:           2
        .value_kind:     hidden_remainder_y
      - .offset:         3238
        .size:           2
        .value_kind:     hidden_remainder_z
      - .offset:         3256
        .size:           8
        .value_kind:     hidden_global_offset_x
      - .offset:         3264
        .size:           8
        .value_kind:     hidden_global_offset_y
      - .offset:         3272
        .size:           8
        .value_kind:     hidden_global_offset_z
      - .offset:         3280
        .size:           2
        .value_kind:     hidden_grid_dims
    .group_segment_fixed_size: 512
    .kernarg_segment_align: 8
    .kernarg_segment_size: 3472
    .language:       OpenCL C
    .language_version:
      - 2
      - 0
    .max_flat_workgroup_size: 1024
    .name:           _ZN2at6native13lpmax_cleanupIaEEvPKT_NS0_19TensorListAddressesEi
    .private_segment_fixed_size: 0
    .sgpr_count:     20
    .sgpr_spill_count: 0
    .symbol:         _ZN2at6native13lpmax_cleanupIaEEvPKT_NS0_19TensorListAddressesEi.kd
    .uniform_work_group_size: 1
    .uses_dynamic_stack: false
    .vgpr_count:     12
    .vgpr_spill_count: 0
    .wavefront_size: 64
  - .agpr_count:     0
    .args:
      - .offset:         0
        .size:           3368
        .value_kind:     by_value
      - .offset:         3368
        .size:           1
        .value_kind:     by_value
      - .address_space:  global
        .offset:         3376
        .size:           8
        .value_kind:     global_buffer
      - .offset:         3384
        .size:           4
        .value_kind:     by_value
      - .offset:         3392
        .size:           4
        .value_kind:     hidden_block_count_x
      - .offset:         3396
        .size:           4
        .value_kind:     hidden_block_count_y
      - .offset:         3400
        .size:           4
        .value_kind:     hidden_block_count_z
      - .offset:         3404
        .size:           2
        .value_kind:     hidden_group_size_x
      - .offset:         3406
        .size:           2
        .value_kind:     hidden_group_size_y
      - .offset:         3408
        .size:           2
        .value_kind:     hidden_group_size_z
      - .offset:         3410
        .size:           2
        .value_kind:     hidden_remainder_x
      - .offset:         3412
        .size:           2
        .value_kind:     hidden_remainder_y
      - .offset:         3414
        .size:           2
        .value_kind:     hidden_remainder_z
      - .offset:         3432
        .size:           8
        .value_kind:     hidden_global_offset_x
      - .offset:         3440
        .size:           8
        .value_kind:     hidden_global_offset_y
      - .offset:         3448
        .size:           8
        .value_kind:     hidden_global_offset_z
      - .offset:         3456
        .size:           2
        .value_kind:     hidden_grid_dims
    .group_segment_fixed_size: 2048
    .kernarg_segment_align: 8
    .kernarg_segment_size: 3648
    .language:       OpenCL C
    .language_version:
      - 2
      - 0
    .max_flat_workgroup_size: 512
    .name:           _ZN2at6native12_GLOBAL__N_125multi_tensor_apply_kernelINS1_18TensorListMetadataILi1EEENS0_12LpMaxFunctorIiLi1ELi1ELi0EEEJPiiEEEvT_T0_DpT1_
    .private_segment_fixed_size: 0
    .sgpr_count:     26
    .sgpr_spill_count: 0
    .symbol:         _ZN2at6native12_GLOBAL__N_125multi_tensor_apply_kernelINS1_18TensorListMetadataILi1EEENS0_12LpMaxFunctorIiLi1ELi1ELi0EEEJPiiEEEvT_T0_DpT1_.kd
    .uniform_work_group_size: 1
    .uses_dynamic_stack: false
    .vgpr_count:     18
    .vgpr_spill_count: 0
    .wavefront_size: 64
  - .agpr_count:     0
    .args:
      - .address_space:  global
        .offset:         0
        .size:           8
        .value_kind:     global_buffer
      - .offset:         8
        .size:           3200
        .value_kind:     by_value
      - .offset:         3208
        .size:           4
        .value_kind:     by_value
      - .offset:         3216
        .size:           4
        .value_kind:     hidden_block_count_x
      - .offset:         3220
        .size:           4
        .value_kind:     hidden_block_count_y
      - .offset:         3224
        .size:           4
        .value_kind:     hidden_block_count_z
      - .offset:         3228
        .size:           2
        .value_kind:     hidden_group_size_x
      - .offset:         3230
        .size:           2
        .value_kind:     hidden_group_size_y
      - .offset:         3232
        .size:           2
        .value_kind:     hidden_group_size_z
      - .offset:         3234
        .size:           2
        .value_kind:     hidden_remainder_x
      - .offset:         3236
        .size:           2
        .value_kind:     hidden_remainder_y
      - .offset:         3238
        .size:           2
        .value_kind:     hidden_remainder_z
      - .offset:         3256
        .size:           8
        .value_kind:     hidden_global_offset_x
      - .offset:         3264
        .size:           8
        .value_kind:     hidden_global_offset_y
      - .offset:         3272
        .size:           8
        .value_kind:     hidden_global_offset_z
      - .offset:         3280
        .size:           2
        .value_kind:     hidden_grid_dims
    .group_segment_fixed_size: 2048
    .kernarg_segment_align: 8
    .kernarg_segment_size: 3472
    .language:       OpenCL C
    .language_version:
      - 2
      - 0
    .max_flat_workgroup_size: 1024
    .name:           _ZN2at6native13lpmax_cleanupIiEEvPKT_NS0_19TensorListAddressesEi
    .private_segment_fixed_size: 0
    .sgpr_count:     22
    .sgpr_spill_count: 0
    .symbol:         _ZN2at6native13lpmax_cleanupIiEEvPKT_NS0_19TensorListAddressesEi.kd
    .uniform_work_group_size: 1
    .uses_dynamic_stack: false
    .vgpr_count:     11
    .vgpr_spill_count: 0
    .wavefront_size: 64
  - .agpr_count:     0
    .args:
      - .offset:         0
        .size:           3368
        .value_kind:     by_value
      - .offset:         3368
        .size:           1
        .value_kind:     by_value
      - .address_space:  global
        .offset:         3376
        .size:           8
        .value_kind:     global_buffer
      - .offset:         3384
        .size:           4
        .value_kind:     by_value
      - .offset:         3392
        .size:           4
        .value_kind:     hidden_block_count_x
      - .offset:         3396
        .size:           4
        .value_kind:     hidden_block_count_y
      - .offset:         3400
        .size:           4
        .value_kind:     hidden_block_count_z
      - .offset:         3404
        .size:           2
        .value_kind:     hidden_group_size_x
      - .offset:         3406
        .size:           2
        .value_kind:     hidden_group_size_y
      - .offset:         3408
        .size:           2
        .value_kind:     hidden_group_size_z
      - .offset:         3410
        .size:           2
        .value_kind:     hidden_remainder_x
      - .offset:         3412
        .size:           2
        .value_kind:     hidden_remainder_y
      - .offset:         3414
        .size:           2
        .value_kind:     hidden_remainder_z
      - .offset:         3432
        .size:           8
        .value_kind:     hidden_global_offset_x
      - .offset:         3440
        .size:           8
        .value_kind:     hidden_global_offset_y
      - .offset:         3448
        .size:           8
        .value_kind:     hidden_global_offset_z
      - .offset:         3456
        .size:           2
        .value_kind:     hidden_grid_dims
    .group_segment_fixed_size: 4096
    .kernarg_segment_align: 8
    .kernarg_segment_size: 3648
    .language:       OpenCL C
    .language_version:
      - 2
      - 0
    .max_flat_workgroup_size: 512
    .name:           _ZN2at6native12_GLOBAL__N_125multi_tensor_apply_kernelINS1_18TensorListMetadataILi1EEENS0_12LpMaxFunctorIlLi1ELi1ELi0EEEJPliEEEvT_T0_DpT1_
    .private_segment_fixed_size: 0
    .sgpr_count:     30
    .sgpr_spill_count: 0
    .symbol:         _ZN2at6native12_GLOBAL__N_125multi_tensor_apply_kernelINS1_18TensorListMetadataILi1EEENS0_12LpMaxFunctorIlLi1ELi1ELi0EEEJPliEEEvT_T0_DpT1_.kd
    .uniform_work_group_size: 1
    .uses_dynamic_stack: false
    .vgpr_count:     24
    .vgpr_spill_count: 0
    .wavefront_size: 64
  - .agpr_count:     0
    .args:
      - .address_space:  global
        .offset:         0
        .size:           8
        .value_kind:     global_buffer
      - .offset:         8
        .size:           3200
        .value_kind:     by_value
      - .offset:         3208
        .size:           4
        .value_kind:     by_value
      - .offset:         3216
        .size:           4
        .value_kind:     hidden_block_count_x
      - .offset:         3220
        .size:           4
        .value_kind:     hidden_block_count_y
      - .offset:         3224
        .size:           4
        .value_kind:     hidden_block_count_z
      - .offset:         3228
        .size:           2
        .value_kind:     hidden_group_size_x
      - .offset:         3230
        .size:           2
        .value_kind:     hidden_group_size_y
      - .offset:         3232
        .size:           2
        .value_kind:     hidden_group_size_z
      - .offset:         3234
        .size:           2
        .value_kind:     hidden_remainder_x
      - .offset:         3236
        .size:           2
        .value_kind:     hidden_remainder_y
      - .offset:         3238
        .size:           2
        .value_kind:     hidden_remainder_z
      - .offset:         3256
        .size:           8
        .value_kind:     hidden_global_offset_x
      - .offset:         3264
        .size:           8
        .value_kind:     hidden_global_offset_y
      - .offset:         3272
        .size:           8
        .value_kind:     hidden_global_offset_z
      - .offset:         3280
        .size:           2
        .value_kind:     hidden_grid_dims
    .group_segment_fixed_size: 4096
    .kernarg_segment_align: 8
    .kernarg_segment_size: 3472
    .language:       OpenCL C
    .language_version:
      - 2
      - 0
    .max_flat_workgroup_size: 1024
    .name:           _ZN2at6native13lpmax_cleanupIlEEvPKT_NS0_19TensorListAddressesEi
    .private_segment_fixed_size: 0
    .sgpr_count:     20
    .sgpr_spill_count: 0
    .symbol:         _ZN2at6native13lpmax_cleanupIlEEvPKT_NS0_19TensorListAddressesEi.kd
    .uniform_work_group_size: 1
    .uses_dynamic_stack: false
    .vgpr_count:     14
    .vgpr_spill_count: 0
    .wavefront_size: 64
  - .agpr_count:     0
    .args:
      - .offset:         0
        .size:           3368
        .value_kind:     by_value
      - .offset:         3368
        .size:           1
        .value_kind:     by_value
      - .address_space:  global
        .offset:         3376
        .size:           8
        .value_kind:     global_buffer
      - .offset:         3384
        .size:           4
        .value_kind:     by_value
      - .offset:         3392
        .size:           4
        .value_kind:     hidden_block_count_x
      - .offset:         3396
        .size:           4
        .value_kind:     hidden_block_count_y
      - .offset:         3400
        .size:           4
        .value_kind:     hidden_block_count_z
      - .offset:         3404
        .size:           2
        .value_kind:     hidden_group_size_x
      - .offset:         3406
        .size:           2
        .value_kind:     hidden_group_size_y
      - .offset:         3408
        .size:           2
        .value_kind:     hidden_group_size_z
      - .offset:         3410
        .size:           2
        .value_kind:     hidden_remainder_x
      - .offset:         3412
        .size:           2
        .value_kind:     hidden_remainder_y
      - .offset:         3414
        .size:           2
        .value_kind:     hidden_remainder_z
      - .offset:         3432
        .size:           8
        .value_kind:     hidden_global_offset_x
      - .offset:         3440
        .size:           8
        .value_kind:     hidden_global_offset_y
      - .offset:         3448
        .size:           8
        .value_kind:     hidden_global_offset_z
      - .offset:         3456
        .size:           2
        .value_kind:     hidden_grid_dims
    .group_segment_fixed_size: 1024
    .kernarg_segment_align: 8
    .kernarg_segment_size: 3648
    .language:       OpenCL C
    .language_version:
      - 2
      - 0
    .max_flat_workgroup_size: 512
    .name:           _ZN2at6native12_GLOBAL__N_125multi_tensor_apply_kernelINS1_18TensorListMetadataILi1EEENS0_12LpMaxFunctorIsLi1ELi1ELi0EEEJPsiEEEvT_T0_DpT1_
    .private_segment_fixed_size: 0
    .sgpr_count:     28
    .sgpr_spill_count: 0
    .symbol:         _ZN2at6native12_GLOBAL__N_125multi_tensor_apply_kernelINS1_18TensorListMetadataILi1EEENS0_12LpMaxFunctorIsLi1ELi1ELi0EEEJPsiEEEvT_T0_DpT1_.kd
    .uniform_work_group_size: 1
    .uses_dynamic_stack: false
    .vgpr_count:     16
    .vgpr_spill_count: 0
    .wavefront_size: 64
  - .agpr_count:     0
    .args:
      - .address_space:  global
        .offset:         0
        .size:           8
        .value_kind:     global_buffer
      - .offset:         8
        .size:           3200
        .value_kind:     by_value
      - .offset:         3208
        .size:           4
        .value_kind:     by_value
      - .offset:         3216
        .size:           4
        .value_kind:     hidden_block_count_x
      - .offset:         3220
        .size:           4
        .value_kind:     hidden_block_count_y
      - .offset:         3224
        .size:           4
        .value_kind:     hidden_block_count_z
      - .offset:         3228
        .size:           2
        .value_kind:     hidden_group_size_x
      - .offset:         3230
        .size:           2
        .value_kind:     hidden_group_size_y
      - .offset:         3232
        .size:           2
        .value_kind:     hidden_group_size_z
      - .offset:         3234
        .size:           2
        .value_kind:     hidden_remainder_x
      - .offset:         3236
        .size:           2
        .value_kind:     hidden_remainder_y
      - .offset:         3238
        .size:           2
        .value_kind:     hidden_remainder_z
      - .offset:         3256
        .size:           8
        .value_kind:     hidden_global_offset_x
      - .offset:         3264
        .size:           8
        .value_kind:     hidden_global_offset_y
      - .offset:         3272
        .size:           8
        .value_kind:     hidden_global_offset_z
      - .offset:         3280
        .size:           2
        .value_kind:     hidden_grid_dims
    .group_segment_fixed_size: 1024
    .kernarg_segment_align: 8
    .kernarg_segment_size: 3472
    .language:       OpenCL C
    .language_version:
      - 2
      - 0
    .max_flat_workgroup_size: 1024
    .name:           _ZN2at6native13lpmax_cleanupIsEEvPKT_NS0_19TensorListAddressesEi
    .private_segment_fixed_size: 0
    .sgpr_count:     22
    .sgpr_spill_count: 0
    .symbol:         _ZN2at6native13lpmax_cleanupIsEEvPKT_NS0_19TensorListAddressesEi.kd
    .uniform_work_group_size: 1
    .uses_dynamic_stack: false
    .vgpr_count:     11
    .vgpr_spill_count: 0
    .wavefront_size: 64
  - .agpr_count:     0
    .args:
      - .offset:         0
        .size:           3368
        .value_kind:     by_value
      - .offset:         3368
        .size:           1
        .value_kind:     by_value
      - .address_space:  global
        .offset:         3376
        .size:           8
        .value_kind:     global_buffer
      - .offset:         3384
        .size:           4
        .value_kind:     by_value
      - .offset:         3392
        .size:           4
        .value_kind:     hidden_block_count_x
      - .offset:         3396
        .size:           4
        .value_kind:     hidden_block_count_y
      - .offset:         3400
        .size:           4
        .value_kind:     hidden_block_count_z
      - .offset:         3404
        .size:           2
        .value_kind:     hidden_group_size_x
      - .offset:         3406
        .size:           2
        .value_kind:     hidden_group_size_y
      - .offset:         3408
        .size:           2
        .value_kind:     hidden_group_size_z
      - .offset:         3410
        .size:           2
        .value_kind:     hidden_remainder_x
      - .offset:         3412
        .size:           2
        .value_kind:     hidden_remainder_y
      - .offset:         3414
        .size:           2
        .value_kind:     hidden_remainder_z
      - .offset:         3432
        .size:           8
        .value_kind:     hidden_global_offset_x
      - .offset:         3440
        .size:           8
        .value_kind:     hidden_global_offset_y
      - .offset:         3448
        .size:           8
        .value_kind:     hidden_global_offset_z
      - .offset:         3456
        .size:           2
        .value_kind:     hidden_grid_dims
    .group_segment_fixed_size: 4096
    .kernarg_segment_align: 8
    .kernarg_segment_size: 3648
    .language:       OpenCL C
    .language_version:
      - 2
      - 0
    .max_flat_workgroup_size: 512
    .name:           _ZN2at6native12_GLOBAL__N_125multi_tensor_apply_kernelINS1_18TensorListMetadataILi1EEENS0_12LpMaxFunctorIdLi1ELi1ELi0EEEJPdiEEEvT_T0_DpT1_
    .private_segment_fixed_size: 0
    .sgpr_count:     37
    .sgpr_spill_count: 0
    .symbol:         _ZN2at6native12_GLOBAL__N_125multi_tensor_apply_kernelINS1_18TensorListMetadataILi1EEENS0_12LpMaxFunctorIdLi1ELi1ELi0EEEJPdiEEEvT_T0_DpT1_.kd
    .uniform_work_group_size: 1
    .uses_dynamic_stack: false
    .vgpr_count:     24
    .vgpr_spill_count: 0
    .wavefront_size: 64
  - .agpr_count:     0
    .args:
      - .address_space:  global
        .offset:         0
        .size:           8
        .value_kind:     global_buffer
      - .offset:         8
        .size:           3200
        .value_kind:     by_value
      - .offset:         3208
        .size:           4
        .value_kind:     by_value
      - .offset:         3216
        .size:           4
        .value_kind:     hidden_block_count_x
      - .offset:         3220
        .size:           4
        .value_kind:     hidden_block_count_y
      - .offset:         3224
        .size:           4
        .value_kind:     hidden_block_count_z
      - .offset:         3228
        .size:           2
        .value_kind:     hidden_group_size_x
      - .offset:         3230
        .size:           2
        .value_kind:     hidden_group_size_y
      - .offset:         3232
        .size:           2
        .value_kind:     hidden_group_size_z
      - .offset:         3234
        .size:           2
        .value_kind:     hidden_remainder_x
      - .offset:         3236
        .size:           2
        .value_kind:     hidden_remainder_y
      - .offset:         3238
        .size:           2
        .value_kind:     hidden_remainder_z
      - .offset:         3256
        .size:           8
        .value_kind:     hidden_global_offset_x
      - .offset:         3264
        .size:           8
        .value_kind:     hidden_global_offset_y
      - .offset:         3272
        .size:           8
        .value_kind:     hidden_global_offset_z
      - .offset:         3280
        .size:           2
        .value_kind:     hidden_grid_dims
    .group_segment_fixed_size: 4096
    .kernarg_segment_align: 8
    .kernarg_segment_size: 3472
    .language:       OpenCL C
    .language_version:
      - 2
      - 0
    .max_flat_workgroup_size: 1024
    .name:           _ZN2at6native13lpmax_cleanupIdEEvPKT_NS0_19TensorListAddressesEi
    .private_segment_fixed_size: 0
    .sgpr_count:     24
    .sgpr_spill_count: 0
    .symbol:         _ZN2at6native13lpmax_cleanupIdEEvPKT_NS0_19TensorListAddressesEi.kd
    .uniform_work_group_size: 1
    .uses_dynamic_stack: false
    .vgpr_count:     13
    .vgpr_spill_count: 0
    .wavefront_size: 64
  - .agpr_count:     0
    .args:
      - .offset:         0
        .size:           3368
        .value_kind:     by_value
      - .offset:         3368
        .size:           1
        .value_kind:     by_value
      - .address_space:  global
        .offset:         3376
        .size:           8
        .value_kind:     global_buffer
      - .offset:         3384
        .size:           4
        .value_kind:     by_value
      - .offset:         3392
        .size:           4
        .value_kind:     hidden_block_count_x
      - .offset:         3396
        .size:           4
        .value_kind:     hidden_block_count_y
      - .offset:         3400
        .size:           4
        .value_kind:     hidden_block_count_z
      - .offset:         3404
        .size:           2
        .value_kind:     hidden_group_size_x
      - .offset:         3406
        .size:           2
        .value_kind:     hidden_group_size_y
      - .offset:         3408
        .size:           2
        .value_kind:     hidden_group_size_z
      - .offset:         3410
        .size:           2
        .value_kind:     hidden_remainder_x
      - .offset:         3412
        .size:           2
        .value_kind:     hidden_remainder_y
      - .offset:         3414
        .size:           2
        .value_kind:     hidden_remainder_z
      - .offset:         3432
        .size:           8
        .value_kind:     hidden_global_offset_x
      - .offset:         3440
        .size:           8
        .value_kind:     hidden_global_offset_y
      - .offset:         3448
        .size:           8
        .value_kind:     hidden_global_offset_z
      - .offset:         3456
        .size:           2
        .value_kind:     hidden_grid_dims
    .group_segment_fixed_size: 2048
    .kernarg_segment_align: 8
    .kernarg_segment_size: 3648
    .language:       OpenCL C
    .language_version:
      - 2
      - 0
    .max_flat_workgroup_size: 512
    .name:           _ZN2at6native12_GLOBAL__N_125multi_tensor_apply_kernelINS1_18TensorListMetadataILi1EEENS0_12LpMaxFunctorIfLi1ELi1ELi0EEEJPfiEEEvT_T0_DpT1_
    .private_segment_fixed_size: 0
    .sgpr_count:     37
    .sgpr_spill_count: 0
    .symbol:         _ZN2at6native12_GLOBAL__N_125multi_tensor_apply_kernelINS1_18TensorListMetadataILi1EEENS0_12LpMaxFunctorIfLi1ELi1ELi0EEEJPfiEEEvT_T0_DpT1_.kd
    .uniform_work_group_size: 1
    .uses_dynamic_stack: false
    .vgpr_count:     18
    .vgpr_spill_count: 0
    .wavefront_size: 64
  - .agpr_count:     0
    .args:
      - .address_space:  global
        .offset:         0
        .size:           8
        .value_kind:     global_buffer
      - .offset:         8
        .size:           3200
        .value_kind:     by_value
      - .offset:         3208
        .size:           4
        .value_kind:     by_value
      - .offset:         3216
        .size:           4
        .value_kind:     hidden_block_count_x
      - .offset:         3220
        .size:           4
        .value_kind:     hidden_block_count_y
      - .offset:         3224
        .size:           4
        .value_kind:     hidden_block_count_z
      - .offset:         3228
        .size:           2
        .value_kind:     hidden_group_size_x
      - .offset:         3230
        .size:           2
        .value_kind:     hidden_group_size_y
      - .offset:         3232
        .size:           2
        .value_kind:     hidden_group_size_z
      - .offset:         3234
        .size:           2
        .value_kind:     hidden_remainder_x
      - .offset:         3236
        .size:           2
        .value_kind:     hidden_remainder_y
      - .offset:         3238
        .size:           2
        .value_kind:     hidden_remainder_z
      - .offset:         3256
        .size:           8
        .value_kind:     hidden_global_offset_x
      - .offset:         3264
        .size:           8
        .value_kind:     hidden_global_offset_y
      - .offset:         3272
        .size:           8
        .value_kind:     hidden_global_offset_z
      - .offset:         3280
        .size:           2
        .value_kind:     hidden_grid_dims
    .group_segment_fixed_size: 2048
    .kernarg_segment_align: 8
    .kernarg_segment_size: 3472
    .language:       OpenCL C
    .language_version:
      - 2
      - 0
    .max_flat_workgroup_size: 1024
    .name:           _ZN2at6native13lpmax_cleanupIfEEvPKT_NS0_19TensorListAddressesEi
    .private_segment_fixed_size: 0
    .sgpr_count:     24
    .sgpr_spill_count: 0
    .symbol:         _ZN2at6native13lpmax_cleanupIfEEvPKT_NS0_19TensorListAddressesEi.kd
    .uniform_work_group_size: 1
    .uses_dynamic_stack: false
    .vgpr_count:     11
    .vgpr_spill_count: 0
    .wavefront_size: 64
  - .agpr_count:     0
    .args:
      - .offset:         0
        .size:           3368
        .value_kind:     by_value
      - .offset:         3368
        .size:           1
        .value_kind:     by_value
      - .address_space:  global
        .offset:         3376
        .size:           8
        .value_kind:     global_buffer
      - .offset:         3384
        .size:           4
        .value_kind:     by_value
      - .offset:         3392
        .size:           4
        .value_kind:     hidden_block_count_x
      - .offset:         3396
        .size:           4
        .value_kind:     hidden_block_count_y
      - .offset:         3400
        .size:           4
        .value_kind:     hidden_block_count_z
      - .offset:         3404
        .size:           2
        .value_kind:     hidden_group_size_x
      - .offset:         3406
        .size:           2
        .value_kind:     hidden_group_size_y
      - .offset:         3408
        .size:           2
        .value_kind:     hidden_group_size_z
      - .offset:         3410
        .size:           2
        .value_kind:     hidden_remainder_x
      - .offset:         3412
        .size:           2
        .value_kind:     hidden_remainder_y
      - .offset:         3414
        .size:           2
        .value_kind:     hidden_remainder_z
      - .offset:         3432
        .size:           8
        .value_kind:     hidden_global_offset_x
      - .offset:         3440
        .size:           8
        .value_kind:     hidden_global_offset_y
      - .offset:         3448
        .size:           8
        .value_kind:     hidden_global_offset_z
      - .offset:         3456
        .size:           2
        .value_kind:     hidden_grid_dims
    .group_segment_fixed_size: 1024
    .kernarg_segment_align: 8
    .kernarg_segment_size: 3648
    .language:       OpenCL C
    .language_version:
      - 2
      - 0
    .max_flat_workgroup_size: 512
    .name:           _ZN2at6native12_GLOBAL__N_125multi_tensor_apply_kernelINS1_18TensorListMetadataILi1EEENS0_12LpMaxFunctorIN3c104HalfELi1ELi1ELi0EEEJPS7_iEEEvT_T0_DpT1_
    .private_segment_fixed_size: 0
    .sgpr_count:     29
    .sgpr_spill_count: 0
    .symbol:         _ZN2at6native12_GLOBAL__N_125multi_tensor_apply_kernelINS1_18TensorListMetadataILi1EEENS0_12LpMaxFunctorIN3c104HalfELi1ELi1ELi0EEEJPS7_iEEEvT_T0_DpT1_.kd
    .uniform_work_group_size: 1
    .uses_dynamic_stack: false
    .vgpr_count:     16
    .vgpr_spill_count: 0
    .wavefront_size: 64
  - .agpr_count:     0
    .args:
      - .address_space:  global
        .offset:         0
        .size:           8
        .value_kind:     global_buffer
      - .offset:         8
        .size:           3200
        .value_kind:     by_value
      - .offset:         3208
        .size:           4
        .value_kind:     by_value
      - .offset:         3216
        .size:           4
        .value_kind:     hidden_block_count_x
      - .offset:         3220
        .size:           4
        .value_kind:     hidden_block_count_y
      - .offset:         3224
        .size:           4
        .value_kind:     hidden_block_count_z
      - .offset:         3228
        .size:           2
        .value_kind:     hidden_group_size_x
      - .offset:         3230
        .size:           2
        .value_kind:     hidden_group_size_y
      - .offset:         3232
        .size:           2
        .value_kind:     hidden_group_size_z
      - .offset:         3234
        .size:           2
        .value_kind:     hidden_remainder_x
      - .offset:         3236
        .size:           2
        .value_kind:     hidden_remainder_y
      - .offset:         3238
        .size:           2
        .value_kind:     hidden_remainder_z
      - .offset:         3256
        .size:           8
        .value_kind:     hidden_global_offset_x
      - .offset:         3264
        .size:           8
        .value_kind:     hidden_global_offset_y
      - .offset:         3272
        .size:           8
        .value_kind:     hidden_global_offset_z
      - .offset:         3280
        .size:           2
        .value_kind:     hidden_grid_dims
    .group_segment_fixed_size: 1024
    .kernarg_segment_align: 8
    .kernarg_segment_size: 3472
    .language:       OpenCL C
    .language_version:
      - 2
      - 0
    .max_flat_workgroup_size: 1024
    .name:           _ZN2at6native13lpmax_cleanupIN3c104HalfEEEvPKT_NS0_19TensorListAddressesEi
    .private_segment_fixed_size: 0
    .sgpr_count:     24
    .sgpr_spill_count: 0
    .symbol:         _ZN2at6native13lpmax_cleanupIN3c104HalfEEEvPKT_NS0_19TensorListAddressesEi.kd
    .uniform_work_group_size: 1
    .uses_dynamic_stack: false
    .vgpr_count:     12
    .vgpr_spill_count: 0
    .wavefront_size: 64
  - .agpr_count:     0
    .args:
      - .offset:         0
        .size:           3368
        .value_kind:     by_value
      - .offset:         3368
        .size:           1
        .value_kind:     by_value
      - .address_space:  global
        .offset:         3376
        .size:           8
        .value_kind:     global_buffer
      - .offset:         3384
        .size:           4
        .value_kind:     by_value
      - .offset:         3392
        .size:           4
        .value_kind:     hidden_block_count_x
      - .offset:         3396
        .size:           4
        .value_kind:     hidden_block_count_y
      - .offset:         3400
        .size:           4
        .value_kind:     hidden_block_count_z
      - .offset:         3404
        .size:           2
        .value_kind:     hidden_group_size_x
      - .offset:         3406
        .size:           2
        .value_kind:     hidden_group_size_y
      - .offset:         3408
        .size:           2
        .value_kind:     hidden_group_size_z
      - .offset:         3410
        .size:           2
        .value_kind:     hidden_remainder_x
      - .offset:         3412
        .size:           2
        .value_kind:     hidden_remainder_y
      - .offset:         3414
        .size:           2
        .value_kind:     hidden_remainder_z
      - .offset:         3432
        .size:           8
        .value_kind:     hidden_global_offset_x
      - .offset:         3440
        .size:           8
        .value_kind:     hidden_global_offset_y
      - .offset:         3448
        .size:           8
        .value_kind:     hidden_global_offset_z
      - .offset:         3456
        .size:           2
        .value_kind:     hidden_grid_dims
    .group_segment_fixed_size: 1024
    .kernarg_segment_align: 8
    .kernarg_segment_size: 3648
    .language:       OpenCL C
    .language_version:
      - 2
      - 0
    .max_flat_workgroup_size: 512
    .name:           _ZN2at6native12_GLOBAL__N_125multi_tensor_apply_kernelINS1_18TensorListMetadataILi1EEENS0_12LpMaxFunctorIN3c108BFloat16ELi1ELi1ELi0EEEJPS7_iEEEvT_T0_DpT1_
    .private_segment_fixed_size: 0
    .sgpr_count:     37
    .sgpr_spill_count: 0
    .symbol:         _ZN2at6native12_GLOBAL__N_125multi_tensor_apply_kernelINS1_18TensorListMetadataILi1EEENS0_12LpMaxFunctorIN3c108BFloat16ELi1ELi1ELi0EEEJPS7_iEEEvT_T0_DpT1_.kd
    .uniform_work_group_size: 1
    .uses_dynamic_stack: false
    .vgpr_count:     19
    .vgpr_spill_count: 0
    .wavefront_size: 64
  - .agpr_count:     0
    .args:
      - .address_space:  global
        .offset:         0
        .size:           8
        .value_kind:     global_buffer
      - .offset:         8
        .size:           3200
        .value_kind:     by_value
      - .offset:         3208
        .size:           4
        .value_kind:     by_value
      - .offset:         3216
        .size:           4
        .value_kind:     hidden_block_count_x
      - .offset:         3220
        .size:           4
        .value_kind:     hidden_block_count_y
      - .offset:         3224
        .size:           4
        .value_kind:     hidden_block_count_z
      - .offset:         3228
        .size:           2
        .value_kind:     hidden_group_size_x
      - .offset:         3230
        .size:           2
        .value_kind:     hidden_group_size_y
      - .offset:         3232
        .size:           2
        .value_kind:     hidden_group_size_z
      - .offset:         3234
        .size:           2
        .value_kind:     hidden_remainder_x
      - .offset:         3236
        .size:           2
        .value_kind:     hidden_remainder_y
      - .offset:         3238
        .size:           2
        .value_kind:     hidden_remainder_z
      - .offset:         3256
        .size:           8
        .value_kind:     hidden_global_offset_x
      - .offset:         3264
        .size:           8
        .value_kind:     hidden_global_offset_y
      - .offset:         3272
        .size:           8
        .value_kind:     hidden_global_offset_z
      - .offset:         3280
        .size:           2
        .value_kind:     hidden_grid_dims
    .group_segment_fixed_size: 1024
    .kernarg_segment_align: 8
    .kernarg_segment_size: 3472
    .language:       OpenCL C
    .language_version:
      - 2
      - 0
    .max_flat_workgroup_size: 1024
    .name:           _ZN2at6native13lpmax_cleanupIN3c108BFloat16EEEvPKT_NS0_19TensorListAddressesEi
    .private_segment_fixed_size: 0
    .sgpr_count:     24
    .sgpr_spill_count: 0
    .symbol:         _ZN2at6native13lpmax_cleanupIN3c108BFloat16EEEvPKT_NS0_19TensorListAddressesEi.kd
    .uniform_work_group_size: 1
    .uses_dynamic_stack: false
    .vgpr_count:     14
    .vgpr_spill_count: 0
    .wavefront_size: 64
  - .agpr_count:     0
    .args:
      - .offset:         0
        .size:           3368
        .value_kind:     by_value
      - .offset:         3368
        .size:           1
        .value_kind:     by_value
      - .address_space:  global
        .offset:         3376
        .size:           8
        .value_kind:     global_buffer
      - .offset:         3384
        .size:           4
        .value_kind:     by_value
      - .offset:         3392
        .size:           4
        .value_kind:     hidden_block_count_x
      - .offset:         3396
        .size:           4
        .value_kind:     hidden_block_count_y
      - .offset:         3400
        .size:           4
        .value_kind:     hidden_block_count_z
      - .offset:         3404
        .size:           2
        .value_kind:     hidden_group_size_x
      - .offset:         3406
        .size:           2
        .value_kind:     hidden_group_size_y
      - .offset:         3408
        .size:           2
        .value_kind:     hidden_group_size_z
      - .offset:         3410
        .size:           2
        .value_kind:     hidden_remainder_x
      - .offset:         3412
        .size:           2
        .value_kind:     hidden_remainder_y
      - .offset:         3414
        .size:           2
        .value_kind:     hidden_remainder_z
      - .offset:         3432
        .size:           8
        .value_kind:     hidden_global_offset_x
      - .offset:         3440
        .size:           8
        .value_kind:     hidden_global_offset_y
      - .offset:         3448
        .size:           8
        .value_kind:     hidden_global_offset_z
      - .offset:         3456
        .size:           2
        .value_kind:     hidden_grid_dims
    .group_segment_fixed_size: 512
    .kernarg_segment_align: 8
    .kernarg_segment_size: 3648
    .language:       OpenCL C
    .language_version:
      - 2
      - 0
    .max_flat_workgroup_size: 512
    .name:           _ZN2at6native12_GLOBAL__N_125multi_tensor_apply_kernelINS1_18TensorListMetadataILi1EEENS0_12LpMaxFunctorIbLi1ELi1ELi0EEEJPbiEEEvT_T0_DpT1_
    .private_segment_fixed_size: 0
    .sgpr_count:     28
    .sgpr_spill_count: 0
    .symbol:         _ZN2at6native12_GLOBAL__N_125multi_tensor_apply_kernelINS1_18TensorListMetadataILi1EEENS0_12LpMaxFunctorIbLi1ELi1ELi0EEEJPbiEEEvT_T0_DpT1_.kd
    .uniform_work_group_size: 1
    .uses_dynamic_stack: false
    .vgpr_count:     16
    .vgpr_spill_count: 0
    .wavefront_size: 64
  - .agpr_count:     0
    .args:
      - .address_space:  global
        .offset:         0
        .size:           8
        .value_kind:     global_buffer
      - .offset:         8
        .size:           3200
        .value_kind:     by_value
      - .offset:         3208
        .size:           4
        .value_kind:     by_value
      - .offset:         3216
        .size:           4
        .value_kind:     hidden_block_count_x
      - .offset:         3220
        .size:           4
        .value_kind:     hidden_block_count_y
      - .offset:         3224
        .size:           4
        .value_kind:     hidden_block_count_z
      - .offset:         3228
        .size:           2
        .value_kind:     hidden_group_size_x
      - .offset:         3230
        .size:           2
        .value_kind:     hidden_group_size_y
      - .offset:         3232
        .size:           2
        .value_kind:     hidden_group_size_z
      - .offset:         3234
        .size:           2
        .value_kind:     hidden_remainder_x
      - .offset:         3236
        .size:           2
        .value_kind:     hidden_remainder_y
      - .offset:         3238
        .size:           2
        .value_kind:     hidden_remainder_z
      - .offset:         3256
        .size:           8
        .value_kind:     hidden_global_offset_x
      - .offset:         3264
        .size:           8
        .value_kind:     hidden_global_offset_y
      - .offset:         3272
        .size:           8
        .value_kind:     hidden_global_offset_z
      - .offset:         3280
        .size:           2
        .value_kind:     hidden_grid_dims
    .group_segment_fixed_size: 512
    .kernarg_segment_align: 8
    .kernarg_segment_size: 3472
    .language:       OpenCL C
    .language_version:
      - 2
      - 0
    .max_flat_workgroup_size: 1024
    .name:           _ZN2at6native13lpmax_cleanupIbEEvPKT_NS0_19TensorListAddressesEi
    .private_segment_fixed_size: 0
    .sgpr_count:     26
    .sgpr_spill_count: 0
    .symbol:         _ZN2at6native13lpmax_cleanupIbEEvPKT_NS0_19TensorListAddressesEi.kd
    .uniform_work_group_size: 1
    .uses_dynamic_stack: false
    .vgpr_count:     10
    .vgpr_spill_count: 0
    .wavefront_size: 64
  - .agpr_count:     0
    .args:
      - .offset:         0
        .size:           3368
        .value_kind:     by_value
      - .offset:         3368
        .size:           1
        .value_kind:     by_value
      - .address_space:  global
        .offset:         3376
        .size:           8
        .value_kind:     global_buffer
      - .offset:         3384
        .size:           4
        .value_kind:     by_value
      - .offset:         3392
        .size:           4
        .value_kind:     hidden_block_count_x
      - .offset:         3396
        .size:           4
        .value_kind:     hidden_block_count_y
      - .offset:         3400
        .size:           4
        .value_kind:     hidden_block_count_z
      - .offset:         3404
        .size:           2
        .value_kind:     hidden_group_size_x
      - .offset:         3406
        .size:           2
        .value_kind:     hidden_group_size_y
      - .offset:         3408
        .size:           2
        .value_kind:     hidden_group_size_z
      - .offset:         3410
        .size:           2
        .value_kind:     hidden_remainder_x
      - .offset:         3412
        .size:           2
        .value_kind:     hidden_remainder_y
      - .offset:         3414
        .size:           2
        .value_kind:     hidden_remainder_z
      - .offset:         3432
        .size:           8
        .value_kind:     hidden_global_offset_x
      - .offset:         3440
        .size:           8
        .value_kind:     hidden_global_offset_y
      - .offset:         3448
        .size:           8
        .value_kind:     hidden_global_offset_z
      - .offset:         3456
        .size:           2
        .value_kind:     hidden_grid_dims
    .group_segment_fixed_size: 4096
    .kernarg_segment_align: 8
    .kernarg_segment_size: 3648
    .language:       OpenCL C
    .language_version:
      - 2
      - 0
    .max_flat_workgroup_size: 512
    .name:           _ZN2at6native12_GLOBAL__N_125multi_tensor_apply_kernelINS1_18TensorListMetadataILi1EEENS0_13LpNormFunctorIdLNS0_8NormTypeE0EdLi1ELi1ELi0EEEJPdiEEEvT_T0_DpT1_
    .private_segment_fixed_size: 0
    .sgpr_count:     28
    .sgpr_spill_count: 0
    .symbol:         _ZN2at6native12_GLOBAL__N_125multi_tensor_apply_kernelINS1_18TensorListMetadataILi1EEENS0_13LpNormFunctorIdLNS0_8NormTypeE0EdLi1ELi1ELi0EEEJPdiEEEvT_T0_DpT1_.kd
    .uniform_work_group_size: 1
    .uses_dynamic_stack: false
    .vgpr_count:     28
    .vgpr_spill_count: 0
    .wavefront_size: 64
  - .agpr_count:     0
    .args:
      - .offset:         0
        .size:           3368
        .value_kind:     by_value
      - .offset:         3368
        .size:           1
        .value_kind:     by_value
      - .address_space:  global
        .offset:         3376
        .size:           8
        .value_kind:     global_buffer
      - .offset:         3384
        .size:           4
        .value_kind:     by_value
      - .offset:         3392
        .size:           4
        .value_kind:     hidden_block_count_x
      - .offset:         3396
        .size:           4
        .value_kind:     hidden_block_count_y
      - .offset:         3400
        .size:           4
        .value_kind:     hidden_block_count_z
      - .offset:         3404
        .size:           2
        .value_kind:     hidden_group_size_x
      - .offset:         3406
        .size:           2
        .value_kind:     hidden_group_size_y
      - .offset:         3408
        .size:           2
        .value_kind:     hidden_group_size_z
      - .offset:         3410
        .size:           2
        .value_kind:     hidden_remainder_x
      - .offset:         3412
        .size:           2
        .value_kind:     hidden_remainder_y
      - .offset:         3414
        .size:           2
        .value_kind:     hidden_remainder_z
      - .offset:         3432
        .size:           8
        .value_kind:     hidden_global_offset_x
      - .offset:         3440
        .size:           8
        .value_kind:     hidden_global_offset_y
      - .offset:         3448
        .size:           8
        .value_kind:     hidden_global_offset_z
      - .offset:         3456
        .size:           2
        .value_kind:     hidden_grid_dims
    .group_segment_fixed_size: 4096
    .kernarg_segment_align: 8
    .kernarg_segment_size: 3648
    .language:       OpenCL C
    .language_version:
      - 2
      - 0
    .max_flat_workgroup_size: 512
    .name:           _ZN2at6native12_GLOBAL__N_125multi_tensor_apply_kernelINS1_18TensorListMetadataILi1EEENS0_13LpNormFunctorIdLNS0_8NormTypeE1EdLi1ELi1ELi0EEEJPdiEEEvT_T0_DpT1_
    .private_segment_fixed_size: 0
    .sgpr_count:     28
    .sgpr_spill_count: 0
    .symbol:         _ZN2at6native12_GLOBAL__N_125multi_tensor_apply_kernelINS1_18TensorListMetadataILi1EEENS0_13LpNormFunctorIdLNS0_8NormTypeE1EdLi1ELi1ELi0EEEJPdiEEEvT_T0_DpT1_.kd
    .uniform_work_group_size: 1
    .uses_dynamic_stack: false
    .vgpr_count:     24
    .vgpr_spill_count: 0
    .wavefront_size: 64
  - .agpr_count:     0
    .args:
      - .offset:         0
        .size:           3368
        .value_kind:     by_value
      - .offset:         3368
        .size:           1
        .value_kind:     by_value
      - .address_space:  global
        .offset:         3376
        .size:           8
        .value_kind:     global_buffer
      - .offset:         3384
        .size:           4
        .value_kind:     by_value
      - .offset:         3392
        .size:           4
        .value_kind:     hidden_block_count_x
      - .offset:         3396
        .size:           4
        .value_kind:     hidden_block_count_y
      - .offset:         3400
        .size:           4
        .value_kind:     hidden_block_count_z
      - .offset:         3404
        .size:           2
        .value_kind:     hidden_group_size_x
      - .offset:         3406
        .size:           2
        .value_kind:     hidden_group_size_y
      - .offset:         3408
        .size:           2
        .value_kind:     hidden_group_size_z
      - .offset:         3410
        .size:           2
        .value_kind:     hidden_remainder_x
      - .offset:         3412
        .size:           2
        .value_kind:     hidden_remainder_y
      - .offset:         3414
        .size:           2
        .value_kind:     hidden_remainder_z
      - .offset:         3432
        .size:           8
        .value_kind:     hidden_global_offset_x
      - .offset:         3440
        .size:           8
        .value_kind:     hidden_global_offset_y
      - .offset:         3448
        .size:           8
        .value_kind:     hidden_global_offset_z
      - .offset:         3456
        .size:           2
        .value_kind:     hidden_grid_dims
    .group_segment_fixed_size: 4096
    .kernarg_segment_align: 8
    .kernarg_segment_size: 3648
    .language:       OpenCL C
    .language_version:
      - 2
      - 0
    .max_flat_workgroup_size: 512
    .name:           _ZN2at6native12_GLOBAL__N_125multi_tensor_apply_kernelINS1_18TensorListMetadataILi1EEENS0_13LpNormFunctorIdLNS0_8NormTypeE2EdLi1ELi1ELi0EEEJPdiEEEvT_T0_DpT1_
    .private_segment_fixed_size: 0
    .sgpr_count:     28
    .sgpr_spill_count: 0
    .symbol:         _ZN2at6native12_GLOBAL__N_125multi_tensor_apply_kernelINS1_18TensorListMetadataILi1EEENS0_13LpNormFunctorIdLNS0_8NormTypeE2EdLi1ELi1ELi0EEEJPdiEEEvT_T0_DpT1_.kd
    .uniform_work_group_size: 1
    .uses_dynamic_stack: false
    .vgpr_count:     24
    .vgpr_spill_count: 0
    .wavefront_size: 64
  - .agpr_count:     0
    .args:
      - .offset:         0
        .size:           3368
        .value_kind:     by_value
      - .offset:         3368
        .size:           1
        .value_kind:     by_value
      - .address_space:  global
        .offset:         3376
        .size:           8
        .value_kind:     global_buffer
      - .offset:         3384
        .size:           4
        .value_kind:     by_value
      - .offset:         3392
        .size:           4
        .value_kind:     hidden_block_count_x
      - .offset:         3396
        .size:           4
        .value_kind:     hidden_block_count_y
      - .offset:         3400
        .size:           4
        .value_kind:     hidden_block_count_z
      - .offset:         3404
        .size:           2
        .value_kind:     hidden_group_size_x
      - .offset:         3406
        .size:           2
        .value_kind:     hidden_group_size_y
      - .offset:         3408
        .size:           2
        .value_kind:     hidden_group_size_z
      - .offset:         3410
        .size:           2
        .value_kind:     hidden_remainder_x
      - .offset:         3412
        .size:           2
        .value_kind:     hidden_remainder_y
      - .offset:         3414
        .size:           2
        .value_kind:     hidden_remainder_z
      - .offset:         3432
        .size:           8
        .value_kind:     hidden_global_offset_x
      - .offset:         3440
        .size:           8
        .value_kind:     hidden_global_offset_y
      - .offset:         3448
        .size:           8
        .value_kind:     hidden_global_offset_z
      - .offset:         3456
        .size:           2
        .value_kind:     hidden_grid_dims
    .group_segment_fixed_size: 4096
    .kernarg_segment_align: 8
    .kernarg_segment_size: 3648
    .language:       OpenCL C
    .language_version:
      - 2
      - 0
    .max_flat_workgroup_size: 512
    .name:           _ZN2at6native12_GLOBAL__N_125multi_tensor_apply_kernelINS1_18TensorListMetadataILi1EEENS0_13LpNormFunctorIdLNS0_8NormTypeE3EdLi1ELi1ELi0EEEJPdiEEEvT_T0_DpT1_
    .private_segment_fixed_size: 0
    .sgpr_count:     38
    .sgpr_spill_count: 0
    .symbol:         _ZN2at6native12_GLOBAL__N_125multi_tensor_apply_kernelINS1_18TensorListMetadataILi1EEENS0_13LpNormFunctorIdLNS0_8NormTypeE3EdLi1ELi1ELi0EEEJPdiEEEvT_T0_DpT1_.kd
    .uniform_work_group_size: 1
    .uses_dynamic_stack: false
    .vgpr_count:     24
    .vgpr_spill_count: 0
    .wavefront_size: 64
  - .agpr_count:     0
    .args:
      - .address_space:  global
        .offset:         0
        .size:           8
        .value_kind:     global_buffer
      - .offset:         8
        .size:           3200
        .value_kind:     by_value
      - .offset:         3208
        .size:           4
        .value_kind:     by_value
      - .offset:         3216
        .size:           4
        .value_kind:     hidden_block_count_x
      - .offset:         3220
        .size:           4
        .value_kind:     hidden_block_count_y
      - .offset:         3224
        .size:           4
        .value_kind:     hidden_block_count_z
      - .offset:         3228
        .size:           2
        .value_kind:     hidden_group_size_x
      - .offset:         3230
        .size:           2
        .value_kind:     hidden_group_size_y
      - .offset:         3232
        .size:           2
        .value_kind:     hidden_group_size_z
      - .offset:         3234
        .size:           2
        .value_kind:     hidden_remainder_x
      - .offset:         3236
        .size:           2
        .value_kind:     hidden_remainder_y
      - .offset:         3238
        .size:           2
        .value_kind:     hidden_remainder_z
      - .offset:         3256
        .size:           8
        .value_kind:     hidden_global_offset_x
      - .offset:         3264
        .size:           8
        .value_kind:     hidden_global_offset_y
      - .offset:         3272
        .size:           8
        .value_kind:     hidden_global_offset_z
      - .offset:         3280
        .size:           2
        .value_kind:     hidden_grid_dims
    .group_segment_fixed_size: 4096
    .kernarg_segment_align: 8
    .kernarg_segment_size: 3472
    .language:       OpenCL C
    .language_version:
      - 2
      - 0
    .max_flat_workgroup_size: 1024
    .name:           _ZN2at6native14lpnorm_cleanupIdLNS0_8NormTypeE0EdLb1EdEEvPKT3_NS0_19TensorListAddressesEi
    .private_segment_fixed_size: 0
    .sgpr_count:     22
    .sgpr_spill_count: 0
    .symbol:         _ZN2at6native14lpnorm_cleanupIdLNS0_8NormTypeE0EdLb1EdEEvPKT3_NS0_19TensorListAddressesEi.kd
    .uniform_work_group_size: 1
    .uses_dynamic_stack: false
    .vgpr_count:     13
    .vgpr_spill_count: 0
    .wavefront_size: 64
  - .agpr_count:     0
    .args:
      - .address_space:  global
        .offset:         0
        .size:           8
        .value_kind:     global_buffer
      - .offset:         8
        .size:           3200
        .value_kind:     by_value
      - .offset:         3208
        .size:           4
        .value_kind:     by_value
      - .offset:         3216
        .size:           4
        .value_kind:     hidden_block_count_x
      - .offset:         3220
        .size:           4
        .value_kind:     hidden_block_count_y
      - .offset:         3224
        .size:           4
        .value_kind:     hidden_block_count_z
      - .offset:         3228
        .size:           2
        .value_kind:     hidden_group_size_x
      - .offset:         3230
        .size:           2
        .value_kind:     hidden_group_size_y
      - .offset:         3232
        .size:           2
        .value_kind:     hidden_group_size_z
      - .offset:         3234
        .size:           2
        .value_kind:     hidden_remainder_x
      - .offset:         3236
        .size:           2
        .value_kind:     hidden_remainder_y
      - .offset:         3238
        .size:           2
        .value_kind:     hidden_remainder_z
      - .offset:         3256
        .size:           8
        .value_kind:     hidden_global_offset_x
      - .offset:         3264
        .size:           8
        .value_kind:     hidden_global_offset_y
      - .offset:         3272
        .size:           8
        .value_kind:     hidden_global_offset_z
      - .offset:         3280
        .size:           2
        .value_kind:     hidden_grid_dims
    .group_segment_fixed_size: 4096
    .kernarg_segment_align: 8
    .kernarg_segment_size: 3472
    .language:       OpenCL C
    .language_version:
      - 2
      - 0
    .max_flat_workgroup_size: 1024
    .name:           _ZN2at6native14lpnorm_cleanupIdLNS0_8NormTypeE1EdLb1EdEEvPKT3_NS0_19TensorListAddressesEi
    .private_segment_fixed_size: 0
    .sgpr_count:     22
    .sgpr_spill_count: 0
    .symbol:         _ZN2at6native14lpnorm_cleanupIdLNS0_8NormTypeE1EdLb1EdEEvPKT3_NS0_19TensorListAddressesEi.kd
    .uniform_work_group_size: 1
    .uses_dynamic_stack: false
    .vgpr_count:     13
    .vgpr_spill_count: 0
    .wavefront_size: 64
  - .agpr_count:     0
    .args:
      - .address_space:  global
        .offset:         0
        .size:           8
        .value_kind:     global_buffer
      - .offset:         8
        .size:           3200
        .value_kind:     by_value
      - .offset:         3208
        .size:           4
        .value_kind:     by_value
      - .offset:         3216
        .size:           4
        .value_kind:     hidden_block_count_x
      - .offset:         3220
        .size:           4
        .value_kind:     hidden_block_count_y
      - .offset:         3224
        .size:           4
        .value_kind:     hidden_block_count_z
      - .offset:         3228
        .size:           2
        .value_kind:     hidden_group_size_x
      - .offset:         3230
        .size:           2
        .value_kind:     hidden_group_size_y
      - .offset:         3232
        .size:           2
        .value_kind:     hidden_group_size_z
      - .offset:         3234
        .size:           2
        .value_kind:     hidden_remainder_x
      - .offset:         3236
        .size:           2
        .value_kind:     hidden_remainder_y
      - .offset:         3238
        .size:           2
        .value_kind:     hidden_remainder_z
      - .offset:         3256
        .size:           8
        .value_kind:     hidden_global_offset_x
      - .offset:         3264
        .size:           8
        .value_kind:     hidden_global_offset_y
      - .offset:         3272
        .size:           8
        .value_kind:     hidden_global_offset_z
      - .offset:         3280
        .size:           2
        .value_kind:     hidden_grid_dims
    .group_segment_fixed_size: 4096
    .kernarg_segment_align: 8
    .kernarg_segment_size: 3472
    .language:       OpenCL C
    .language_version:
      - 2
      - 0
    .max_flat_workgroup_size: 1024
    .name:           _ZN2at6native14lpnorm_cleanupIdLNS0_8NormTypeE2EdLb1EdEEvPKT3_NS0_19TensorListAddressesEi
    .private_segment_fixed_size: 0
    .sgpr_count:     22
    .sgpr_spill_count: 0
    .symbol:         _ZN2at6native14lpnorm_cleanupIdLNS0_8NormTypeE2EdLb1EdEEvPKT3_NS0_19TensorListAddressesEi.kd
    .uniform_work_group_size: 1
    .uses_dynamic_stack: false
    .vgpr_count:     13
    .vgpr_spill_count: 0
    .wavefront_size: 64
  - .agpr_count:     0
    .args:
      - .address_space:  global
        .offset:         0
        .size:           8
        .value_kind:     global_buffer
      - .offset:         8
        .size:           3200
        .value_kind:     by_value
      - .offset:         3208
        .size:           4
        .value_kind:     by_value
      - .offset:         3216
        .size:           4
        .value_kind:     hidden_block_count_x
      - .offset:         3220
        .size:           4
        .value_kind:     hidden_block_count_y
      - .offset:         3224
        .size:           4
        .value_kind:     hidden_block_count_z
      - .offset:         3228
        .size:           2
        .value_kind:     hidden_group_size_x
      - .offset:         3230
        .size:           2
        .value_kind:     hidden_group_size_y
      - .offset:         3232
        .size:           2
        .value_kind:     hidden_group_size_z
      - .offset:         3234
        .size:           2
        .value_kind:     hidden_remainder_x
      - .offset:         3236
        .size:           2
        .value_kind:     hidden_remainder_y
      - .offset:         3238
        .size:           2
        .value_kind:     hidden_remainder_z
      - .offset:         3256
        .size:           8
        .value_kind:     hidden_global_offset_x
      - .offset:         3264
        .size:           8
        .value_kind:     hidden_global_offset_y
      - .offset:         3272
        .size:           8
        .value_kind:     hidden_global_offset_z
      - .offset:         3280
        .size:           2
        .value_kind:     hidden_grid_dims
    .group_segment_fixed_size: 4096
    .kernarg_segment_align: 8
    .kernarg_segment_size: 3472
    .language:       OpenCL C
    .language_version:
      - 2
      - 0
    .max_flat_workgroup_size: 1024
    .name:           _ZN2at6native14lpnorm_cleanupIdLNS0_8NormTypeE3EdLb1EdEEvPKT3_NS0_19TensorListAddressesEi
    .private_segment_fixed_size: 0
    .sgpr_count:     24
    .sgpr_spill_count: 0
    .symbol:         _ZN2at6native14lpnorm_cleanupIdLNS0_8NormTypeE3EdLb1EdEEvPKT3_NS0_19TensorListAddressesEi.kd
    .uniform_work_group_size: 1
    .uses_dynamic_stack: false
    .vgpr_count:     13
    .vgpr_spill_count: 0
    .wavefront_size: 64
  - .agpr_count:     0
    .args:
      - .offset:         0
        .size:           3368
        .value_kind:     by_value
      - .offset:         3368
        .size:           1
        .value_kind:     by_value
      - .address_space:  global
        .offset:         3376
        .size:           8
        .value_kind:     global_buffer
      - .offset:         3384
        .size:           4
        .value_kind:     by_value
      - .offset:         3392
        .size:           4
        .value_kind:     hidden_block_count_x
      - .offset:         3396
        .size:           4
        .value_kind:     hidden_block_count_y
      - .offset:         3400
        .size:           4
        .value_kind:     hidden_block_count_z
      - .offset:         3404
        .size:           2
        .value_kind:     hidden_group_size_x
      - .offset:         3406
        .size:           2
        .value_kind:     hidden_group_size_y
      - .offset:         3408
        .size:           2
        .value_kind:     hidden_group_size_z
      - .offset:         3410
        .size:           2
        .value_kind:     hidden_remainder_x
      - .offset:         3412
        .size:           2
        .value_kind:     hidden_remainder_y
      - .offset:         3414
        .size:           2
        .value_kind:     hidden_remainder_z
      - .offset:         3432
        .size:           8
        .value_kind:     hidden_global_offset_x
      - .offset:         3440
        .size:           8
        .value_kind:     hidden_global_offset_y
      - .offset:         3448
        .size:           8
        .value_kind:     hidden_global_offset_z
      - .offset:         3456
        .size:           2
        .value_kind:     hidden_grid_dims
    .group_segment_fixed_size: 2048
    .kernarg_segment_align: 8
    .kernarg_segment_size: 3648
    .language:       OpenCL C
    .language_version:
      - 2
      - 0
    .max_flat_workgroup_size: 512
    .name:           _ZN2at6native12_GLOBAL__N_125multi_tensor_apply_kernelINS1_18TensorListMetadataILi1EEENS0_13LpNormFunctorIdLNS0_8NormTypeE0EfLi1ELi1ELi0EEEJPfiEEEvT_T0_DpT1_
    .private_segment_fixed_size: 0
    .sgpr_count:     26
    .sgpr_spill_count: 0
    .symbol:         _ZN2at6native12_GLOBAL__N_125multi_tensor_apply_kernelINS1_18TensorListMetadataILi1EEENS0_13LpNormFunctorIdLNS0_8NormTypeE0EfLi1ELi1ELi0EEEJPfiEEEvT_T0_DpT1_.kd
    .uniform_work_group_size: 1
    .uses_dynamic_stack: false
    .vgpr_count:     22
    .vgpr_spill_count: 0
    .wavefront_size: 64
  - .agpr_count:     0
    .args:
      - .offset:         0
        .size:           3368
        .value_kind:     by_value
      - .offset:         3368
        .size:           1
        .value_kind:     by_value
      - .address_space:  global
        .offset:         3376
        .size:           8
        .value_kind:     global_buffer
      - .offset:         3384
        .size:           4
        .value_kind:     by_value
      - .offset:         3392
        .size:           4
        .value_kind:     hidden_block_count_x
      - .offset:         3396
        .size:           4
        .value_kind:     hidden_block_count_y
      - .offset:         3400
        .size:           4
        .value_kind:     hidden_block_count_z
      - .offset:         3404
        .size:           2
        .value_kind:     hidden_group_size_x
      - .offset:         3406
        .size:           2
        .value_kind:     hidden_group_size_y
      - .offset:         3408
        .size:           2
        .value_kind:     hidden_group_size_z
      - .offset:         3410
        .size:           2
        .value_kind:     hidden_remainder_x
      - .offset:         3412
        .size:           2
        .value_kind:     hidden_remainder_y
      - .offset:         3414
        .size:           2
        .value_kind:     hidden_remainder_z
      - .offset:         3432
        .size:           8
        .value_kind:     hidden_global_offset_x
      - .offset:         3440
        .size:           8
        .value_kind:     hidden_global_offset_y
      - .offset:         3448
        .size:           8
        .value_kind:     hidden_global_offset_z
      - .offset:         3456
        .size:           2
        .value_kind:     hidden_grid_dims
    .group_segment_fixed_size: 2048
    .kernarg_segment_align: 8
    .kernarg_segment_size: 3648
    .language:       OpenCL C
    .language_version:
      - 2
      - 0
    .max_flat_workgroup_size: 512
    .name:           _ZN2at6native12_GLOBAL__N_125multi_tensor_apply_kernelINS1_18TensorListMetadataILi1EEENS0_13LpNormFunctorIdLNS0_8NormTypeE1EfLi1ELi1ELi0EEEJPfiEEEvT_T0_DpT1_
    .private_segment_fixed_size: 0
    .sgpr_count:     26
    .sgpr_spill_count: 0
    .symbol:         _ZN2at6native12_GLOBAL__N_125multi_tensor_apply_kernelINS1_18TensorListMetadataILi1EEENS0_13LpNormFunctorIdLNS0_8NormTypeE1EfLi1ELi1ELi0EEEJPfiEEEvT_T0_DpT1_.kd
    .uniform_work_group_size: 1
    .uses_dynamic_stack: false
    .vgpr_count:     20
    .vgpr_spill_count: 0
    .wavefront_size: 64
  - .agpr_count:     0
    .args:
      - .offset:         0
        .size:           3368
        .value_kind:     by_value
      - .offset:         3368
        .size:           1
        .value_kind:     by_value
      - .address_space:  global
        .offset:         3376
        .size:           8
        .value_kind:     global_buffer
      - .offset:         3384
        .size:           4
        .value_kind:     by_value
      - .offset:         3392
        .size:           4
        .value_kind:     hidden_block_count_x
      - .offset:         3396
        .size:           4
        .value_kind:     hidden_block_count_y
      - .offset:         3400
        .size:           4
        .value_kind:     hidden_block_count_z
      - .offset:         3404
        .size:           2
        .value_kind:     hidden_group_size_x
      - .offset:         3406
        .size:           2
        .value_kind:     hidden_group_size_y
      - .offset:         3408
        .size:           2
        .value_kind:     hidden_group_size_z
      - .offset:         3410
        .size:           2
        .value_kind:     hidden_remainder_x
      - .offset:         3412
        .size:           2
        .value_kind:     hidden_remainder_y
      - .offset:         3414
        .size:           2
        .value_kind:     hidden_remainder_z
      - .offset:         3432
        .size:           8
        .value_kind:     hidden_global_offset_x
      - .offset:         3440
        .size:           8
        .value_kind:     hidden_global_offset_y
      - .offset:         3448
        .size:           8
        .value_kind:     hidden_global_offset_z
      - .offset:         3456
        .size:           2
        .value_kind:     hidden_grid_dims
    .group_segment_fixed_size: 2048
    .kernarg_segment_align: 8
    .kernarg_segment_size: 3648
    .language:       OpenCL C
    .language_version:
      - 2
      - 0
    .max_flat_workgroup_size: 512
    .name:           _ZN2at6native12_GLOBAL__N_125multi_tensor_apply_kernelINS1_18TensorListMetadataILi1EEENS0_13LpNormFunctorIdLNS0_8NormTypeE2EfLi1ELi1ELi0EEEJPfiEEEvT_T0_DpT1_
    .private_segment_fixed_size: 0
    .sgpr_count:     26
    .sgpr_spill_count: 0
    .symbol:         _ZN2at6native12_GLOBAL__N_125multi_tensor_apply_kernelINS1_18TensorListMetadataILi1EEENS0_13LpNormFunctorIdLNS0_8NormTypeE2EfLi1ELi1ELi0EEEJPfiEEEvT_T0_DpT1_.kd
    .uniform_work_group_size: 1
    .uses_dynamic_stack: false
    .vgpr_count:     22
    .vgpr_spill_count: 0
    .wavefront_size: 64
  - .agpr_count:     0
    .args:
      - .offset:         0
        .size:           3368
        .value_kind:     by_value
      - .offset:         3368
        .size:           1
        .value_kind:     by_value
      - .address_space:  global
        .offset:         3376
        .size:           8
        .value_kind:     global_buffer
      - .offset:         3384
        .size:           4
        .value_kind:     by_value
      - .offset:         3392
        .size:           4
        .value_kind:     hidden_block_count_x
      - .offset:         3396
        .size:           4
        .value_kind:     hidden_block_count_y
      - .offset:         3400
        .size:           4
        .value_kind:     hidden_block_count_z
      - .offset:         3404
        .size:           2
        .value_kind:     hidden_group_size_x
      - .offset:         3406
        .size:           2
        .value_kind:     hidden_group_size_y
      - .offset:         3408
        .size:           2
        .value_kind:     hidden_group_size_z
      - .offset:         3410
        .size:           2
        .value_kind:     hidden_remainder_x
      - .offset:         3412
        .size:           2
        .value_kind:     hidden_remainder_y
      - .offset:         3414
        .size:           2
        .value_kind:     hidden_remainder_z
      - .offset:         3432
        .size:           8
        .value_kind:     hidden_global_offset_x
      - .offset:         3440
        .size:           8
        .value_kind:     hidden_global_offset_y
      - .offset:         3448
        .size:           8
        .value_kind:     hidden_global_offset_z
      - .offset:         3456
        .size:           2
        .value_kind:     hidden_grid_dims
    .group_segment_fixed_size: 2048
    .kernarg_segment_align: 8
    .kernarg_segment_size: 3648
    .language:       OpenCL C
    .language_version:
      - 2
      - 0
    .max_flat_workgroup_size: 512
    .name:           _ZN2at6native12_GLOBAL__N_125multi_tensor_apply_kernelINS1_18TensorListMetadataILi1EEENS0_13LpNormFunctorIdLNS0_8NormTypeE3EfLi1ELi1ELi0EEEJPfiEEEvT_T0_DpT1_
    .private_segment_fixed_size: 0
    .sgpr_count:     38
    .sgpr_spill_count: 0
    .symbol:         _ZN2at6native12_GLOBAL__N_125multi_tensor_apply_kernelINS1_18TensorListMetadataILi1EEENS0_13LpNormFunctorIdLNS0_8NormTypeE3EfLi1ELi1ELi0EEEJPfiEEEvT_T0_DpT1_.kd
    .uniform_work_group_size: 1
    .uses_dynamic_stack: false
    .vgpr_count:     22
    .vgpr_spill_count: 0
    .wavefront_size: 64
  - .agpr_count:     0
    .args:
      - .address_space:  global
        .offset:         0
        .size:           8
        .value_kind:     global_buffer
      - .offset:         8
        .size:           3200
        .value_kind:     by_value
      - .offset:         3208
        .size:           4
        .value_kind:     by_value
      - .offset:         3216
        .size:           4
        .value_kind:     hidden_block_count_x
      - .offset:         3220
        .size:           4
        .value_kind:     hidden_block_count_y
      - .offset:         3224
        .size:           4
        .value_kind:     hidden_block_count_z
      - .offset:         3228
        .size:           2
        .value_kind:     hidden_group_size_x
      - .offset:         3230
        .size:           2
        .value_kind:     hidden_group_size_y
      - .offset:         3232
        .size:           2
        .value_kind:     hidden_group_size_z
      - .offset:         3234
        .size:           2
        .value_kind:     hidden_remainder_x
      - .offset:         3236
        .size:           2
        .value_kind:     hidden_remainder_y
      - .offset:         3238
        .size:           2
        .value_kind:     hidden_remainder_z
      - .offset:         3256
        .size:           8
        .value_kind:     hidden_global_offset_x
      - .offset:         3264
        .size:           8
        .value_kind:     hidden_global_offset_y
      - .offset:         3272
        .size:           8
        .value_kind:     hidden_global_offset_z
      - .offset:         3280
        .size:           2
        .value_kind:     hidden_grid_dims
    .group_segment_fixed_size: 2048
    .kernarg_segment_align: 8
    .kernarg_segment_size: 3472
    .language:       OpenCL C
    .language_version:
      - 2
      - 0
    .max_flat_workgroup_size: 1024
    .name:           _ZN2at6native14lpnorm_cleanupIdLNS0_8NormTypeE0EfLb1EfEEvPKT3_NS0_19TensorListAddressesEi
    .private_segment_fixed_size: 0
    .sgpr_count:     22
    .sgpr_spill_count: 0
    .symbol:         _ZN2at6native14lpnorm_cleanupIdLNS0_8NormTypeE0EfLb1EfEEvPKT3_NS0_19TensorListAddressesEi.kd
    .uniform_work_group_size: 1
    .uses_dynamic_stack: false
    .vgpr_count:     11
    .vgpr_spill_count: 0
    .wavefront_size: 64
  - .agpr_count:     0
    .args:
      - .address_space:  global
        .offset:         0
        .size:           8
        .value_kind:     global_buffer
      - .offset:         8
        .size:           3200
        .value_kind:     by_value
      - .offset:         3208
        .size:           4
        .value_kind:     by_value
      - .offset:         3216
        .size:           4
        .value_kind:     hidden_block_count_x
      - .offset:         3220
        .size:           4
        .value_kind:     hidden_block_count_y
      - .offset:         3224
        .size:           4
        .value_kind:     hidden_block_count_z
      - .offset:         3228
        .size:           2
        .value_kind:     hidden_group_size_x
      - .offset:         3230
        .size:           2
        .value_kind:     hidden_group_size_y
      - .offset:         3232
        .size:           2
        .value_kind:     hidden_group_size_z
      - .offset:         3234
        .size:           2
        .value_kind:     hidden_remainder_x
      - .offset:         3236
        .size:           2
        .value_kind:     hidden_remainder_y
      - .offset:         3238
        .size:           2
        .value_kind:     hidden_remainder_z
      - .offset:         3256
        .size:           8
        .value_kind:     hidden_global_offset_x
      - .offset:         3264
        .size:           8
        .value_kind:     hidden_global_offset_y
      - .offset:         3272
        .size:           8
        .value_kind:     hidden_global_offset_z
      - .offset:         3280
        .size:           2
        .value_kind:     hidden_grid_dims
    .group_segment_fixed_size: 2048
    .kernarg_segment_align: 8
    .kernarg_segment_size: 3472
    .language:       OpenCL C
    .language_version:
      - 2
      - 0
    .max_flat_workgroup_size: 1024
    .name:           _ZN2at6native14lpnorm_cleanupIdLNS0_8NormTypeE1EfLb1EfEEvPKT3_NS0_19TensorListAddressesEi
    .private_segment_fixed_size: 0
    .sgpr_count:     22
    .sgpr_spill_count: 0
    .symbol:         _ZN2at6native14lpnorm_cleanupIdLNS0_8NormTypeE1EfLb1EfEEvPKT3_NS0_19TensorListAddressesEi.kd
    .uniform_work_group_size: 1
    .uses_dynamic_stack: false
    .vgpr_count:     11
    .vgpr_spill_count: 0
    .wavefront_size: 64
  - .agpr_count:     0
    .args:
      - .address_space:  global
        .offset:         0
        .size:           8
        .value_kind:     global_buffer
      - .offset:         8
        .size:           3200
        .value_kind:     by_value
      - .offset:         3208
        .size:           4
        .value_kind:     by_value
      - .offset:         3216
        .size:           4
        .value_kind:     hidden_block_count_x
      - .offset:         3220
        .size:           4
        .value_kind:     hidden_block_count_y
      - .offset:         3224
        .size:           4
        .value_kind:     hidden_block_count_z
      - .offset:         3228
        .size:           2
        .value_kind:     hidden_group_size_x
      - .offset:         3230
        .size:           2
        .value_kind:     hidden_group_size_y
      - .offset:         3232
        .size:           2
        .value_kind:     hidden_group_size_z
      - .offset:         3234
        .size:           2
        .value_kind:     hidden_remainder_x
      - .offset:         3236
        .size:           2
        .value_kind:     hidden_remainder_y
      - .offset:         3238
        .size:           2
        .value_kind:     hidden_remainder_z
      - .offset:         3256
        .size:           8
        .value_kind:     hidden_global_offset_x
      - .offset:         3264
        .size:           8
        .value_kind:     hidden_global_offset_y
      - .offset:         3272
        .size:           8
        .value_kind:     hidden_global_offset_z
      - .offset:         3280
        .size:           2
        .value_kind:     hidden_grid_dims
    .group_segment_fixed_size: 2048
    .kernarg_segment_align: 8
    .kernarg_segment_size: 3472
    .language:       OpenCL C
    .language_version:
      - 2
      - 0
    .max_flat_workgroup_size: 1024
    .name:           _ZN2at6native14lpnorm_cleanupIdLNS0_8NormTypeE2EfLb1EfEEvPKT3_NS0_19TensorListAddressesEi
    .private_segment_fixed_size: 0
    .sgpr_count:     22
    .sgpr_spill_count: 0
    .symbol:         _ZN2at6native14lpnorm_cleanupIdLNS0_8NormTypeE2EfLb1EfEEvPKT3_NS0_19TensorListAddressesEi.kd
    .uniform_work_group_size: 1
    .uses_dynamic_stack: false
    .vgpr_count:     11
    .vgpr_spill_count: 0
    .wavefront_size: 64
  - .agpr_count:     0
    .args:
      - .address_space:  global
        .offset:         0
        .size:           8
        .value_kind:     global_buffer
      - .offset:         8
        .size:           3200
        .value_kind:     by_value
      - .offset:         3208
        .size:           4
        .value_kind:     by_value
      - .offset:         3216
        .size:           4
        .value_kind:     hidden_block_count_x
      - .offset:         3220
        .size:           4
        .value_kind:     hidden_block_count_y
      - .offset:         3224
        .size:           4
        .value_kind:     hidden_block_count_z
      - .offset:         3228
        .size:           2
        .value_kind:     hidden_group_size_x
      - .offset:         3230
        .size:           2
        .value_kind:     hidden_group_size_y
      - .offset:         3232
        .size:           2
        .value_kind:     hidden_group_size_z
      - .offset:         3234
        .size:           2
        .value_kind:     hidden_remainder_x
      - .offset:         3236
        .size:           2
        .value_kind:     hidden_remainder_y
      - .offset:         3238
        .size:           2
        .value_kind:     hidden_remainder_z
      - .offset:         3256
        .size:           8
        .value_kind:     hidden_global_offset_x
      - .offset:         3264
        .size:           8
        .value_kind:     hidden_global_offset_y
      - .offset:         3272
        .size:           8
        .value_kind:     hidden_global_offset_z
      - .offset:         3280
        .size:           2
        .value_kind:     hidden_grid_dims
    .group_segment_fixed_size: 2048
    .kernarg_segment_align: 8
    .kernarg_segment_size: 3472
    .language:       OpenCL C
    .language_version:
      - 2
      - 0
    .max_flat_workgroup_size: 1024
    .name:           _ZN2at6native14lpnorm_cleanupIdLNS0_8NormTypeE3EfLb1EfEEvPKT3_NS0_19TensorListAddressesEi
    .private_segment_fixed_size: 0
    .sgpr_count:     24
    .sgpr_spill_count: 0
    .symbol:         _ZN2at6native14lpnorm_cleanupIdLNS0_8NormTypeE3EfLb1EfEEvPKT3_NS0_19TensorListAddressesEi.kd
    .uniform_work_group_size: 1
    .uses_dynamic_stack: false
    .vgpr_count:     11
    .vgpr_spill_count: 0
    .wavefront_size: 64
  - .agpr_count:     0
    .args:
      - .offset:         0
        .size:           3368
        .value_kind:     by_value
      - .offset:         3368
        .size:           1
        .value_kind:     by_value
      - .address_space:  global
        .offset:         3376
        .size:           8
        .value_kind:     global_buffer
      - .offset:         3384
        .size:           4
        .value_kind:     by_value
      - .offset:         3392
        .size:           4
        .value_kind:     hidden_block_count_x
      - .offset:         3396
        .size:           4
        .value_kind:     hidden_block_count_y
      - .offset:         3400
        .size:           4
        .value_kind:     hidden_block_count_z
      - .offset:         3404
        .size:           2
        .value_kind:     hidden_group_size_x
      - .offset:         3406
        .size:           2
        .value_kind:     hidden_group_size_y
      - .offset:         3408
        .size:           2
        .value_kind:     hidden_group_size_z
      - .offset:         3410
        .size:           2
        .value_kind:     hidden_remainder_x
      - .offset:         3412
        .size:           2
        .value_kind:     hidden_remainder_y
      - .offset:         3414
        .size:           2
        .value_kind:     hidden_remainder_z
      - .offset:         3432
        .size:           8
        .value_kind:     hidden_global_offset_x
      - .offset:         3440
        .size:           8
        .value_kind:     hidden_global_offset_y
      - .offset:         3448
        .size:           8
        .value_kind:     hidden_global_offset_z
      - .offset:         3456
        .size:           2
        .value_kind:     hidden_grid_dims
    .group_segment_fixed_size: 2048
    .kernarg_segment_align: 8
    .kernarg_segment_size: 3648
    .language:       OpenCL C
    .language_version:
      - 2
      - 0
    .max_flat_workgroup_size: 512
    .name:           _ZN2at6native12_GLOBAL__N_125multi_tensor_apply_kernelINS1_18TensorListMetadataILi1EEENS0_13LpNormFunctorIdLNS0_8NormTypeE0EN3c104HalfELi1ELi1ELi0EEEJPfiEEEvT_T0_DpT1_
    .private_segment_fixed_size: 0
    .sgpr_count:     26
    .sgpr_spill_count: 0
    .symbol:         _ZN2at6native12_GLOBAL__N_125multi_tensor_apply_kernelINS1_18TensorListMetadataILi1EEENS0_13LpNormFunctorIdLNS0_8NormTypeE0EN3c104HalfELi1ELi1ELi0EEEJPfiEEEvT_T0_DpT1_.kd
    .uniform_work_group_size: 1
    .uses_dynamic_stack: false
    .vgpr_count:     22
    .vgpr_spill_count: 0
    .wavefront_size: 64
  - .agpr_count:     0
    .args:
      - .offset:         0
        .size:           3368
        .value_kind:     by_value
      - .offset:         3368
        .size:           1
        .value_kind:     by_value
      - .address_space:  global
        .offset:         3376
        .size:           8
        .value_kind:     global_buffer
      - .offset:         3384
        .size:           4
        .value_kind:     by_value
      - .offset:         3392
        .size:           4
        .value_kind:     hidden_block_count_x
      - .offset:         3396
        .size:           4
        .value_kind:     hidden_block_count_y
      - .offset:         3400
        .size:           4
        .value_kind:     hidden_block_count_z
      - .offset:         3404
        .size:           2
        .value_kind:     hidden_group_size_x
      - .offset:         3406
        .size:           2
        .value_kind:     hidden_group_size_y
      - .offset:         3408
        .size:           2
        .value_kind:     hidden_group_size_z
      - .offset:         3410
        .size:           2
        .value_kind:     hidden_remainder_x
      - .offset:         3412
        .size:           2
        .value_kind:     hidden_remainder_y
      - .offset:         3414
        .size:           2
        .value_kind:     hidden_remainder_z
      - .offset:         3432
        .size:           8
        .value_kind:     hidden_global_offset_x
      - .offset:         3440
        .size:           8
        .value_kind:     hidden_global_offset_y
      - .offset:         3448
        .size:           8
        .value_kind:     hidden_global_offset_z
      - .offset:         3456
        .size:           2
        .value_kind:     hidden_grid_dims
    .group_segment_fixed_size: 2048
    .kernarg_segment_align: 8
    .kernarg_segment_size: 3648
    .language:       OpenCL C
    .language_version:
      - 2
      - 0
    .max_flat_workgroup_size: 512
    .name:           _ZN2at6native12_GLOBAL__N_125multi_tensor_apply_kernelINS1_18TensorListMetadataILi1EEENS0_13LpNormFunctorIdLNS0_8NormTypeE1EN3c104HalfELi1ELi1ELi0EEEJPfiEEEvT_T0_DpT1_
    .private_segment_fixed_size: 0
    .sgpr_count:     26
    .sgpr_spill_count: 0
    .symbol:         _ZN2at6native12_GLOBAL__N_125multi_tensor_apply_kernelINS1_18TensorListMetadataILi1EEENS0_13LpNormFunctorIdLNS0_8NormTypeE1EN3c104HalfELi1ELi1ELi0EEEJPfiEEEvT_T0_DpT1_.kd
    .uniform_work_group_size: 1
    .uses_dynamic_stack: false
    .vgpr_count:     20
    .vgpr_spill_count: 0
    .wavefront_size: 64
  - .agpr_count:     0
    .args:
      - .offset:         0
        .size:           3368
        .value_kind:     by_value
      - .offset:         3368
        .size:           1
        .value_kind:     by_value
      - .address_space:  global
        .offset:         3376
        .size:           8
        .value_kind:     global_buffer
      - .offset:         3384
        .size:           4
        .value_kind:     by_value
      - .offset:         3392
        .size:           4
        .value_kind:     hidden_block_count_x
      - .offset:         3396
        .size:           4
        .value_kind:     hidden_block_count_y
      - .offset:         3400
        .size:           4
        .value_kind:     hidden_block_count_z
      - .offset:         3404
        .size:           2
        .value_kind:     hidden_group_size_x
      - .offset:         3406
        .size:           2
        .value_kind:     hidden_group_size_y
      - .offset:         3408
        .size:           2
        .value_kind:     hidden_group_size_z
      - .offset:         3410
        .size:           2
        .value_kind:     hidden_remainder_x
      - .offset:         3412
        .size:           2
        .value_kind:     hidden_remainder_y
      - .offset:         3414
        .size:           2
        .value_kind:     hidden_remainder_z
      - .offset:         3432
        .size:           8
        .value_kind:     hidden_global_offset_x
      - .offset:         3440
        .size:           8
        .value_kind:     hidden_global_offset_y
      - .offset:         3448
        .size:           8
        .value_kind:     hidden_global_offset_z
      - .offset:         3456
        .size:           2
        .value_kind:     hidden_grid_dims
    .group_segment_fixed_size: 2048
    .kernarg_segment_align: 8
    .kernarg_segment_size: 3648
    .language:       OpenCL C
    .language_version:
      - 2
      - 0
    .max_flat_workgroup_size: 512
    .name:           _ZN2at6native12_GLOBAL__N_125multi_tensor_apply_kernelINS1_18TensorListMetadataILi1EEENS0_13LpNormFunctorIdLNS0_8NormTypeE2EN3c104HalfELi1ELi1ELi0EEEJPfiEEEvT_T0_DpT1_
    .private_segment_fixed_size: 0
    .sgpr_count:     26
    .sgpr_spill_count: 0
    .symbol:         _ZN2at6native12_GLOBAL__N_125multi_tensor_apply_kernelINS1_18TensorListMetadataILi1EEENS0_13LpNormFunctorIdLNS0_8NormTypeE2EN3c104HalfELi1ELi1ELi0EEEJPfiEEEvT_T0_DpT1_.kd
    .uniform_work_group_size: 1
    .uses_dynamic_stack: false
    .vgpr_count:     22
    .vgpr_spill_count: 0
    .wavefront_size: 64
  - .agpr_count:     0
    .args:
      - .offset:         0
        .size:           3368
        .value_kind:     by_value
      - .offset:         3368
        .size:           1
        .value_kind:     by_value
      - .address_space:  global
        .offset:         3376
        .size:           8
        .value_kind:     global_buffer
      - .offset:         3384
        .size:           4
        .value_kind:     by_value
      - .offset:         3392
        .size:           4
        .value_kind:     hidden_block_count_x
      - .offset:         3396
        .size:           4
        .value_kind:     hidden_block_count_y
      - .offset:         3400
        .size:           4
        .value_kind:     hidden_block_count_z
      - .offset:         3404
        .size:           2
        .value_kind:     hidden_group_size_x
      - .offset:         3406
        .size:           2
        .value_kind:     hidden_group_size_y
      - .offset:         3408
        .size:           2
        .value_kind:     hidden_group_size_z
      - .offset:         3410
        .size:           2
        .value_kind:     hidden_remainder_x
      - .offset:         3412
        .size:           2
        .value_kind:     hidden_remainder_y
      - .offset:         3414
        .size:           2
        .value_kind:     hidden_remainder_z
      - .offset:         3432
        .size:           8
        .value_kind:     hidden_global_offset_x
      - .offset:         3440
        .size:           8
        .value_kind:     hidden_global_offset_y
      - .offset:         3448
        .size:           8
        .value_kind:     hidden_global_offset_z
      - .offset:         3456
        .size:           2
        .value_kind:     hidden_grid_dims
    .group_segment_fixed_size: 2048
    .kernarg_segment_align: 8
    .kernarg_segment_size: 3648
    .language:       OpenCL C
    .language_version:
      - 2
      - 0
    .max_flat_workgroup_size: 512
    .name:           _ZN2at6native12_GLOBAL__N_125multi_tensor_apply_kernelINS1_18TensorListMetadataILi1EEENS0_13LpNormFunctorIdLNS0_8NormTypeE3EN3c104HalfELi1ELi1ELi0EEEJPfiEEEvT_T0_DpT1_
    .private_segment_fixed_size: 0
    .sgpr_count:     38
    .sgpr_spill_count: 0
    .symbol:         _ZN2at6native12_GLOBAL__N_125multi_tensor_apply_kernelINS1_18TensorListMetadataILi1EEENS0_13LpNormFunctorIdLNS0_8NormTypeE3EN3c104HalfELi1ELi1ELi0EEEJPfiEEEvT_T0_DpT1_.kd
    .uniform_work_group_size: 1
    .uses_dynamic_stack: false
    .vgpr_count:     22
    .vgpr_spill_count: 0
    .wavefront_size: 64
  - .agpr_count:     0
    .args:
      - .address_space:  global
        .offset:         0
        .size:           8
        .value_kind:     global_buffer
      - .offset:         8
        .size:           3200
        .value_kind:     by_value
      - .offset:         3208
        .size:           4
        .value_kind:     by_value
      - .offset:         3216
        .size:           4
        .value_kind:     hidden_block_count_x
      - .offset:         3220
        .size:           4
        .value_kind:     hidden_block_count_y
      - .offset:         3224
        .size:           4
        .value_kind:     hidden_block_count_z
      - .offset:         3228
        .size:           2
        .value_kind:     hidden_group_size_x
      - .offset:         3230
        .size:           2
        .value_kind:     hidden_group_size_y
      - .offset:         3232
        .size:           2
        .value_kind:     hidden_group_size_z
      - .offset:         3234
        .size:           2
        .value_kind:     hidden_remainder_x
      - .offset:         3236
        .size:           2
        .value_kind:     hidden_remainder_y
      - .offset:         3238
        .size:           2
        .value_kind:     hidden_remainder_z
      - .offset:         3256
        .size:           8
        .value_kind:     hidden_global_offset_x
      - .offset:         3264
        .size:           8
        .value_kind:     hidden_global_offset_y
      - .offset:         3272
        .size:           8
        .value_kind:     hidden_global_offset_z
      - .offset:         3280
        .size:           2
        .value_kind:     hidden_grid_dims
    .group_segment_fixed_size: 2048
    .kernarg_segment_align: 8
    .kernarg_segment_size: 3472
    .language:       OpenCL C
    .language_version:
      - 2
      - 0
    .max_flat_workgroup_size: 1024
    .name:           _ZN2at6native14lpnorm_cleanupIdLNS0_8NormTypeE0EN3c104HalfELb1EfEEvPKT3_NS0_19TensorListAddressesEi
    .private_segment_fixed_size: 0
    .sgpr_count:     22
    .sgpr_spill_count: 0
    .symbol:         _ZN2at6native14lpnorm_cleanupIdLNS0_8NormTypeE0EN3c104HalfELb1EfEEvPKT3_NS0_19TensorListAddressesEi.kd
    .uniform_work_group_size: 1
    .uses_dynamic_stack: false
    .vgpr_count:     11
    .vgpr_spill_count: 0
    .wavefront_size: 64
  - .agpr_count:     0
    .args:
      - .address_space:  global
        .offset:         0
        .size:           8
        .value_kind:     global_buffer
      - .offset:         8
        .size:           3200
        .value_kind:     by_value
      - .offset:         3208
        .size:           4
        .value_kind:     by_value
      - .offset:         3216
        .size:           4
        .value_kind:     hidden_block_count_x
      - .offset:         3220
        .size:           4
        .value_kind:     hidden_block_count_y
      - .offset:         3224
        .size:           4
        .value_kind:     hidden_block_count_z
      - .offset:         3228
        .size:           2
        .value_kind:     hidden_group_size_x
      - .offset:         3230
        .size:           2
        .value_kind:     hidden_group_size_y
      - .offset:         3232
        .size:           2
        .value_kind:     hidden_group_size_z
      - .offset:         3234
        .size:           2
        .value_kind:     hidden_remainder_x
      - .offset:         3236
        .size:           2
        .value_kind:     hidden_remainder_y
      - .offset:         3238
        .size:           2
        .value_kind:     hidden_remainder_z
      - .offset:         3256
        .size:           8
        .value_kind:     hidden_global_offset_x
      - .offset:         3264
        .size:           8
        .value_kind:     hidden_global_offset_y
      - .offset:         3272
        .size:           8
        .value_kind:     hidden_global_offset_z
      - .offset:         3280
        .size:           2
        .value_kind:     hidden_grid_dims
    .group_segment_fixed_size: 2048
    .kernarg_segment_align: 8
    .kernarg_segment_size: 3472
    .language:       OpenCL C
    .language_version:
      - 2
      - 0
    .max_flat_workgroup_size: 1024
    .name:           _ZN2at6native14lpnorm_cleanupIdLNS0_8NormTypeE1EN3c104HalfELb1EfEEvPKT3_NS0_19TensorListAddressesEi
    .private_segment_fixed_size: 0
    .sgpr_count:     22
    .sgpr_spill_count: 0
    .symbol:         _ZN2at6native14lpnorm_cleanupIdLNS0_8NormTypeE1EN3c104HalfELb1EfEEvPKT3_NS0_19TensorListAddressesEi.kd
    .uniform_work_group_size: 1
    .uses_dynamic_stack: false
    .vgpr_count:     11
    .vgpr_spill_count: 0
    .wavefront_size: 64
  - .agpr_count:     0
    .args:
      - .address_space:  global
        .offset:         0
        .size:           8
        .value_kind:     global_buffer
      - .offset:         8
        .size:           3200
        .value_kind:     by_value
      - .offset:         3208
        .size:           4
        .value_kind:     by_value
      - .offset:         3216
        .size:           4
        .value_kind:     hidden_block_count_x
      - .offset:         3220
        .size:           4
        .value_kind:     hidden_block_count_y
      - .offset:         3224
        .size:           4
        .value_kind:     hidden_block_count_z
      - .offset:         3228
        .size:           2
        .value_kind:     hidden_group_size_x
      - .offset:         3230
        .size:           2
        .value_kind:     hidden_group_size_y
      - .offset:         3232
        .size:           2
        .value_kind:     hidden_group_size_z
      - .offset:         3234
        .size:           2
        .value_kind:     hidden_remainder_x
      - .offset:         3236
        .size:           2
        .value_kind:     hidden_remainder_y
      - .offset:         3238
        .size:           2
        .value_kind:     hidden_remainder_z
      - .offset:         3256
        .size:           8
        .value_kind:     hidden_global_offset_x
      - .offset:         3264
        .size:           8
        .value_kind:     hidden_global_offset_y
      - .offset:         3272
        .size:           8
        .value_kind:     hidden_global_offset_z
      - .offset:         3280
        .size:           2
        .value_kind:     hidden_grid_dims
    .group_segment_fixed_size: 2048
    .kernarg_segment_align: 8
    .kernarg_segment_size: 3472
    .language:       OpenCL C
    .language_version:
      - 2
      - 0
    .max_flat_workgroup_size: 1024
    .name:           _ZN2at6native14lpnorm_cleanupIdLNS0_8NormTypeE2EN3c104HalfELb1EfEEvPKT3_NS0_19TensorListAddressesEi
    .private_segment_fixed_size: 0
    .sgpr_count:     22
    .sgpr_spill_count: 0
    .symbol:         _ZN2at6native14lpnorm_cleanupIdLNS0_8NormTypeE2EN3c104HalfELb1EfEEvPKT3_NS0_19TensorListAddressesEi.kd
    .uniform_work_group_size: 1
    .uses_dynamic_stack: false
    .vgpr_count:     11
    .vgpr_spill_count: 0
    .wavefront_size: 64
  - .agpr_count:     0
    .args:
      - .address_space:  global
        .offset:         0
        .size:           8
        .value_kind:     global_buffer
      - .offset:         8
        .size:           3200
        .value_kind:     by_value
      - .offset:         3208
        .size:           4
        .value_kind:     by_value
      - .offset:         3216
        .size:           4
        .value_kind:     hidden_block_count_x
      - .offset:         3220
        .size:           4
        .value_kind:     hidden_block_count_y
      - .offset:         3224
        .size:           4
        .value_kind:     hidden_block_count_z
      - .offset:         3228
        .size:           2
        .value_kind:     hidden_group_size_x
      - .offset:         3230
        .size:           2
        .value_kind:     hidden_group_size_y
      - .offset:         3232
        .size:           2
        .value_kind:     hidden_group_size_z
      - .offset:         3234
        .size:           2
        .value_kind:     hidden_remainder_x
      - .offset:         3236
        .size:           2
        .value_kind:     hidden_remainder_y
      - .offset:         3238
        .size:           2
        .value_kind:     hidden_remainder_z
      - .offset:         3256
        .size:           8
        .value_kind:     hidden_global_offset_x
      - .offset:         3264
        .size:           8
        .value_kind:     hidden_global_offset_y
      - .offset:         3272
        .size:           8
        .value_kind:     hidden_global_offset_z
      - .offset:         3280
        .size:           2
        .value_kind:     hidden_grid_dims
    .group_segment_fixed_size: 2048
    .kernarg_segment_align: 8
    .kernarg_segment_size: 3472
    .language:       OpenCL C
    .language_version:
      - 2
      - 0
    .max_flat_workgroup_size: 1024
    .name:           _ZN2at6native14lpnorm_cleanupIdLNS0_8NormTypeE3EN3c104HalfELb1EfEEvPKT3_NS0_19TensorListAddressesEi
    .private_segment_fixed_size: 0
    .sgpr_count:     24
    .sgpr_spill_count: 0
    .symbol:         _ZN2at6native14lpnorm_cleanupIdLNS0_8NormTypeE3EN3c104HalfELb1EfEEvPKT3_NS0_19TensorListAddressesEi.kd
    .uniform_work_group_size: 1
    .uses_dynamic_stack: false
    .vgpr_count:     11
    .vgpr_spill_count: 0
    .wavefront_size: 64
  - .agpr_count:     0
    .args:
      - .offset:         0
        .size:           3368
        .value_kind:     by_value
      - .offset:         3368
        .size:           1
        .value_kind:     by_value
      - .address_space:  global
        .offset:         3376
        .size:           8
        .value_kind:     global_buffer
      - .offset:         3384
        .size:           4
        .value_kind:     by_value
      - .offset:         3392
        .size:           4
        .value_kind:     hidden_block_count_x
      - .offset:         3396
        .size:           4
        .value_kind:     hidden_block_count_y
      - .offset:         3400
        .size:           4
        .value_kind:     hidden_block_count_z
      - .offset:         3404
        .size:           2
        .value_kind:     hidden_group_size_x
      - .offset:         3406
        .size:           2
        .value_kind:     hidden_group_size_y
      - .offset:         3408
        .size:           2
        .value_kind:     hidden_group_size_z
      - .offset:         3410
        .size:           2
        .value_kind:     hidden_remainder_x
      - .offset:         3412
        .size:           2
        .value_kind:     hidden_remainder_y
      - .offset:         3414
        .size:           2
        .value_kind:     hidden_remainder_z
      - .offset:         3432
        .size:           8
        .value_kind:     hidden_global_offset_x
      - .offset:         3440
        .size:           8
        .value_kind:     hidden_global_offset_y
      - .offset:         3448
        .size:           8
        .value_kind:     hidden_global_offset_z
      - .offset:         3456
        .size:           2
        .value_kind:     hidden_grid_dims
    .group_segment_fixed_size: 2048
    .kernarg_segment_align: 8
    .kernarg_segment_size: 3648
    .language:       OpenCL C
    .language_version:
      - 2
      - 0
    .max_flat_workgroup_size: 512
    .name:           _ZN2at6native12_GLOBAL__N_125multi_tensor_apply_kernelINS1_18TensorListMetadataILi1EEENS0_13LpNormFunctorIdLNS0_8NormTypeE0EN3c108BFloat16ELi1ELi1ELi0EEEJPfiEEEvT_T0_DpT1_
    .private_segment_fixed_size: 0
    .sgpr_count:     26
    .sgpr_spill_count: 0
    .symbol:         _ZN2at6native12_GLOBAL__N_125multi_tensor_apply_kernelINS1_18TensorListMetadataILi1EEENS0_13LpNormFunctorIdLNS0_8NormTypeE0EN3c108BFloat16ELi1ELi1ELi0EEEJPfiEEEvT_T0_DpT1_.kd
    .uniform_work_group_size: 1
    .uses_dynamic_stack: false
    .vgpr_count:     22
    .vgpr_spill_count: 0
    .wavefront_size: 64
  - .agpr_count:     0
    .args:
      - .offset:         0
        .size:           3368
        .value_kind:     by_value
      - .offset:         3368
        .size:           1
        .value_kind:     by_value
      - .address_space:  global
        .offset:         3376
        .size:           8
        .value_kind:     global_buffer
      - .offset:         3384
        .size:           4
        .value_kind:     by_value
      - .offset:         3392
        .size:           4
        .value_kind:     hidden_block_count_x
      - .offset:         3396
        .size:           4
        .value_kind:     hidden_block_count_y
      - .offset:         3400
        .size:           4
        .value_kind:     hidden_block_count_z
      - .offset:         3404
        .size:           2
        .value_kind:     hidden_group_size_x
      - .offset:         3406
        .size:           2
        .value_kind:     hidden_group_size_y
      - .offset:         3408
        .size:           2
        .value_kind:     hidden_group_size_z
      - .offset:         3410
        .size:           2
        .value_kind:     hidden_remainder_x
      - .offset:         3412
        .size:           2
        .value_kind:     hidden_remainder_y
      - .offset:         3414
        .size:           2
        .value_kind:     hidden_remainder_z
      - .offset:         3432
        .size:           8
        .value_kind:     hidden_global_offset_x
      - .offset:         3440
        .size:           8
        .value_kind:     hidden_global_offset_y
      - .offset:         3448
        .size:           8
        .value_kind:     hidden_global_offset_z
      - .offset:         3456
        .size:           2
        .value_kind:     hidden_grid_dims
    .group_segment_fixed_size: 2048
    .kernarg_segment_align: 8
    .kernarg_segment_size: 3648
    .language:       OpenCL C
    .language_version:
      - 2
      - 0
    .max_flat_workgroup_size: 512
    .name:           _ZN2at6native12_GLOBAL__N_125multi_tensor_apply_kernelINS1_18TensorListMetadataILi1EEENS0_13LpNormFunctorIdLNS0_8NormTypeE1EN3c108BFloat16ELi1ELi1ELi0EEEJPfiEEEvT_T0_DpT1_
    .private_segment_fixed_size: 0
    .sgpr_count:     26
    .sgpr_spill_count: 0
    .symbol:         _ZN2at6native12_GLOBAL__N_125multi_tensor_apply_kernelINS1_18TensorListMetadataILi1EEENS0_13LpNormFunctorIdLNS0_8NormTypeE1EN3c108BFloat16ELi1ELi1ELi0EEEJPfiEEEvT_T0_DpT1_.kd
    .uniform_work_group_size: 1
    .uses_dynamic_stack: false
    .vgpr_count:     20
    .vgpr_spill_count: 0
    .wavefront_size: 64
  - .agpr_count:     0
    .args:
      - .offset:         0
        .size:           3368
        .value_kind:     by_value
      - .offset:         3368
        .size:           1
        .value_kind:     by_value
      - .address_space:  global
        .offset:         3376
        .size:           8
        .value_kind:     global_buffer
      - .offset:         3384
        .size:           4
        .value_kind:     by_value
      - .offset:         3392
        .size:           4
        .value_kind:     hidden_block_count_x
      - .offset:         3396
        .size:           4
        .value_kind:     hidden_block_count_y
      - .offset:         3400
        .size:           4
        .value_kind:     hidden_block_count_z
      - .offset:         3404
        .size:           2
        .value_kind:     hidden_group_size_x
      - .offset:         3406
        .size:           2
        .value_kind:     hidden_group_size_y
      - .offset:         3408
        .size:           2
        .value_kind:     hidden_group_size_z
      - .offset:         3410
        .size:           2
        .value_kind:     hidden_remainder_x
      - .offset:         3412
        .size:           2
        .value_kind:     hidden_remainder_y
      - .offset:         3414
        .size:           2
        .value_kind:     hidden_remainder_z
      - .offset:         3432
        .size:           8
        .value_kind:     hidden_global_offset_x
      - .offset:         3440
        .size:           8
        .value_kind:     hidden_global_offset_y
      - .offset:         3448
        .size:           8
        .value_kind:     hidden_global_offset_z
      - .offset:         3456
        .size:           2
        .value_kind:     hidden_grid_dims
    .group_segment_fixed_size: 2048
    .kernarg_segment_align: 8
    .kernarg_segment_size: 3648
    .language:       OpenCL C
    .language_version:
      - 2
      - 0
    .max_flat_workgroup_size: 512
    .name:           _ZN2at6native12_GLOBAL__N_125multi_tensor_apply_kernelINS1_18TensorListMetadataILi1EEENS0_13LpNormFunctorIdLNS0_8NormTypeE2EN3c108BFloat16ELi1ELi1ELi0EEEJPfiEEEvT_T0_DpT1_
    .private_segment_fixed_size: 0
    .sgpr_count:     26
    .sgpr_spill_count: 0
    .symbol:         _ZN2at6native12_GLOBAL__N_125multi_tensor_apply_kernelINS1_18TensorListMetadataILi1EEENS0_13LpNormFunctorIdLNS0_8NormTypeE2EN3c108BFloat16ELi1ELi1ELi0EEEJPfiEEEvT_T0_DpT1_.kd
    .uniform_work_group_size: 1
    .uses_dynamic_stack: false
    .vgpr_count:     22
    .vgpr_spill_count: 0
    .wavefront_size: 64
  - .agpr_count:     0
    .args:
      - .offset:         0
        .size:           3368
        .value_kind:     by_value
      - .offset:         3368
        .size:           1
        .value_kind:     by_value
      - .address_space:  global
        .offset:         3376
        .size:           8
        .value_kind:     global_buffer
      - .offset:         3384
        .size:           4
        .value_kind:     by_value
      - .offset:         3392
        .size:           4
        .value_kind:     hidden_block_count_x
      - .offset:         3396
        .size:           4
        .value_kind:     hidden_block_count_y
      - .offset:         3400
        .size:           4
        .value_kind:     hidden_block_count_z
      - .offset:         3404
        .size:           2
        .value_kind:     hidden_group_size_x
      - .offset:         3406
        .size:           2
        .value_kind:     hidden_group_size_y
      - .offset:         3408
        .size:           2
        .value_kind:     hidden_group_size_z
      - .offset:         3410
        .size:           2
        .value_kind:     hidden_remainder_x
      - .offset:         3412
        .size:           2
        .value_kind:     hidden_remainder_y
      - .offset:         3414
        .size:           2
        .value_kind:     hidden_remainder_z
      - .offset:         3432
        .size:           8
        .value_kind:     hidden_global_offset_x
      - .offset:         3440
        .size:           8
        .value_kind:     hidden_global_offset_y
      - .offset:         3448
        .size:           8
        .value_kind:     hidden_global_offset_z
      - .offset:         3456
        .size:           2
        .value_kind:     hidden_grid_dims
    .group_segment_fixed_size: 2048
    .kernarg_segment_align: 8
    .kernarg_segment_size: 3648
    .language:       OpenCL C
    .language_version:
      - 2
      - 0
    .max_flat_workgroup_size: 512
    .name:           _ZN2at6native12_GLOBAL__N_125multi_tensor_apply_kernelINS1_18TensorListMetadataILi1EEENS0_13LpNormFunctorIdLNS0_8NormTypeE3EN3c108BFloat16ELi1ELi1ELi0EEEJPfiEEEvT_T0_DpT1_
    .private_segment_fixed_size: 0
    .sgpr_count:     38
    .sgpr_spill_count: 0
    .symbol:         _ZN2at6native12_GLOBAL__N_125multi_tensor_apply_kernelINS1_18TensorListMetadataILi1EEENS0_13LpNormFunctorIdLNS0_8NormTypeE3EN3c108BFloat16ELi1ELi1ELi0EEEJPfiEEEvT_T0_DpT1_.kd
    .uniform_work_group_size: 1
    .uses_dynamic_stack: false
    .vgpr_count:     22
    .vgpr_spill_count: 0
    .wavefront_size: 64
  - .agpr_count:     0
    .args:
      - .address_space:  global
        .offset:         0
        .size:           8
        .value_kind:     global_buffer
      - .offset:         8
        .size:           3200
        .value_kind:     by_value
      - .offset:         3208
        .size:           4
        .value_kind:     by_value
      - .offset:         3216
        .size:           4
        .value_kind:     hidden_block_count_x
      - .offset:         3220
        .size:           4
        .value_kind:     hidden_block_count_y
      - .offset:         3224
        .size:           4
        .value_kind:     hidden_block_count_z
      - .offset:         3228
        .size:           2
        .value_kind:     hidden_group_size_x
      - .offset:         3230
        .size:           2
        .value_kind:     hidden_group_size_y
      - .offset:         3232
        .size:           2
        .value_kind:     hidden_group_size_z
      - .offset:         3234
        .size:           2
        .value_kind:     hidden_remainder_x
      - .offset:         3236
        .size:           2
        .value_kind:     hidden_remainder_y
      - .offset:         3238
        .size:           2
        .value_kind:     hidden_remainder_z
      - .offset:         3256
        .size:           8
        .value_kind:     hidden_global_offset_x
      - .offset:         3264
        .size:           8
        .value_kind:     hidden_global_offset_y
      - .offset:         3272
        .size:           8
        .value_kind:     hidden_global_offset_z
      - .offset:         3280
        .size:           2
        .value_kind:     hidden_grid_dims
    .group_segment_fixed_size: 2048
    .kernarg_segment_align: 8
    .kernarg_segment_size: 3472
    .language:       OpenCL C
    .language_version:
      - 2
      - 0
    .max_flat_workgroup_size: 1024
    .name:           _ZN2at6native14lpnorm_cleanupIdLNS0_8NormTypeE0EN3c108BFloat16ELb1EfEEvPKT3_NS0_19TensorListAddressesEi
    .private_segment_fixed_size: 0
    .sgpr_count:     22
    .sgpr_spill_count: 0
    .symbol:         _ZN2at6native14lpnorm_cleanupIdLNS0_8NormTypeE0EN3c108BFloat16ELb1EfEEvPKT3_NS0_19TensorListAddressesEi.kd
    .uniform_work_group_size: 1
    .uses_dynamic_stack: false
    .vgpr_count:     11
    .vgpr_spill_count: 0
    .wavefront_size: 64
  - .agpr_count:     0
    .args:
      - .address_space:  global
        .offset:         0
        .size:           8
        .value_kind:     global_buffer
      - .offset:         8
        .size:           3200
        .value_kind:     by_value
      - .offset:         3208
        .size:           4
        .value_kind:     by_value
      - .offset:         3216
        .size:           4
        .value_kind:     hidden_block_count_x
      - .offset:         3220
        .size:           4
        .value_kind:     hidden_block_count_y
      - .offset:         3224
        .size:           4
        .value_kind:     hidden_block_count_z
      - .offset:         3228
        .size:           2
        .value_kind:     hidden_group_size_x
      - .offset:         3230
        .size:           2
        .value_kind:     hidden_group_size_y
      - .offset:         3232
        .size:           2
        .value_kind:     hidden_group_size_z
      - .offset:         3234
        .size:           2
        .value_kind:     hidden_remainder_x
      - .offset:         3236
        .size:           2
        .value_kind:     hidden_remainder_y
      - .offset:         3238
        .size:           2
        .value_kind:     hidden_remainder_z
      - .offset:         3256
        .size:           8
        .value_kind:     hidden_global_offset_x
      - .offset:         3264
        .size:           8
        .value_kind:     hidden_global_offset_y
      - .offset:         3272
        .size:           8
        .value_kind:     hidden_global_offset_z
      - .offset:         3280
        .size:           2
        .value_kind:     hidden_grid_dims
    .group_segment_fixed_size: 2048
    .kernarg_segment_align: 8
    .kernarg_segment_size: 3472
    .language:       OpenCL C
    .language_version:
      - 2
      - 0
    .max_flat_workgroup_size: 1024
    .name:           _ZN2at6native14lpnorm_cleanupIdLNS0_8NormTypeE1EN3c108BFloat16ELb1EfEEvPKT3_NS0_19TensorListAddressesEi
    .private_segment_fixed_size: 0
    .sgpr_count:     22
    .sgpr_spill_count: 0
    .symbol:         _ZN2at6native14lpnorm_cleanupIdLNS0_8NormTypeE1EN3c108BFloat16ELb1EfEEvPKT3_NS0_19TensorListAddressesEi.kd
    .uniform_work_group_size: 1
    .uses_dynamic_stack: false
    .vgpr_count:     11
    .vgpr_spill_count: 0
    .wavefront_size: 64
  - .agpr_count:     0
    .args:
      - .address_space:  global
        .offset:         0
        .size:           8
        .value_kind:     global_buffer
      - .offset:         8
        .size:           3200
        .value_kind:     by_value
      - .offset:         3208
        .size:           4
        .value_kind:     by_value
      - .offset:         3216
        .size:           4
        .value_kind:     hidden_block_count_x
      - .offset:         3220
        .size:           4
        .value_kind:     hidden_block_count_y
      - .offset:         3224
        .size:           4
        .value_kind:     hidden_block_count_z
      - .offset:         3228
        .size:           2
        .value_kind:     hidden_group_size_x
      - .offset:         3230
        .size:           2
        .value_kind:     hidden_group_size_y
      - .offset:         3232
        .size:           2
        .value_kind:     hidden_group_size_z
      - .offset:         3234
        .size:           2
        .value_kind:     hidden_remainder_x
      - .offset:         3236
        .size:           2
        .value_kind:     hidden_remainder_y
      - .offset:         3238
        .size:           2
        .value_kind:     hidden_remainder_z
      - .offset:         3256
        .size:           8
        .value_kind:     hidden_global_offset_x
      - .offset:         3264
        .size:           8
        .value_kind:     hidden_global_offset_y
      - .offset:         3272
        .size:           8
        .value_kind:     hidden_global_offset_z
      - .offset:         3280
        .size:           2
        .value_kind:     hidden_grid_dims
    .group_segment_fixed_size: 2048
    .kernarg_segment_align: 8
    .kernarg_segment_size: 3472
    .language:       OpenCL C
    .language_version:
      - 2
      - 0
    .max_flat_workgroup_size: 1024
    .name:           _ZN2at6native14lpnorm_cleanupIdLNS0_8NormTypeE2EN3c108BFloat16ELb1EfEEvPKT3_NS0_19TensorListAddressesEi
    .private_segment_fixed_size: 0
    .sgpr_count:     22
    .sgpr_spill_count: 0
    .symbol:         _ZN2at6native14lpnorm_cleanupIdLNS0_8NormTypeE2EN3c108BFloat16ELb1EfEEvPKT3_NS0_19TensorListAddressesEi.kd
    .uniform_work_group_size: 1
    .uses_dynamic_stack: false
    .vgpr_count:     11
    .vgpr_spill_count: 0
    .wavefront_size: 64
  - .agpr_count:     0
    .args:
      - .address_space:  global
        .offset:         0
        .size:           8
        .value_kind:     global_buffer
      - .offset:         8
        .size:           3200
        .value_kind:     by_value
      - .offset:         3208
        .size:           4
        .value_kind:     by_value
      - .offset:         3216
        .size:           4
        .value_kind:     hidden_block_count_x
      - .offset:         3220
        .size:           4
        .value_kind:     hidden_block_count_y
      - .offset:         3224
        .size:           4
        .value_kind:     hidden_block_count_z
      - .offset:         3228
        .size:           2
        .value_kind:     hidden_group_size_x
      - .offset:         3230
        .size:           2
        .value_kind:     hidden_group_size_y
      - .offset:         3232
        .size:           2
        .value_kind:     hidden_group_size_z
      - .offset:         3234
        .size:           2
        .value_kind:     hidden_remainder_x
      - .offset:         3236
        .size:           2
        .value_kind:     hidden_remainder_y
      - .offset:         3238
        .size:           2
        .value_kind:     hidden_remainder_z
      - .offset:         3256
        .size:           8
        .value_kind:     hidden_global_offset_x
      - .offset:         3264
        .size:           8
        .value_kind:     hidden_global_offset_y
      - .offset:         3272
        .size:           8
        .value_kind:     hidden_global_offset_z
      - .offset:         3280
        .size:           2
        .value_kind:     hidden_grid_dims
    .group_segment_fixed_size: 2048
    .kernarg_segment_align: 8
    .kernarg_segment_size: 3472
    .language:       OpenCL C
    .language_version:
      - 2
      - 0
    .max_flat_workgroup_size: 1024
    .name:           _ZN2at6native14lpnorm_cleanupIdLNS0_8NormTypeE3EN3c108BFloat16ELb1EfEEvPKT3_NS0_19TensorListAddressesEi
    .private_segment_fixed_size: 0
    .sgpr_count:     24
    .sgpr_spill_count: 0
    .symbol:         _ZN2at6native14lpnorm_cleanupIdLNS0_8NormTypeE3EN3c108BFloat16ELb1EfEEvPKT3_NS0_19TensorListAddressesEi.kd
    .uniform_work_group_size: 1
    .uses_dynamic_stack: false
    .vgpr_count:     11
    .vgpr_spill_count: 0
    .wavefront_size: 64
  - .agpr_count:     0
    .args:
      - .offset:         0
        .size:           3368
        .value_kind:     by_value
      - .offset:         3368
        .size:           1
        .value_kind:     by_value
      - .address_space:  global
        .offset:         3376
        .size:           8
        .value_kind:     global_buffer
      - .offset:         3384
        .size:           4
        .value_kind:     by_value
      - .offset:         3392
        .size:           4
        .value_kind:     hidden_block_count_x
      - .offset:         3396
        .size:           4
        .value_kind:     hidden_block_count_y
      - .offset:         3400
        .size:           4
        .value_kind:     hidden_block_count_z
      - .offset:         3404
        .size:           2
        .value_kind:     hidden_group_size_x
      - .offset:         3406
        .size:           2
        .value_kind:     hidden_group_size_y
      - .offset:         3408
        .size:           2
        .value_kind:     hidden_group_size_z
      - .offset:         3410
        .size:           2
        .value_kind:     hidden_remainder_x
      - .offset:         3412
        .size:           2
        .value_kind:     hidden_remainder_y
      - .offset:         3414
        .size:           2
        .value_kind:     hidden_remainder_z
      - .offset:         3432
        .size:           8
        .value_kind:     hidden_global_offset_x
      - .offset:         3440
        .size:           8
        .value_kind:     hidden_global_offset_y
      - .offset:         3448
        .size:           8
        .value_kind:     hidden_global_offset_z
      - .offset:         3456
        .size:           2
        .value_kind:     hidden_grid_dims
    .group_segment_fixed_size: 4096
    .kernarg_segment_align: 8
    .kernarg_segment_size: 3648
    .language:       OpenCL C
    .language_version:
      - 2
      - 0
    .max_flat_workgroup_size: 512
    .name:           _ZN2at6native12_GLOBAL__N_125multi_tensor_apply_kernelINS1_18TensorListMetadataILi1EEENS0_13LpNormFunctorIfLNS0_8NormTypeE0EdLi1ELi1ELi0EEEJPdiEEEvT_T0_DpT1_
    .private_segment_fixed_size: 0
    .sgpr_count:     28
    .sgpr_spill_count: 0
    .symbol:         _ZN2at6native12_GLOBAL__N_125multi_tensor_apply_kernelINS1_18TensorListMetadataILi1EEENS0_13LpNormFunctorIfLNS0_8NormTypeE0EdLi1ELi1ELi0EEEJPdiEEEvT_T0_DpT1_.kd
    .uniform_work_group_size: 1
    .uses_dynamic_stack: false
    .vgpr_count:     24
    .vgpr_spill_count: 0
    .wavefront_size: 64
  - .agpr_count:     0
    .args:
      - .offset:         0
        .size:           3368
        .value_kind:     by_value
      - .offset:         3368
        .size:           1
        .value_kind:     by_value
      - .address_space:  global
        .offset:         3376
        .size:           8
        .value_kind:     global_buffer
      - .offset:         3384
        .size:           4
        .value_kind:     by_value
      - .offset:         3392
        .size:           4
        .value_kind:     hidden_block_count_x
      - .offset:         3396
        .size:           4
        .value_kind:     hidden_block_count_y
      - .offset:         3400
        .size:           4
        .value_kind:     hidden_block_count_z
      - .offset:         3404
        .size:           2
        .value_kind:     hidden_group_size_x
      - .offset:         3406
        .size:           2
        .value_kind:     hidden_group_size_y
      - .offset:         3408
        .size:           2
        .value_kind:     hidden_group_size_z
      - .offset:         3410
        .size:           2
        .value_kind:     hidden_remainder_x
      - .offset:         3412
        .size:           2
        .value_kind:     hidden_remainder_y
      - .offset:         3414
        .size:           2
        .value_kind:     hidden_remainder_z
      - .offset:         3432
        .size:           8
        .value_kind:     hidden_global_offset_x
      - .offset:         3440
        .size:           8
        .value_kind:     hidden_global_offset_y
      - .offset:         3448
        .size:           8
        .value_kind:     hidden_global_offset_z
      - .offset:         3456
        .size:           2
        .value_kind:     hidden_grid_dims
    .group_segment_fixed_size: 4096
    .kernarg_segment_align: 8
    .kernarg_segment_size: 3648
    .language:       OpenCL C
    .language_version:
      - 2
      - 0
    .max_flat_workgroup_size: 512
    .name:           _ZN2at6native12_GLOBAL__N_125multi_tensor_apply_kernelINS1_18TensorListMetadataILi1EEENS0_13LpNormFunctorIfLNS0_8NormTypeE1EdLi1ELi1ELi0EEEJPdiEEEvT_T0_DpT1_
    .private_segment_fixed_size: 0
    .sgpr_count:     28
    .sgpr_spill_count: 0
    .symbol:         _ZN2at6native12_GLOBAL__N_125multi_tensor_apply_kernelINS1_18TensorListMetadataILi1EEENS0_13LpNormFunctorIfLNS0_8NormTypeE1EdLi1ELi1ELi0EEEJPdiEEEvT_T0_DpT1_.kd
    .uniform_work_group_size: 1
    .uses_dynamic_stack: false
    .vgpr_count:     23
    .vgpr_spill_count: 0
    .wavefront_size: 64
  - .agpr_count:     0
    .args:
      - .offset:         0
        .size:           3368
        .value_kind:     by_value
      - .offset:         3368
        .size:           1
        .value_kind:     by_value
      - .address_space:  global
        .offset:         3376
        .size:           8
        .value_kind:     global_buffer
      - .offset:         3384
        .size:           4
        .value_kind:     by_value
      - .offset:         3392
        .size:           4
        .value_kind:     hidden_block_count_x
      - .offset:         3396
        .size:           4
        .value_kind:     hidden_block_count_y
      - .offset:         3400
        .size:           4
        .value_kind:     hidden_block_count_z
      - .offset:         3404
        .size:           2
        .value_kind:     hidden_group_size_x
      - .offset:         3406
        .size:           2
        .value_kind:     hidden_group_size_y
      - .offset:         3408
        .size:           2
        .value_kind:     hidden_group_size_z
      - .offset:         3410
        .size:           2
        .value_kind:     hidden_remainder_x
      - .offset:         3412
        .size:           2
        .value_kind:     hidden_remainder_y
      - .offset:         3414
        .size:           2
        .value_kind:     hidden_remainder_z
      - .offset:         3432
        .size:           8
        .value_kind:     hidden_global_offset_x
      - .offset:         3440
        .size:           8
        .value_kind:     hidden_global_offset_y
      - .offset:         3448
        .size:           8
        .value_kind:     hidden_global_offset_z
      - .offset:         3456
        .size:           2
        .value_kind:     hidden_grid_dims
    .group_segment_fixed_size: 4096
    .kernarg_segment_align: 8
    .kernarg_segment_size: 3648
    .language:       OpenCL C
    .language_version:
      - 2
      - 0
    .max_flat_workgroup_size: 512
    .name:           _ZN2at6native12_GLOBAL__N_125multi_tensor_apply_kernelINS1_18TensorListMetadataILi1EEENS0_13LpNormFunctorIfLNS0_8NormTypeE2EdLi1ELi1ELi0EEEJPdiEEEvT_T0_DpT1_
    .private_segment_fixed_size: 0
    .sgpr_count:     28
    .sgpr_spill_count: 0
    .symbol:         _ZN2at6native12_GLOBAL__N_125multi_tensor_apply_kernelINS1_18TensorListMetadataILi1EEENS0_13LpNormFunctorIfLNS0_8NormTypeE2EdLi1ELi1ELi0EEEJPdiEEEvT_T0_DpT1_.kd
    .uniform_work_group_size: 1
    .uses_dynamic_stack: false
    .vgpr_count:     23
    .vgpr_spill_count: 0
    .wavefront_size: 64
  - .agpr_count:     0
    .args:
      - .offset:         0
        .size:           3368
        .value_kind:     by_value
      - .offset:         3368
        .size:           1
        .value_kind:     by_value
      - .address_space:  global
        .offset:         3376
        .size:           8
        .value_kind:     global_buffer
      - .offset:         3384
        .size:           4
        .value_kind:     by_value
      - .offset:         3392
        .size:           4
        .value_kind:     hidden_block_count_x
      - .offset:         3396
        .size:           4
        .value_kind:     hidden_block_count_y
      - .offset:         3400
        .size:           4
        .value_kind:     hidden_block_count_z
      - .offset:         3404
        .size:           2
        .value_kind:     hidden_group_size_x
      - .offset:         3406
        .size:           2
        .value_kind:     hidden_group_size_y
      - .offset:         3408
        .size:           2
        .value_kind:     hidden_group_size_z
      - .offset:         3410
        .size:           2
        .value_kind:     hidden_remainder_x
      - .offset:         3412
        .size:           2
        .value_kind:     hidden_remainder_y
      - .offset:         3414
        .size:           2
        .value_kind:     hidden_remainder_z
      - .offset:         3432
        .size:           8
        .value_kind:     hidden_global_offset_x
      - .offset:         3440
        .size:           8
        .value_kind:     hidden_global_offset_y
      - .offset:         3448
        .size:           8
        .value_kind:     hidden_global_offset_z
      - .offset:         3456
        .size:           2
        .value_kind:     hidden_grid_dims
    .group_segment_fixed_size: 4096
    .kernarg_segment_align: 8
    .kernarg_segment_size: 3648
    .language:       OpenCL C
    .language_version:
      - 2
      - 0
    .max_flat_workgroup_size: 512
    .name:           _ZN2at6native12_GLOBAL__N_125multi_tensor_apply_kernelINS1_18TensorListMetadataILi1EEENS0_13LpNormFunctorIfLNS0_8NormTypeE3EdLi1ELi1ELi0EEEJPdiEEEvT_T0_DpT1_
    .private_segment_fixed_size: 0
    .sgpr_count:     37
    .sgpr_spill_count: 0
    .symbol:         _ZN2at6native12_GLOBAL__N_125multi_tensor_apply_kernelINS1_18TensorListMetadataILi1EEENS0_13LpNormFunctorIfLNS0_8NormTypeE3EdLi1ELi1ELi0EEEJPdiEEEvT_T0_DpT1_.kd
    .uniform_work_group_size: 1
    .uses_dynamic_stack: false
    .vgpr_count:     24
    .vgpr_spill_count: 0
    .wavefront_size: 64
  - .agpr_count:     0
    .args:
      - .address_space:  global
        .offset:         0
        .size:           8
        .value_kind:     global_buffer
      - .offset:         8
        .size:           3200
        .value_kind:     by_value
      - .offset:         3208
        .size:           4
        .value_kind:     by_value
      - .offset:         3216
        .size:           4
        .value_kind:     hidden_block_count_x
      - .offset:         3220
        .size:           4
        .value_kind:     hidden_block_count_y
      - .offset:         3224
        .size:           4
        .value_kind:     hidden_block_count_z
      - .offset:         3228
        .size:           2
        .value_kind:     hidden_group_size_x
      - .offset:         3230
        .size:           2
        .value_kind:     hidden_group_size_y
      - .offset:         3232
        .size:           2
        .value_kind:     hidden_group_size_z
      - .offset:         3234
        .size:           2
        .value_kind:     hidden_remainder_x
      - .offset:         3236
        .size:           2
        .value_kind:     hidden_remainder_y
      - .offset:         3238
        .size:           2
        .value_kind:     hidden_remainder_z
      - .offset:         3256
        .size:           8
        .value_kind:     hidden_global_offset_x
      - .offset:         3264
        .size:           8
        .value_kind:     hidden_global_offset_y
      - .offset:         3272
        .size:           8
        .value_kind:     hidden_global_offset_z
      - .offset:         3280
        .size:           2
        .value_kind:     hidden_grid_dims
    .group_segment_fixed_size: 4096
    .kernarg_segment_align: 8
    .kernarg_segment_size: 3472
    .language:       OpenCL C
    .language_version:
      - 2
      - 0
    .max_flat_workgroup_size: 1024
    .name:           _ZN2at6native14lpnorm_cleanupIfLNS0_8NormTypeE0EdLb1EdEEvPKT3_NS0_19TensorListAddressesEi
    .private_segment_fixed_size: 0
    .sgpr_count:     22
    .sgpr_spill_count: 0
    .symbol:         _ZN2at6native14lpnorm_cleanupIfLNS0_8NormTypeE0EdLb1EdEEvPKT3_NS0_19TensorListAddressesEi.kd
    .uniform_work_group_size: 1
    .uses_dynamic_stack: false
    .vgpr_count:     13
    .vgpr_spill_count: 0
    .wavefront_size: 64
  - .agpr_count:     0
    .args:
      - .address_space:  global
        .offset:         0
        .size:           8
        .value_kind:     global_buffer
      - .offset:         8
        .size:           3200
        .value_kind:     by_value
      - .offset:         3208
        .size:           4
        .value_kind:     by_value
      - .offset:         3216
        .size:           4
        .value_kind:     hidden_block_count_x
      - .offset:         3220
        .size:           4
        .value_kind:     hidden_block_count_y
      - .offset:         3224
        .size:           4
        .value_kind:     hidden_block_count_z
      - .offset:         3228
        .size:           2
        .value_kind:     hidden_group_size_x
      - .offset:         3230
        .size:           2
        .value_kind:     hidden_group_size_y
      - .offset:         3232
        .size:           2
        .value_kind:     hidden_group_size_z
      - .offset:         3234
        .size:           2
        .value_kind:     hidden_remainder_x
      - .offset:         3236
        .size:           2
        .value_kind:     hidden_remainder_y
      - .offset:         3238
        .size:           2
        .value_kind:     hidden_remainder_z
      - .offset:         3256
        .size:           8
        .value_kind:     hidden_global_offset_x
      - .offset:         3264
        .size:           8
        .value_kind:     hidden_global_offset_y
      - .offset:         3272
        .size:           8
        .value_kind:     hidden_global_offset_z
      - .offset:         3280
        .size:           2
        .value_kind:     hidden_grid_dims
    .group_segment_fixed_size: 4096
    .kernarg_segment_align: 8
    .kernarg_segment_size: 3472
    .language:       OpenCL C
    .language_version:
      - 2
      - 0
    .max_flat_workgroup_size: 1024
    .name:           _ZN2at6native14lpnorm_cleanupIfLNS0_8NormTypeE1EdLb1EdEEvPKT3_NS0_19TensorListAddressesEi
    .private_segment_fixed_size: 0
    .sgpr_count:     22
    .sgpr_spill_count: 0
    .symbol:         _ZN2at6native14lpnorm_cleanupIfLNS0_8NormTypeE1EdLb1EdEEvPKT3_NS0_19TensorListAddressesEi.kd
    .uniform_work_group_size: 1
    .uses_dynamic_stack: false
    .vgpr_count:     13
    .vgpr_spill_count: 0
    .wavefront_size: 64
  - .agpr_count:     0
    .args:
      - .address_space:  global
        .offset:         0
        .size:           8
        .value_kind:     global_buffer
      - .offset:         8
        .size:           3200
        .value_kind:     by_value
      - .offset:         3208
        .size:           4
        .value_kind:     by_value
      - .offset:         3216
        .size:           4
        .value_kind:     hidden_block_count_x
      - .offset:         3220
        .size:           4
        .value_kind:     hidden_block_count_y
      - .offset:         3224
        .size:           4
        .value_kind:     hidden_block_count_z
      - .offset:         3228
        .size:           2
        .value_kind:     hidden_group_size_x
      - .offset:         3230
        .size:           2
        .value_kind:     hidden_group_size_y
      - .offset:         3232
        .size:           2
        .value_kind:     hidden_group_size_z
      - .offset:         3234
        .size:           2
        .value_kind:     hidden_remainder_x
      - .offset:         3236
        .size:           2
        .value_kind:     hidden_remainder_y
      - .offset:         3238
        .size:           2
        .value_kind:     hidden_remainder_z
      - .offset:         3256
        .size:           8
        .value_kind:     hidden_global_offset_x
      - .offset:         3264
        .size:           8
        .value_kind:     hidden_global_offset_y
      - .offset:         3272
        .size:           8
        .value_kind:     hidden_global_offset_z
      - .offset:         3280
        .size:           2
        .value_kind:     hidden_grid_dims
    .group_segment_fixed_size: 4096
    .kernarg_segment_align: 8
    .kernarg_segment_size: 3472
    .language:       OpenCL C
    .language_version:
      - 2
      - 0
    .max_flat_workgroup_size: 1024
    .name:           _ZN2at6native14lpnorm_cleanupIfLNS0_8NormTypeE2EdLb1EdEEvPKT3_NS0_19TensorListAddressesEi
    .private_segment_fixed_size: 0
    .sgpr_count:     22
    .sgpr_spill_count: 0
    .symbol:         _ZN2at6native14lpnorm_cleanupIfLNS0_8NormTypeE2EdLb1EdEEvPKT3_NS0_19TensorListAddressesEi.kd
    .uniform_work_group_size: 1
    .uses_dynamic_stack: false
    .vgpr_count:     13
    .vgpr_spill_count: 0
    .wavefront_size: 64
  - .agpr_count:     0
    .args:
      - .address_space:  global
        .offset:         0
        .size:           8
        .value_kind:     global_buffer
      - .offset:         8
        .size:           3200
        .value_kind:     by_value
      - .offset:         3208
        .size:           4
        .value_kind:     by_value
      - .offset:         3216
        .size:           4
        .value_kind:     hidden_block_count_x
      - .offset:         3220
        .size:           4
        .value_kind:     hidden_block_count_y
      - .offset:         3224
        .size:           4
        .value_kind:     hidden_block_count_z
      - .offset:         3228
        .size:           2
        .value_kind:     hidden_group_size_x
      - .offset:         3230
        .size:           2
        .value_kind:     hidden_group_size_y
      - .offset:         3232
        .size:           2
        .value_kind:     hidden_group_size_z
      - .offset:         3234
        .size:           2
        .value_kind:     hidden_remainder_x
      - .offset:         3236
        .size:           2
        .value_kind:     hidden_remainder_y
      - .offset:         3238
        .size:           2
        .value_kind:     hidden_remainder_z
      - .offset:         3256
        .size:           8
        .value_kind:     hidden_global_offset_x
      - .offset:         3264
        .size:           8
        .value_kind:     hidden_global_offset_y
      - .offset:         3272
        .size:           8
        .value_kind:     hidden_global_offset_z
      - .offset:         3280
        .size:           2
        .value_kind:     hidden_grid_dims
    .group_segment_fixed_size: 4096
    .kernarg_segment_align: 8
    .kernarg_segment_size: 3472
    .language:       OpenCL C
    .language_version:
      - 2
      - 0
    .max_flat_workgroup_size: 1024
    .name:           _ZN2at6native14lpnorm_cleanupIfLNS0_8NormTypeE3EdLb1EdEEvPKT3_NS0_19TensorListAddressesEi
    .private_segment_fixed_size: 0
    .sgpr_count:     24
    .sgpr_spill_count: 0
    .symbol:         _ZN2at6native14lpnorm_cleanupIfLNS0_8NormTypeE3EdLb1EdEEvPKT3_NS0_19TensorListAddressesEi.kd
    .uniform_work_group_size: 1
    .uses_dynamic_stack: false
    .vgpr_count:     13
    .vgpr_spill_count: 0
    .wavefront_size: 64
  - .agpr_count:     0
    .args:
      - .offset:         0
        .size:           3368
        .value_kind:     by_value
      - .offset:         3368
        .size:           1
        .value_kind:     by_value
      - .address_space:  global
        .offset:         3376
        .size:           8
        .value_kind:     global_buffer
      - .offset:         3384
        .size:           4
        .value_kind:     by_value
      - .offset:         3392
        .size:           4
        .value_kind:     hidden_block_count_x
      - .offset:         3396
        .size:           4
        .value_kind:     hidden_block_count_y
      - .offset:         3400
        .size:           4
        .value_kind:     hidden_block_count_z
      - .offset:         3404
        .size:           2
        .value_kind:     hidden_group_size_x
      - .offset:         3406
        .size:           2
        .value_kind:     hidden_group_size_y
      - .offset:         3408
        .size:           2
        .value_kind:     hidden_group_size_z
      - .offset:         3410
        .size:           2
        .value_kind:     hidden_remainder_x
      - .offset:         3412
        .size:           2
        .value_kind:     hidden_remainder_y
      - .offset:         3414
        .size:           2
        .value_kind:     hidden_remainder_z
      - .offset:         3432
        .size:           8
        .value_kind:     hidden_global_offset_x
      - .offset:         3440
        .size:           8
        .value_kind:     hidden_global_offset_y
      - .offset:         3448
        .size:           8
        .value_kind:     hidden_global_offset_z
      - .offset:         3456
        .size:           2
        .value_kind:     hidden_grid_dims
    .group_segment_fixed_size: 2048
    .kernarg_segment_align: 8
    .kernarg_segment_size: 3648
    .language:       OpenCL C
    .language_version:
      - 2
      - 0
    .max_flat_workgroup_size: 512
    .name:           _ZN2at6native12_GLOBAL__N_125multi_tensor_apply_kernelINS1_18TensorListMetadataILi1EEENS0_13LpNormFunctorIfLNS0_8NormTypeE0EfLi1ELi1ELi0EEEJPfiEEEvT_T0_DpT1_
    .private_segment_fixed_size: 0
    .sgpr_count:     26
    .sgpr_spill_count: 0
    .symbol:         _ZN2at6native12_GLOBAL__N_125multi_tensor_apply_kernelINS1_18TensorListMetadataILi1EEENS0_13LpNormFunctorIfLNS0_8NormTypeE0EfLi1ELi1ELi0EEEJPfiEEEvT_T0_DpT1_.kd
    .uniform_work_group_size: 1
    .uses_dynamic_stack: false
    .vgpr_count:     18
    .vgpr_spill_count: 0
    .wavefront_size: 64
  - .agpr_count:     0
    .args:
      - .offset:         0
        .size:           3368
        .value_kind:     by_value
      - .offset:         3368
        .size:           1
        .value_kind:     by_value
      - .address_space:  global
        .offset:         3376
        .size:           8
        .value_kind:     global_buffer
      - .offset:         3384
        .size:           4
        .value_kind:     by_value
      - .offset:         3392
        .size:           4
        .value_kind:     hidden_block_count_x
      - .offset:         3396
        .size:           4
        .value_kind:     hidden_block_count_y
      - .offset:         3400
        .size:           4
        .value_kind:     hidden_block_count_z
      - .offset:         3404
        .size:           2
        .value_kind:     hidden_group_size_x
      - .offset:         3406
        .size:           2
        .value_kind:     hidden_group_size_y
      - .offset:         3408
        .size:           2
        .value_kind:     hidden_group_size_z
      - .offset:         3410
        .size:           2
        .value_kind:     hidden_remainder_x
      - .offset:         3412
        .size:           2
        .value_kind:     hidden_remainder_y
      - .offset:         3414
        .size:           2
        .value_kind:     hidden_remainder_z
      - .offset:         3432
        .size:           8
        .value_kind:     hidden_global_offset_x
      - .offset:         3440
        .size:           8
        .value_kind:     hidden_global_offset_y
      - .offset:         3448
        .size:           8
        .value_kind:     hidden_global_offset_z
      - .offset:         3456
        .size:           2
        .value_kind:     hidden_grid_dims
    .group_segment_fixed_size: 2048
    .kernarg_segment_align: 8
    .kernarg_segment_size: 3648
    .language:       OpenCL C
    .language_version:
      - 2
      - 0
    .max_flat_workgroup_size: 512
    .name:           _ZN2at6native12_GLOBAL__N_125multi_tensor_apply_kernelINS1_18TensorListMetadataILi1EEENS0_13LpNormFunctorIfLNS0_8NormTypeE1EfLi1ELi1ELi0EEEJPfiEEEvT_T0_DpT1_
    .private_segment_fixed_size: 0
    .sgpr_count:     26
    .sgpr_spill_count: 0
    .symbol:         _ZN2at6native12_GLOBAL__N_125multi_tensor_apply_kernelINS1_18TensorListMetadataILi1EEENS0_13LpNormFunctorIfLNS0_8NormTypeE1EfLi1ELi1ELi0EEEJPfiEEEvT_T0_DpT1_.kd
    .uniform_work_group_size: 1
    .uses_dynamic_stack: false
    .vgpr_count:     18
    .vgpr_spill_count: 0
    .wavefront_size: 64
  - .agpr_count:     0
    .args:
      - .offset:         0
        .size:           3368
        .value_kind:     by_value
      - .offset:         3368
        .size:           1
        .value_kind:     by_value
      - .address_space:  global
        .offset:         3376
        .size:           8
        .value_kind:     global_buffer
      - .offset:         3384
        .size:           4
        .value_kind:     by_value
      - .offset:         3392
        .size:           4
        .value_kind:     hidden_block_count_x
      - .offset:         3396
        .size:           4
        .value_kind:     hidden_block_count_y
      - .offset:         3400
        .size:           4
        .value_kind:     hidden_block_count_z
      - .offset:         3404
        .size:           2
        .value_kind:     hidden_group_size_x
      - .offset:         3406
        .size:           2
        .value_kind:     hidden_group_size_y
      - .offset:         3408
        .size:           2
        .value_kind:     hidden_group_size_z
      - .offset:         3410
        .size:           2
        .value_kind:     hidden_remainder_x
      - .offset:         3412
        .size:           2
        .value_kind:     hidden_remainder_y
      - .offset:         3414
        .size:           2
        .value_kind:     hidden_remainder_z
      - .offset:         3432
        .size:           8
        .value_kind:     hidden_global_offset_x
      - .offset:         3440
        .size:           8
        .value_kind:     hidden_global_offset_y
      - .offset:         3448
        .size:           8
        .value_kind:     hidden_global_offset_z
      - .offset:         3456
        .size:           2
        .value_kind:     hidden_grid_dims
    .group_segment_fixed_size: 2048
    .kernarg_segment_align: 8
    .kernarg_segment_size: 3648
    .language:       OpenCL C
    .language_version:
      - 2
      - 0
    .max_flat_workgroup_size: 512
    .name:           _ZN2at6native12_GLOBAL__N_125multi_tensor_apply_kernelINS1_18TensorListMetadataILi1EEENS0_13LpNormFunctorIfLNS0_8NormTypeE2EfLi1ELi1ELi0EEEJPfiEEEvT_T0_DpT1_
    .private_segment_fixed_size: 0
    .sgpr_count:     26
    .sgpr_spill_count: 0
    .symbol:         _ZN2at6native12_GLOBAL__N_125multi_tensor_apply_kernelINS1_18TensorListMetadataILi1EEENS0_13LpNormFunctorIfLNS0_8NormTypeE2EfLi1ELi1ELi0EEEJPfiEEEvT_T0_DpT1_.kd
    .uniform_work_group_size: 1
    .uses_dynamic_stack: false
    .vgpr_count:     18
    .vgpr_spill_count: 0
    .wavefront_size: 64
  - .agpr_count:     0
    .args:
      - .offset:         0
        .size:           3368
        .value_kind:     by_value
      - .offset:         3368
        .size:           1
        .value_kind:     by_value
      - .address_space:  global
        .offset:         3376
        .size:           8
        .value_kind:     global_buffer
      - .offset:         3384
        .size:           4
        .value_kind:     by_value
      - .offset:         3392
        .size:           4
        .value_kind:     hidden_block_count_x
      - .offset:         3396
        .size:           4
        .value_kind:     hidden_block_count_y
      - .offset:         3400
        .size:           4
        .value_kind:     hidden_block_count_z
      - .offset:         3404
        .size:           2
        .value_kind:     hidden_group_size_x
      - .offset:         3406
        .size:           2
        .value_kind:     hidden_group_size_y
      - .offset:         3408
        .size:           2
        .value_kind:     hidden_group_size_z
      - .offset:         3410
        .size:           2
        .value_kind:     hidden_remainder_x
      - .offset:         3412
        .size:           2
        .value_kind:     hidden_remainder_y
      - .offset:         3414
        .size:           2
        .value_kind:     hidden_remainder_z
      - .offset:         3432
        .size:           8
        .value_kind:     hidden_global_offset_x
      - .offset:         3440
        .size:           8
        .value_kind:     hidden_global_offset_y
      - .offset:         3448
        .size:           8
        .value_kind:     hidden_global_offset_z
      - .offset:         3456
        .size:           2
        .value_kind:     hidden_grid_dims
    .group_segment_fixed_size: 2048
    .kernarg_segment_align: 8
    .kernarg_segment_size: 3648
    .language:       OpenCL C
    .language_version:
      - 2
      - 0
    .max_flat_workgroup_size: 512
    .name:           _ZN2at6native12_GLOBAL__N_125multi_tensor_apply_kernelINS1_18TensorListMetadataILi1EEENS0_13LpNormFunctorIfLNS0_8NormTypeE3EfLi1ELi1ELi0EEEJPfiEEEvT_T0_DpT1_
    .private_segment_fixed_size: 0
    .sgpr_count:     38
    .sgpr_spill_count: 0
    .symbol:         _ZN2at6native12_GLOBAL__N_125multi_tensor_apply_kernelINS1_18TensorListMetadataILi1EEENS0_13LpNormFunctorIfLNS0_8NormTypeE3EfLi1ELi1ELi0EEEJPfiEEEvT_T0_DpT1_.kd
    .uniform_work_group_size: 1
    .uses_dynamic_stack: false
    .vgpr_count:     18
    .vgpr_spill_count: 0
    .wavefront_size: 64
  - .agpr_count:     0
    .args:
      - .address_space:  global
        .offset:         0
        .size:           8
        .value_kind:     global_buffer
      - .offset:         8
        .size:           3200
        .value_kind:     by_value
      - .offset:         3208
        .size:           4
        .value_kind:     by_value
      - .offset:         3216
        .size:           4
        .value_kind:     hidden_block_count_x
      - .offset:         3220
        .size:           4
        .value_kind:     hidden_block_count_y
      - .offset:         3224
        .size:           4
        .value_kind:     hidden_block_count_z
      - .offset:         3228
        .size:           2
        .value_kind:     hidden_group_size_x
      - .offset:         3230
        .size:           2
        .value_kind:     hidden_group_size_y
      - .offset:         3232
        .size:           2
        .value_kind:     hidden_group_size_z
      - .offset:         3234
        .size:           2
        .value_kind:     hidden_remainder_x
      - .offset:         3236
        .size:           2
        .value_kind:     hidden_remainder_y
      - .offset:         3238
        .size:           2
        .value_kind:     hidden_remainder_z
      - .offset:         3256
        .size:           8
        .value_kind:     hidden_global_offset_x
      - .offset:         3264
        .size:           8
        .value_kind:     hidden_global_offset_y
      - .offset:         3272
        .size:           8
        .value_kind:     hidden_global_offset_z
      - .offset:         3280
        .size:           2
        .value_kind:     hidden_grid_dims
    .group_segment_fixed_size: 2048
    .kernarg_segment_align: 8
    .kernarg_segment_size: 3472
    .language:       OpenCL C
    .language_version:
      - 2
      - 0
    .max_flat_workgroup_size: 1024
    .name:           _ZN2at6native14lpnorm_cleanupIfLNS0_8NormTypeE0EfLb1EfEEvPKT3_NS0_19TensorListAddressesEi
    .private_segment_fixed_size: 0
    .sgpr_count:     22
    .sgpr_spill_count: 0
    .symbol:         _ZN2at6native14lpnorm_cleanupIfLNS0_8NormTypeE0EfLb1EfEEvPKT3_NS0_19TensorListAddressesEi.kd
    .uniform_work_group_size: 1
    .uses_dynamic_stack: false
    .vgpr_count:     11
    .vgpr_spill_count: 0
    .wavefront_size: 64
  - .agpr_count:     0
    .args:
      - .address_space:  global
        .offset:         0
        .size:           8
        .value_kind:     global_buffer
      - .offset:         8
        .size:           3200
        .value_kind:     by_value
      - .offset:         3208
        .size:           4
        .value_kind:     by_value
      - .offset:         3216
        .size:           4
        .value_kind:     hidden_block_count_x
      - .offset:         3220
        .size:           4
        .value_kind:     hidden_block_count_y
      - .offset:         3224
        .size:           4
        .value_kind:     hidden_block_count_z
      - .offset:         3228
        .size:           2
        .value_kind:     hidden_group_size_x
      - .offset:         3230
        .size:           2
        .value_kind:     hidden_group_size_y
      - .offset:         3232
        .size:           2
        .value_kind:     hidden_group_size_z
      - .offset:         3234
        .size:           2
        .value_kind:     hidden_remainder_x
      - .offset:         3236
        .size:           2
        .value_kind:     hidden_remainder_y
      - .offset:         3238
        .size:           2
        .value_kind:     hidden_remainder_z
      - .offset:         3256
        .size:           8
        .value_kind:     hidden_global_offset_x
      - .offset:         3264
        .size:           8
        .value_kind:     hidden_global_offset_y
      - .offset:         3272
        .size:           8
        .value_kind:     hidden_global_offset_z
      - .offset:         3280
        .size:           2
        .value_kind:     hidden_grid_dims
    .group_segment_fixed_size: 2048
    .kernarg_segment_align: 8
    .kernarg_segment_size: 3472
    .language:       OpenCL C
    .language_version:
      - 2
      - 0
    .max_flat_workgroup_size: 1024
    .name:           _ZN2at6native14lpnorm_cleanupIfLNS0_8NormTypeE1EfLb1EfEEvPKT3_NS0_19TensorListAddressesEi
    .private_segment_fixed_size: 0
    .sgpr_count:     22
    .sgpr_spill_count: 0
    .symbol:         _ZN2at6native14lpnorm_cleanupIfLNS0_8NormTypeE1EfLb1EfEEvPKT3_NS0_19TensorListAddressesEi.kd
    .uniform_work_group_size: 1
    .uses_dynamic_stack: false
    .vgpr_count:     11
    .vgpr_spill_count: 0
    .wavefront_size: 64
  - .agpr_count:     0
    .args:
      - .address_space:  global
        .offset:         0
        .size:           8
        .value_kind:     global_buffer
      - .offset:         8
        .size:           3200
        .value_kind:     by_value
      - .offset:         3208
        .size:           4
        .value_kind:     by_value
      - .offset:         3216
        .size:           4
        .value_kind:     hidden_block_count_x
      - .offset:         3220
        .size:           4
        .value_kind:     hidden_block_count_y
      - .offset:         3224
        .size:           4
        .value_kind:     hidden_block_count_z
      - .offset:         3228
        .size:           2
        .value_kind:     hidden_group_size_x
      - .offset:         3230
        .size:           2
        .value_kind:     hidden_group_size_y
      - .offset:         3232
        .size:           2
        .value_kind:     hidden_group_size_z
      - .offset:         3234
        .size:           2
        .value_kind:     hidden_remainder_x
      - .offset:         3236
        .size:           2
        .value_kind:     hidden_remainder_y
      - .offset:         3238
        .size:           2
        .value_kind:     hidden_remainder_z
      - .offset:         3256
        .size:           8
        .value_kind:     hidden_global_offset_x
      - .offset:         3264
        .size:           8
        .value_kind:     hidden_global_offset_y
      - .offset:         3272
        .size:           8
        .value_kind:     hidden_global_offset_z
      - .offset:         3280
        .size:           2
        .value_kind:     hidden_grid_dims
    .group_segment_fixed_size: 2048
    .kernarg_segment_align: 8
    .kernarg_segment_size: 3472
    .language:       OpenCL C
    .language_version:
      - 2
      - 0
    .max_flat_workgroup_size: 1024
    .name:           _ZN2at6native14lpnorm_cleanupIfLNS0_8NormTypeE2EfLb1EfEEvPKT3_NS0_19TensorListAddressesEi
    .private_segment_fixed_size: 0
    .sgpr_count:     22
    .sgpr_spill_count: 0
    .symbol:         _ZN2at6native14lpnorm_cleanupIfLNS0_8NormTypeE2EfLb1EfEEvPKT3_NS0_19TensorListAddressesEi.kd
    .uniform_work_group_size: 1
    .uses_dynamic_stack: false
    .vgpr_count:     11
    .vgpr_spill_count: 0
    .wavefront_size: 64
  - .agpr_count:     0
    .args:
      - .address_space:  global
        .offset:         0
        .size:           8
        .value_kind:     global_buffer
      - .offset:         8
        .size:           3200
        .value_kind:     by_value
      - .offset:         3208
        .size:           4
        .value_kind:     by_value
      - .offset:         3216
        .size:           4
        .value_kind:     hidden_block_count_x
      - .offset:         3220
        .size:           4
        .value_kind:     hidden_block_count_y
      - .offset:         3224
        .size:           4
        .value_kind:     hidden_block_count_z
      - .offset:         3228
        .size:           2
        .value_kind:     hidden_group_size_x
      - .offset:         3230
        .size:           2
        .value_kind:     hidden_group_size_y
      - .offset:         3232
        .size:           2
        .value_kind:     hidden_group_size_z
      - .offset:         3234
        .size:           2
        .value_kind:     hidden_remainder_x
      - .offset:         3236
        .size:           2
        .value_kind:     hidden_remainder_y
      - .offset:         3238
        .size:           2
        .value_kind:     hidden_remainder_z
      - .offset:         3256
        .size:           8
        .value_kind:     hidden_global_offset_x
      - .offset:         3264
        .size:           8
        .value_kind:     hidden_global_offset_y
      - .offset:         3272
        .size:           8
        .value_kind:     hidden_global_offset_z
      - .offset:         3280
        .size:           2
        .value_kind:     hidden_grid_dims
    .group_segment_fixed_size: 2048
    .kernarg_segment_align: 8
    .kernarg_segment_size: 3472
    .language:       OpenCL C
    .language_version:
      - 2
      - 0
    .max_flat_workgroup_size: 1024
    .name:           _ZN2at6native14lpnorm_cleanupIfLNS0_8NormTypeE3EfLb1EfEEvPKT3_NS0_19TensorListAddressesEi
    .private_segment_fixed_size: 0
    .sgpr_count:     24
    .sgpr_spill_count: 0
    .symbol:         _ZN2at6native14lpnorm_cleanupIfLNS0_8NormTypeE3EfLb1EfEEvPKT3_NS0_19TensorListAddressesEi.kd
    .uniform_work_group_size: 1
    .uses_dynamic_stack: false
    .vgpr_count:     11
    .vgpr_spill_count: 0
    .wavefront_size: 64
  - .agpr_count:     0
    .args:
      - .offset:         0
        .size:           3368
        .value_kind:     by_value
      - .offset:         3368
        .size:           1
        .value_kind:     by_value
      - .address_space:  global
        .offset:         3376
        .size:           8
        .value_kind:     global_buffer
      - .offset:         3384
        .size:           4
        .value_kind:     by_value
      - .offset:         3392
        .size:           4
        .value_kind:     hidden_block_count_x
      - .offset:         3396
        .size:           4
        .value_kind:     hidden_block_count_y
      - .offset:         3400
        .size:           4
        .value_kind:     hidden_block_count_z
      - .offset:         3404
        .size:           2
        .value_kind:     hidden_group_size_x
      - .offset:         3406
        .size:           2
        .value_kind:     hidden_group_size_y
      - .offset:         3408
        .size:           2
        .value_kind:     hidden_group_size_z
      - .offset:         3410
        .size:           2
        .value_kind:     hidden_remainder_x
      - .offset:         3412
        .size:           2
        .value_kind:     hidden_remainder_y
      - .offset:         3414
        .size:           2
        .value_kind:     hidden_remainder_z
      - .offset:         3432
        .size:           8
        .value_kind:     hidden_global_offset_x
      - .offset:         3440
        .size:           8
        .value_kind:     hidden_global_offset_y
      - .offset:         3448
        .size:           8
        .value_kind:     hidden_global_offset_z
      - .offset:         3456
        .size:           2
        .value_kind:     hidden_grid_dims
    .group_segment_fixed_size: 2048
    .kernarg_segment_align: 8
    .kernarg_segment_size: 3648
    .language:       OpenCL C
    .language_version:
      - 2
      - 0
    .max_flat_workgroup_size: 512
    .name:           _ZN2at6native12_GLOBAL__N_125multi_tensor_apply_kernelINS1_18TensorListMetadataILi1EEENS0_13LpNormFunctorIfLNS0_8NormTypeE0EN3c104HalfELi1ELi1ELi0EEEJPfiEEEvT_T0_DpT1_
    .private_segment_fixed_size: 0
    .sgpr_count:     26
    .sgpr_spill_count: 0
    .symbol:         _ZN2at6native12_GLOBAL__N_125multi_tensor_apply_kernelINS1_18TensorListMetadataILi1EEENS0_13LpNormFunctorIfLNS0_8NormTypeE0EN3c104HalfELi1ELi1ELi0EEEJPfiEEEvT_T0_DpT1_.kd
    .uniform_work_group_size: 1
    .uses_dynamic_stack: false
    .vgpr_count:     18
    .vgpr_spill_count: 0
    .wavefront_size: 64
  - .agpr_count:     0
    .args:
      - .offset:         0
        .size:           3368
        .value_kind:     by_value
      - .offset:         3368
        .size:           1
        .value_kind:     by_value
      - .address_space:  global
        .offset:         3376
        .size:           8
        .value_kind:     global_buffer
      - .offset:         3384
        .size:           4
        .value_kind:     by_value
      - .offset:         3392
        .size:           4
        .value_kind:     hidden_block_count_x
      - .offset:         3396
        .size:           4
        .value_kind:     hidden_block_count_y
      - .offset:         3400
        .size:           4
        .value_kind:     hidden_block_count_z
      - .offset:         3404
        .size:           2
        .value_kind:     hidden_group_size_x
      - .offset:         3406
        .size:           2
        .value_kind:     hidden_group_size_y
      - .offset:         3408
        .size:           2
        .value_kind:     hidden_group_size_z
      - .offset:         3410
        .size:           2
        .value_kind:     hidden_remainder_x
      - .offset:         3412
        .size:           2
        .value_kind:     hidden_remainder_y
      - .offset:         3414
        .size:           2
        .value_kind:     hidden_remainder_z
      - .offset:         3432
        .size:           8
        .value_kind:     hidden_global_offset_x
      - .offset:         3440
        .size:           8
        .value_kind:     hidden_global_offset_y
      - .offset:         3448
        .size:           8
        .value_kind:     hidden_global_offset_z
      - .offset:         3456
        .size:           2
        .value_kind:     hidden_grid_dims
    .group_segment_fixed_size: 2048
    .kernarg_segment_align: 8
    .kernarg_segment_size: 3648
    .language:       OpenCL C
    .language_version:
      - 2
      - 0
    .max_flat_workgroup_size: 512
    .name:           _ZN2at6native12_GLOBAL__N_125multi_tensor_apply_kernelINS1_18TensorListMetadataILi1EEENS0_13LpNormFunctorIfLNS0_8NormTypeE1EN3c104HalfELi1ELi1ELi0EEEJPfiEEEvT_T0_DpT1_
    .private_segment_fixed_size: 0
    .sgpr_count:     26
    .sgpr_spill_count: 0
    .symbol:         _ZN2at6native12_GLOBAL__N_125multi_tensor_apply_kernelINS1_18TensorListMetadataILi1EEENS0_13LpNormFunctorIfLNS0_8NormTypeE1EN3c104HalfELi1ELi1ELi0EEEJPfiEEEvT_T0_DpT1_.kd
    .uniform_work_group_size: 1
    .uses_dynamic_stack: false
    .vgpr_count:     18
    .vgpr_spill_count: 0
    .wavefront_size: 64
  - .agpr_count:     0
    .args:
      - .offset:         0
        .size:           3368
        .value_kind:     by_value
      - .offset:         3368
        .size:           1
        .value_kind:     by_value
      - .address_space:  global
        .offset:         3376
        .size:           8
        .value_kind:     global_buffer
      - .offset:         3384
        .size:           4
        .value_kind:     by_value
      - .offset:         3392
        .size:           4
        .value_kind:     hidden_block_count_x
      - .offset:         3396
        .size:           4
        .value_kind:     hidden_block_count_y
      - .offset:         3400
        .size:           4
        .value_kind:     hidden_block_count_z
      - .offset:         3404
        .size:           2
        .value_kind:     hidden_group_size_x
      - .offset:         3406
        .size:           2
        .value_kind:     hidden_group_size_y
      - .offset:         3408
        .size:           2
        .value_kind:     hidden_group_size_z
      - .offset:         3410
        .size:           2
        .value_kind:     hidden_remainder_x
      - .offset:         3412
        .size:           2
        .value_kind:     hidden_remainder_y
      - .offset:         3414
        .size:           2
        .value_kind:     hidden_remainder_z
      - .offset:         3432
        .size:           8
        .value_kind:     hidden_global_offset_x
      - .offset:         3440
        .size:           8
        .value_kind:     hidden_global_offset_y
      - .offset:         3448
        .size:           8
        .value_kind:     hidden_global_offset_z
      - .offset:         3456
        .size:           2
        .value_kind:     hidden_grid_dims
    .group_segment_fixed_size: 2048
    .kernarg_segment_align: 8
    .kernarg_segment_size: 3648
    .language:       OpenCL C
    .language_version:
      - 2
      - 0
    .max_flat_workgroup_size: 512
    .name:           _ZN2at6native12_GLOBAL__N_125multi_tensor_apply_kernelINS1_18TensorListMetadataILi1EEENS0_13LpNormFunctorIfLNS0_8NormTypeE2EN3c104HalfELi1ELi1ELi0EEEJPfiEEEvT_T0_DpT1_
    .private_segment_fixed_size: 0
    .sgpr_count:     26
    .sgpr_spill_count: 0
    .symbol:         _ZN2at6native12_GLOBAL__N_125multi_tensor_apply_kernelINS1_18TensorListMetadataILi1EEENS0_13LpNormFunctorIfLNS0_8NormTypeE2EN3c104HalfELi1ELi1ELi0EEEJPfiEEEvT_T0_DpT1_.kd
    .uniform_work_group_size: 1
    .uses_dynamic_stack: false
    .vgpr_count:     18
    .vgpr_spill_count: 0
    .wavefront_size: 64
  - .agpr_count:     0
    .args:
      - .offset:         0
        .size:           3368
        .value_kind:     by_value
      - .offset:         3368
        .size:           1
        .value_kind:     by_value
      - .address_space:  global
        .offset:         3376
        .size:           8
        .value_kind:     global_buffer
      - .offset:         3384
        .size:           4
        .value_kind:     by_value
      - .offset:         3392
        .size:           4
        .value_kind:     hidden_block_count_x
      - .offset:         3396
        .size:           4
        .value_kind:     hidden_block_count_y
      - .offset:         3400
        .size:           4
        .value_kind:     hidden_block_count_z
      - .offset:         3404
        .size:           2
        .value_kind:     hidden_group_size_x
      - .offset:         3406
        .size:           2
        .value_kind:     hidden_group_size_y
      - .offset:         3408
        .size:           2
        .value_kind:     hidden_group_size_z
      - .offset:         3410
        .size:           2
        .value_kind:     hidden_remainder_x
      - .offset:         3412
        .size:           2
        .value_kind:     hidden_remainder_y
      - .offset:         3414
        .size:           2
        .value_kind:     hidden_remainder_z
      - .offset:         3432
        .size:           8
        .value_kind:     hidden_global_offset_x
      - .offset:         3440
        .size:           8
        .value_kind:     hidden_global_offset_y
      - .offset:         3448
        .size:           8
        .value_kind:     hidden_global_offset_z
      - .offset:         3456
        .size:           2
        .value_kind:     hidden_grid_dims
    .group_segment_fixed_size: 2048
    .kernarg_segment_align: 8
    .kernarg_segment_size: 3648
    .language:       OpenCL C
    .language_version:
      - 2
      - 0
    .max_flat_workgroup_size: 512
    .name:           _ZN2at6native12_GLOBAL__N_125multi_tensor_apply_kernelINS1_18TensorListMetadataILi1EEENS0_13LpNormFunctorIfLNS0_8NormTypeE3EN3c104HalfELi1ELi1ELi0EEEJPfiEEEvT_T0_DpT1_
    .private_segment_fixed_size: 0
    .sgpr_count:     38
    .sgpr_spill_count: 0
    .symbol:         _ZN2at6native12_GLOBAL__N_125multi_tensor_apply_kernelINS1_18TensorListMetadataILi1EEENS0_13LpNormFunctorIfLNS0_8NormTypeE3EN3c104HalfELi1ELi1ELi0EEEJPfiEEEvT_T0_DpT1_.kd
    .uniform_work_group_size: 1
    .uses_dynamic_stack: false
    .vgpr_count:     18
    .vgpr_spill_count: 0
    .wavefront_size: 64
  - .agpr_count:     0
    .args:
      - .address_space:  global
        .offset:         0
        .size:           8
        .value_kind:     global_buffer
      - .offset:         8
        .size:           3200
        .value_kind:     by_value
      - .offset:         3208
        .size:           4
        .value_kind:     by_value
      - .offset:         3216
        .size:           4
        .value_kind:     hidden_block_count_x
      - .offset:         3220
        .size:           4
        .value_kind:     hidden_block_count_y
      - .offset:         3224
        .size:           4
        .value_kind:     hidden_block_count_z
      - .offset:         3228
        .size:           2
        .value_kind:     hidden_group_size_x
      - .offset:         3230
        .size:           2
        .value_kind:     hidden_group_size_y
      - .offset:         3232
        .size:           2
        .value_kind:     hidden_group_size_z
      - .offset:         3234
        .size:           2
        .value_kind:     hidden_remainder_x
      - .offset:         3236
        .size:           2
        .value_kind:     hidden_remainder_y
      - .offset:         3238
        .size:           2
        .value_kind:     hidden_remainder_z
      - .offset:         3256
        .size:           8
        .value_kind:     hidden_global_offset_x
      - .offset:         3264
        .size:           8
        .value_kind:     hidden_global_offset_y
      - .offset:         3272
        .size:           8
        .value_kind:     hidden_global_offset_z
      - .offset:         3280
        .size:           2
        .value_kind:     hidden_grid_dims
    .group_segment_fixed_size: 2048
    .kernarg_segment_align: 8
    .kernarg_segment_size: 3472
    .language:       OpenCL C
    .language_version:
      - 2
      - 0
    .max_flat_workgroup_size: 1024
    .name:           _ZN2at6native14lpnorm_cleanupIfLNS0_8NormTypeE0EN3c104HalfELb1EfEEvPKT3_NS0_19TensorListAddressesEi
    .private_segment_fixed_size: 0
    .sgpr_count:     22
    .sgpr_spill_count: 0
    .symbol:         _ZN2at6native14lpnorm_cleanupIfLNS0_8NormTypeE0EN3c104HalfELb1EfEEvPKT3_NS0_19TensorListAddressesEi.kd
    .uniform_work_group_size: 1
    .uses_dynamic_stack: false
    .vgpr_count:     11
    .vgpr_spill_count: 0
    .wavefront_size: 64
  - .agpr_count:     0
    .args:
      - .address_space:  global
        .offset:         0
        .size:           8
        .value_kind:     global_buffer
      - .offset:         8
        .size:           3200
        .value_kind:     by_value
      - .offset:         3208
        .size:           4
        .value_kind:     by_value
      - .offset:         3216
        .size:           4
        .value_kind:     hidden_block_count_x
      - .offset:         3220
        .size:           4
        .value_kind:     hidden_block_count_y
      - .offset:         3224
        .size:           4
        .value_kind:     hidden_block_count_z
      - .offset:         3228
        .size:           2
        .value_kind:     hidden_group_size_x
      - .offset:         3230
        .size:           2
        .value_kind:     hidden_group_size_y
      - .offset:         3232
        .size:           2
        .value_kind:     hidden_group_size_z
      - .offset:         3234
        .size:           2
        .value_kind:     hidden_remainder_x
      - .offset:         3236
        .size:           2
        .value_kind:     hidden_remainder_y
      - .offset:         3238
        .size:           2
        .value_kind:     hidden_remainder_z
      - .offset:         3256
        .size:           8
        .value_kind:     hidden_global_offset_x
      - .offset:         3264
        .size:           8
        .value_kind:     hidden_global_offset_y
      - .offset:         3272
        .size:           8
        .value_kind:     hidden_global_offset_z
      - .offset:         3280
        .size:           2
        .value_kind:     hidden_grid_dims
    .group_segment_fixed_size: 2048
    .kernarg_segment_align: 8
    .kernarg_segment_size: 3472
    .language:       OpenCL C
    .language_version:
      - 2
      - 0
    .max_flat_workgroup_size: 1024
    .name:           _ZN2at6native14lpnorm_cleanupIfLNS0_8NormTypeE1EN3c104HalfELb1EfEEvPKT3_NS0_19TensorListAddressesEi
    .private_segment_fixed_size: 0
    .sgpr_count:     22
    .sgpr_spill_count: 0
    .symbol:         _ZN2at6native14lpnorm_cleanupIfLNS0_8NormTypeE1EN3c104HalfELb1EfEEvPKT3_NS0_19TensorListAddressesEi.kd
    .uniform_work_group_size: 1
    .uses_dynamic_stack: false
    .vgpr_count:     11
    .vgpr_spill_count: 0
    .wavefront_size: 64
  - .agpr_count:     0
    .args:
      - .address_space:  global
        .offset:         0
        .size:           8
        .value_kind:     global_buffer
      - .offset:         8
        .size:           3200
        .value_kind:     by_value
      - .offset:         3208
        .size:           4
        .value_kind:     by_value
      - .offset:         3216
        .size:           4
        .value_kind:     hidden_block_count_x
      - .offset:         3220
        .size:           4
        .value_kind:     hidden_block_count_y
      - .offset:         3224
        .size:           4
        .value_kind:     hidden_block_count_z
      - .offset:         3228
        .size:           2
        .value_kind:     hidden_group_size_x
      - .offset:         3230
        .size:           2
        .value_kind:     hidden_group_size_y
      - .offset:         3232
        .size:           2
        .value_kind:     hidden_group_size_z
      - .offset:         3234
        .size:           2
        .value_kind:     hidden_remainder_x
      - .offset:         3236
        .size:           2
        .value_kind:     hidden_remainder_y
      - .offset:         3238
        .size:           2
        .value_kind:     hidden_remainder_z
      - .offset:         3256
        .size:           8
        .value_kind:     hidden_global_offset_x
      - .offset:         3264
        .size:           8
        .value_kind:     hidden_global_offset_y
      - .offset:         3272
        .size:           8
        .value_kind:     hidden_global_offset_z
      - .offset:         3280
        .size:           2
        .value_kind:     hidden_grid_dims
    .group_segment_fixed_size: 2048
    .kernarg_segment_align: 8
    .kernarg_segment_size: 3472
    .language:       OpenCL C
    .language_version:
      - 2
      - 0
    .max_flat_workgroup_size: 1024
    .name:           _ZN2at6native14lpnorm_cleanupIfLNS0_8NormTypeE2EN3c104HalfELb1EfEEvPKT3_NS0_19TensorListAddressesEi
    .private_segment_fixed_size: 0
    .sgpr_count:     22
    .sgpr_spill_count: 0
    .symbol:         _ZN2at6native14lpnorm_cleanupIfLNS0_8NormTypeE2EN3c104HalfELb1EfEEvPKT3_NS0_19TensorListAddressesEi.kd
    .uniform_work_group_size: 1
    .uses_dynamic_stack: false
    .vgpr_count:     11
    .vgpr_spill_count: 0
    .wavefront_size: 64
  - .agpr_count:     0
    .args:
      - .address_space:  global
        .offset:         0
        .size:           8
        .value_kind:     global_buffer
      - .offset:         8
        .size:           3200
        .value_kind:     by_value
      - .offset:         3208
        .size:           4
        .value_kind:     by_value
      - .offset:         3216
        .size:           4
        .value_kind:     hidden_block_count_x
      - .offset:         3220
        .size:           4
        .value_kind:     hidden_block_count_y
      - .offset:         3224
        .size:           4
        .value_kind:     hidden_block_count_z
      - .offset:         3228
        .size:           2
        .value_kind:     hidden_group_size_x
      - .offset:         3230
        .size:           2
        .value_kind:     hidden_group_size_y
      - .offset:         3232
        .size:           2
        .value_kind:     hidden_group_size_z
      - .offset:         3234
        .size:           2
        .value_kind:     hidden_remainder_x
      - .offset:         3236
        .size:           2
        .value_kind:     hidden_remainder_y
      - .offset:         3238
        .size:           2
        .value_kind:     hidden_remainder_z
      - .offset:         3256
        .size:           8
        .value_kind:     hidden_global_offset_x
      - .offset:         3264
        .size:           8
        .value_kind:     hidden_global_offset_y
      - .offset:         3272
        .size:           8
        .value_kind:     hidden_global_offset_z
      - .offset:         3280
        .size:           2
        .value_kind:     hidden_grid_dims
    .group_segment_fixed_size: 2048
    .kernarg_segment_align: 8
    .kernarg_segment_size: 3472
    .language:       OpenCL C
    .language_version:
      - 2
      - 0
    .max_flat_workgroup_size: 1024
    .name:           _ZN2at6native14lpnorm_cleanupIfLNS0_8NormTypeE3EN3c104HalfELb1EfEEvPKT3_NS0_19TensorListAddressesEi
    .private_segment_fixed_size: 0
    .sgpr_count:     24
    .sgpr_spill_count: 0
    .symbol:         _ZN2at6native14lpnorm_cleanupIfLNS0_8NormTypeE3EN3c104HalfELb1EfEEvPKT3_NS0_19TensorListAddressesEi.kd
    .uniform_work_group_size: 1
    .uses_dynamic_stack: false
    .vgpr_count:     11
    .vgpr_spill_count: 0
    .wavefront_size: 64
  - .agpr_count:     0
    .args:
      - .offset:         0
        .size:           3368
        .value_kind:     by_value
      - .offset:         3368
        .size:           1
        .value_kind:     by_value
      - .address_space:  global
        .offset:         3376
        .size:           8
        .value_kind:     global_buffer
      - .offset:         3384
        .size:           4
        .value_kind:     by_value
      - .offset:         3392
        .size:           4
        .value_kind:     hidden_block_count_x
      - .offset:         3396
        .size:           4
        .value_kind:     hidden_block_count_y
      - .offset:         3400
        .size:           4
        .value_kind:     hidden_block_count_z
      - .offset:         3404
        .size:           2
        .value_kind:     hidden_group_size_x
      - .offset:         3406
        .size:           2
        .value_kind:     hidden_group_size_y
      - .offset:         3408
        .size:           2
        .value_kind:     hidden_group_size_z
      - .offset:         3410
        .size:           2
        .value_kind:     hidden_remainder_x
      - .offset:         3412
        .size:           2
        .value_kind:     hidden_remainder_y
      - .offset:         3414
        .size:           2
        .value_kind:     hidden_remainder_z
      - .offset:         3432
        .size:           8
        .value_kind:     hidden_global_offset_x
      - .offset:         3440
        .size:           8
        .value_kind:     hidden_global_offset_y
      - .offset:         3448
        .size:           8
        .value_kind:     hidden_global_offset_z
      - .offset:         3456
        .size:           2
        .value_kind:     hidden_grid_dims
    .group_segment_fixed_size: 2048
    .kernarg_segment_align: 8
    .kernarg_segment_size: 3648
    .language:       OpenCL C
    .language_version:
      - 2
      - 0
    .max_flat_workgroup_size: 512
    .name:           _ZN2at6native12_GLOBAL__N_125multi_tensor_apply_kernelINS1_18TensorListMetadataILi1EEENS0_13LpNormFunctorIfLNS0_8NormTypeE0EN3c108BFloat16ELi1ELi1ELi0EEEJPfiEEEvT_T0_DpT1_
    .private_segment_fixed_size: 0
    .sgpr_count:     26
    .sgpr_spill_count: 0
    .symbol:         _ZN2at6native12_GLOBAL__N_125multi_tensor_apply_kernelINS1_18TensorListMetadataILi1EEENS0_13LpNormFunctorIfLNS0_8NormTypeE0EN3c108BFloat16ELi1ELi1ELi0EEEJPfiEEEvT_T0_DpT1_.kd
    .uniform_work_group_size: 1
    .uses_dynamic_stack: false
    .vgpr_count:     18
    .vgpr_spill_count: 0
    .wavefront_size: 64
  - .agpr_count:     0
    .args:
      - .offset:         0
        .size:           3368
        .value_kind:     by_value
      - .offset:         3368
        .size:           1
        .value_kind:     by_value
      - .address_space:  global
        .offset:         3376
        .size:           8
        .value_kind:     global_buffer
      - .offset:         3384
        .size:           4
        .value_kind:     by_value
      - .offset:         3392
        .size:           4
        .value_kind:     hidden_block_count_x
      - .offset:         3396
        .size:           4
        .value_kind:     hidden_block_count_y
      - .offset:         3400
        .size:           4
        .value_kind:     hidden_block_count_z
      - .offset:         3404
        .size:           2
        .value_kind:     hidden_group_size_x
      - .offset:         3406
        .size:           2
        .value_kind:     hidden_group_size_y
      - .offset:         3408
        .size:           2
        .value_kind:     hidden_group_size_z
      - .offset:         3410
        .size:           2
        .value_kind:     hidden_remainder_x
      - .offset:         3412
        .size:           2
        .value_kind:     hidden_remainder_y
      - .offset:         3414
        .size:           2
        .value_kind:     hidden_remainder_z
      - .offset:         3432
        .size:           8
        .value_kind:     hidden_global_offset_x
      - .offset:         3440
        .size:           8
        .value_kind:     hidden_global_offset_y
      - .offset:         3448
        .size:           8
        .value_kind:     hidden_global_offset_z
      - .offset:         3456
        .size:           2
        .value_kind:     hidden_grid_dims
    .group_segment_fixed_size: 2048
    .kernarg_segment_align: 8
    .kernarg_segment_size: 3648
    .language:       OpenCL C
    .language_version:
      - 2
      - 0
    .max_flat_workgroup_size: 512
    .name:           _ZN2at6native12_GLOBAL__N_125multi_tensor_apply_kernelINS1_18TensorListMetadataILi1EEENS0_13LpNormFunctorIfLNS0_8NormTypeE1EN3c108BFloat16ELi1ELi1ELi0EEEJPfiEEEvT_T0_DpT1_
    .private_segment_fixed_size: 0
    .sgpr_count:     26
    .sgpr_spill_count: 0
    .symbol:         _ZN2at6native12_GLOBAL__N_125multi_tensor_apply_kernelINS1_18TensorListMetadataILi1EEENS0_13LpNormFunctorIfLNS0_8NormTypeE1EN3c108BFloat16ELi1ELi1ELi0EEEJPfiEEEvT_T0_DpT1_.kd
    .uniform_work_group_size: 1
    .uses_dynamic_stack: false
    .vgpr_count:     18
    .vgpr_spill_count: 0
    .wavefront_size: 64
  - .agpr_count:     0
    .args:
      - .offset:         0
        .size:           3368
        .value_kind:     by_value
      - .offset:         3368
        .size:           1
        .value_kind:     by_value
      - .address_space:  global
        .offset:         3376
        .size:           8
        .value_kind:     global_buffer
      - .offset:         3384
        .size:           4
        .value_kind:     by_value
      - .offset:         3392
        .size:           4
        .value_kind:     hidden_block_count_x
      - .offset:         3396
        .size:           4
        .value_kind:     hidden_block_count_y
      - .offset:         3400
        .size:           4
        .value_kind:     hidden_block_count_z
      - .offset:         3404
        .size:           2
        .value_kind:     hidden_group_size_x
      - .offset:         3406
        .size:           2
        .value_kind:     hidden_group_size_y
      - .offset:         3408
        .size:           2
        .value_kind:     hidden_group_size_z
      - .offset:         3410
        .size:           2
        .value_kind:     hidden_remainder_x
      - .offset:         3412
        .size:           2
        .value_kind:     hidden_remainder_y
      - .offset:         3414
        .size:           2
        .value_kind:     hidden_remainder_z
      - .offset:         3432
        .size:           8
        .value_kind:     hidden_global_offset_x
      - .offset:         3440
        .size:           8
        .value_kind:     hidden_global_offset_y
      - .offset:         3448
        .size:           8
        .value_kind:     hidden_global_offset_z
      - .offset:         3456
        .size:           2
        .value_kind:     hidden_grid_dims
    .group_segment_fixed_size: 2048
    .kernarg_segment_align: 8
    .kernarg_segment_size: 3648
    .language:       OpenCL C
    .language_version:
      - 2
      - 0
    .max_flat_workgroup_size: 512
    .name:           _ZN2at6native12_GLOBAL__N_125multi_tensor_apply_kernelINS1_18TensorListMetadataILi1EEENS0_13LpNormFunctorIfLNS0_8NormTypeE2EN3c108BFloat16ELi1ELi1ELi0EEEJPfiEEEvT_T0_DpT1_
    .private_segment_fixed_size: 0
    .sgpr_count:     26
    .sgpr_spill_count: 0
    .symbol:         _ZN2at6native12_GLOBAL__N_125multi_tensor_apply_kernelINS1_18TensorListMetadataILi1EEENS0_13LpNormFunctorIfLNS0_8NormTypeE2EN3c108BFloat16ELi1ELi1ELi0EEEJPfiEEEvT_T0_DpT1_.kd
    .uniform_work_group_size: 1
    .uses_dynamic_stack: false
    .vgpr_count:     18
    .vgpr_spill_count: 0
    .wavefront_size: 64
  - .agpr_count:     0
    .args:
      - .offset:         0
        .size:           3368
        .value_kind:     by_value
      - .offset:         3368
        .size:           1
        .value_kind:     by_value
      - .address_space:  global
        .offset:         3376
        .size:           8
        .value_kind:     global_buffer
      - .offset:         3384
        .size:           4
        .value_kind:     by_value
      - .offset:         3392
        .size:           4
        .value_kind:     hidden_block_count_x
      - .offset:         3396
        .size:           4
        .value_kind:     hidden_block_count_y
      - .offset:         3400
        .size:           4
        .value_kind:     hidden_block_count_z
      - .offset:         3404
        .size:           2
        .value_kind:     hidden_group_size_x
      - .offset:         3406
        .size:           2
        .value_kind:     hidden_group_size_y
      - .offset:         3408
        .size:           2
        .value_kind:     hidden_group_size_z
      - .offset:         3410
        .size:           2
        .value_kind:     hidden_remainder_x
      - .offset:         3412
        .size:           2
        .value_kind:     hidden_remainder_y
      - .offset:         3414
        .size:           2
        .value_kind:     hidden_remainder_z
      - .offset:         3432
        .size:           8
        .value_kind:     hidden_global_offset_x
      - .offset:         3440
        .size:           8
        .value_kind:     hidden_global_offset_y
      - .offset:         3448
        .size:           8
        .value_kind:     hidden_global_offset_z
      - .offset:         3456
        .size:           2
        .value_kind:     hidden_grid_dims
    .group_segment_fixed_size: 2048
    .kernarg_segment_align: 8
    .kernarg_segment_size: 3648
    .language:       OpenCL C
    .language_version:
      - 2
      - 0
    .max_flat_workgroup_size: 512
    .name:           _ZN2at6native12_GLOBAL__N_125multi_tensor_apply_kernelINS1_18TensorListMetadataILi1EEENS0_13LpNormFunctorIfLNS0_8NormTypeE3EN3c108BFloat16ELi1ELi1ELi0EEEJPfiEEEvT_T0_DpT1_
    .private_segment_fixed_size: 0
    .sgpr_count:     38
    .sgpr_spill_count: 0
    .symbol:         _ZN2at6native12_GLOBAL__N_125multi_tensor_apply_kernelINS1_18TensorListMetadataILi1EEENS0_13LpNormFunctorIfLNS0_8NormTypeE3EN3c108BFloat16ELi1ELi1ELi0EEEJPfiEEEvT_T0_DpT1_.kd
    .uniform_work_group_size: 1
    .uses_dynamic_stack: false
    .vgpr_count:     18
    .vgpr_spill_count: 0
    .wavefront_size: 64
  - .agpr_count:     0
    .args:
      - .address_space:  global
        .offset:         0
        .size:           8
        .value_kind:     global_buffer
      - .offset:         8
        .size:           3200
        .value_kind:     by_value
      - .offset:         3208
        .size:           4
        .value_kind:     by_value
      - .offset:         3216
        .size:           4
        .value_kind:     hidden_block_count_x
      - .offset:         3220
        .size:           4
        .value_kind:     hidden_block_count_y
      - .offset:         3224
        .size:           4
        .value_kind:     hidden_block_count_z
      - .offset:         3228
        .size:           2
        .value_kind:     hidden_group_size_x
      - .offset:         3230
        .size:           2
        .value_kind:     hidden_group_size_y
      - .offset:         3232
        .size:           2
        .value_kind:     hidden_group_size_z
      - .offset:         3234
        .size:           2
        .value_kind:     hidden_remainder_x
      - .offset:         3236
        .size:           2
        .value_kind:     hidden_remainder_y
      - .offset:         3238
        .size:           2
        .value_kind:     hidden_remainder_z
      - .offset:         3256
        .size:           8
        .value_kind:     hidden_global_offset_x
      - .offset:         3264
        .size:           8
        .value_kind:     hidden_global_offset_y
      - .offset:         3272
        .size:           8
        .value_kind:     hidden_global_offset_z
      - .offset:         3280
        .size:           2
        .value_kind:     hidden_grid_dims
    .group_segment_fixed_size: 2048
    .kernarg_segment_align: 8
    .kernarg_segment_size: 3472
    .language:       OpenCL C
    .language_version:
      - 2
      - 0
    .max_flat_workgroup_size: 1024
    .name:           _ZN2at6native14lpnorm_cleanupIfLNS0_8NormTypeE0EN3c108BFloat16ELb1EfEEvPKT3_NS0_19TensorListAddressesEi
    .private_segment_fixed_size: 0
    .sgpr_count:     22
    .sgpr_spill_count: 0
    .symbol:         _ZN2at6native14lpnorm_cleanupIfLNS0_8NormTypeE0EN3c108BFloat16ELb1EfEEvPKT3_NS0_19TensorListAddressesEi.kd
    .uniform_work_group_size: 1
    .uses_dynamic_stack: false
    .vgpr_count:     11
    .vgpr_spill_count: 0
    .wavefront_size: 64
  - .agpr_count:     0
    .args:
      - .address_space:  global
        .offset:         0
        .size:           8
        .value_kind:     global_buffer
      - .offset:         8
        .size:           3200
        .value_kind:     by_value
      - .offset:         3208
        .size:           4
        .value_kind:     by_value
      - .offset:         3216
        .size:           4
        .value_kind:     hidden_block_count_x
      - .offset:         3220
        .size:           4
        .value_kind:     hidden_block_count_y
      - .offset:         3224
        .size:           4
        .value_kind:     hidden_block_count_z
      - .offset:         3228
        .size:           2
        .value_kind:     hidden_group_size_x
      - .offset:         3230
        .size:           2
        .value_kind:     hidden_group_size_y
      - .offset:         3232
        .size:           2
        .value_kind:     hidden_group_size_z
      - .offset:         3234
        .size:           2
        .value_kind:     hidden_remainder_x
      - .offset:         3236
        .size:           2
        .value_kind:     hidden_remainder_y
      - .offset:         3238
        .size:           2
        .value_kind:     hidden_remainder_z
      - .offset:         3256
        .size:           8
        .value_kind:     hidden_global_offset_x
      - .offset:         3264
        .size:           8
        .value_kind:     hidden_global_offset_y
      - .offset:         3272
        .size:           8
        .value_kind:     hidden_global_offset_z
      - .offset:         3280
        .size:           2
        .value_kind:     hidden_grid_dims
    .group_segment_fixed_size: 2048
    .kernarg_segment_align: 8
    .kernarg_segment_size: 3472
    .language:       OpenCL C
    .language_version:
      - 2
      - 0
    .max_flat_workgroup_size: 1024
    .name:           _ZN2at6native14lpnorm_cleanupIfLNS0_8NormTypeE1EN3c108BFloat16ELb1EfEEvPKT3_NS0_19TensorListAddressesEi
    .private_segment_fixed_size: 0
    .sgpr_count:     22
    .sgpr_spill_count: 0
    .symbol:         _ZN2at6native14lpnorm_cleanupIfLNS0_8NormTypeE1EN3c108BFloat16ELb1EfEEvPKT3_NS0_19TensorListAddressesEi.kd
    .uniform_work_group_size: 1
    .uses_dynamic_stack: false
    .vgpr_count:     11
    .vgpr_spill_count: 0
    .wavefront_size: 64
  - .agpr_count:     0
    .args:
      - .address_space:  global
        .offset:         0
        .size:           8
        .value_kind:     global_buffer
      - .offset:         8
        .size:           3200
        .value_kind:     by_value
      - .offset:         3208
        .size:           4
        .value_kind:     by_value
      - .offset:         3216
        .size:           4
        .value_kind:     hidden_block_count_x
      - .offset:         3220
        .size:           4
        .value_kind:     hidden_block_count_y
      - .offset:         3224
        .size:           4
        .value_kind:     hidden_block_count_z
      - .offset:         3228
        .size:           2
        .value_kind:     hidden_group_size_x
      - .offset:         3230
        .size:           2
        .value_kind:     hidden_group_size_y
      - .offset:         3232
        .size:           2
        .value_kind:     hidden_group_size_z
      - .offset:         3234
        .size:           2
        .value_kind:     hidden_remainder_x
      - .offset:         3236
        .size:           2
        .value_kind:     hidden_remainder_y
      - .offset:         3238
        .size:           2
        .value_kind:     hidden_remainder_z
      - .offset:         3256
        .size:           8
        .value_kind:     hidden_global_offset_x
      - .offset:         3264
        .size:           8
        .value_kind:     hidden_global_offset_y
      - .offset:         3272
        .size:           8
        .value_kind:     hidden_global_offset_z
      - .offset:         3280
        .size:           2
        .value_kind:     hidden_grid_dims
    .group_segment_fixed_size: 2048
    .kernarg_segment_align: 8
    .kernarg_segment_size: 3472
    .language:       OpenCL C
    .language_version:
      - 2
      - 0
    .max_flat_workgroup_size: 1024
    .name:           _ZN2at6native14lpnorm_cleanupIfLNS0_8NormTypeE2EN3c108BFloat16ELb1EfEEvPKT3_NS0_19TensorListAddressesEi
    .private_segment_fixed_size: 0
    .sgpr_count:     22
    .sgpr_spill_count: 0
    .symbol:         _ZN2at6native14lpnorm_cleanupIfLNS0_8NormTypeE2EN3c108BFloat16ELb1EfEEvPKT3_NS0_19TensorListAddressesEi.kd
    .uniform_work_group_size: 1
    .uses_dynamic_stack: false
    .vgpr_count:     11
    .vgpr_spill_count: 0
    .wavefront_size: 64
  - .agpr_count:     0
    .args:
      - .address_space:  global
        .offset:         0
        .size:           8
        .value_kind:     global_buffer
      - .offset:         8
        .size:           3200
        .value_kind:     by_value
      - .offset:         3208
        .size:           4
        .value_kind:     by_value
      - .offset:         3216
        .size:           4
        .value_kind:     hidden_block_count_x
      - .offset:         3220
        .size:           4
        .value_kind:     hidden_block_count_y
      - .offset:         3224
        .size:           4
        .value_kind:     hidden_block_count_z
      - .offset:         3228
        .size:           2
        .value_kind:     hidden_group_size_x
      - .offset:         3230
        .size:           2
        .value_kind:     hidden_group_size_y
      - .offset:         3232
        .size:           2
        .value_kind:     hidden_group_size_z
      - .offset:         3234
        .size:           2
        .value_kind:     hidden_remainder_x
      - .offset:         3236
        .size:           2
        .value_kind:     hidden_remainder_y
      - .offset:         3238
        .size:           2
        .value_kind:     hidden_remainder_z
      - .offset:         3256
        .size:           8
        .value_kind:     hidden_global_offset_x
      - .offset:         3264
        .size:           8
        .value_kind:     hidden_global_offset_y
      - .offset:         3272
        .size:           8
        .value_kind:     hidden_global_offset_z
      - .offset:         3280
        .size:           2
        .value_kind:     hidden_grid_dims
    .group_segment_fixed_size: 2048
    .kernarg_segment_align: 8
    .kernarg_segment_size: 3472
    .language:       OpenCL C
    .language_version:
      - 2
      - 0
    .max_flat_workgroup_size: 1024
    .name:           _ZN2at6native14lpnorm_cleanupIfLNS0_8NormTypeE3EN3c108BFloat16ELb1EfEEvPKT3_NS0_19TensorListAddressesEi
    .private_segment_fixed_size: 0
    .sgpr_count:     24
    .sgpr_spill_count: 0
    .symbol:         _ZN2at6native14lpnorm_cleanupIfLNS0_8NormTypeE3EN3c108BFloat16ELb1EfEEvPKT3_NS0_19TensorListAddressesEi.kd
    .uniform_work_group_size: 1
    .uses_dynamic_stack: false
    .vgpr_count:     11
    .vgpr_spill_count: 0
    .wavefront_size: 64
  - .agpr_count:     0
    .args:
      - .offset:         0
        .size:           3368
        .value_kind:     by_value
      - .offset:         3368
        .size:           1
        .value_kind:     by_value
      - .address_space:  global
        .offset:         3376
        .size:           8
        .value_kind:     global_buffer
      - .offset:         3384
        .size:           4
        .value_kind:     by_value
      - .offset:         3392
        .size:           4
        .value_kind:     hidden_block_count_x
      - .offset:         3396
        .size:           4
        .value_kind:     hidden_block_count_y
      - .offset:         3400
        .size:           4
        .value_kind:     hidden_block_count_z
      - .offset:         3404
        .size:           2
        .value_kind:     hidden_group_size_x
      - .offset:         3406
        .size:           2
        .value_kind:     hidden_group_size_y
      - .offset:         3408
        .size:           2
        .value_kind:     hidden_group_size_z
      - .offset:         3410
        .size:           2
        .value_kind:     hidden_remainder_x
      - .offset:         3412
        .size:           2
        .value_kind:     hidden_remainder_y
      - .offset:         3414
        .size:           2
        .value_kind:     hidden_remainder_z
      - .offset:         3432
        .size:           8
        .value_kind:     hidden_global_offset_x
      - .offset:         3440
        .size:           8
        .value_kind:     hidden_global_offset_y
      - .offset:         3448
        .size:           8
        .value_kind:     hidden_global_offset_z
      - .offset:         3456
        .size:           2
        .value_kind:     hidden_grid_dims
    .group_segment_fixed_size: 4096
    .kernarg_segment_align: 8
    .kernarg_segment_size: 3648
    .language:       OpenCL C
    .language_version:
      - 2
      - 0
    .max_flat_workgroup_size: 512
    .name:           _ZN2at6native12_GLOBAL__N_125multi_tensor_apply_kernelINS1_18TensorListMetadataILi1EEENS0_13LpNormFunctorIN3c104HalfELNS0_8NormTypeE0EdLi1ELi1ELi0EEEJPdiEEEvT_T0_DpT1_
    .private_segment_fixed_size: 0
    .sgpr_count:     28
    .sgpr_spill_count: 0
    .symbol:         _ZN2at6native12_GLOBAL__N_125multi_tensor_apply_kernelINS1_18TensorListMetadataILi1EEENS0_13LpNormFunctorIN3c104HalfELNS0_8NormTypeE0EdLi1ELi1ELi0EEEJPdiEEEvT_T0_DpT1_.kd
    .uniform_work_group_size: 1
    .uses_dynamic_stack: false
    .vgpr_count:     23
    .vgpr_spill_count: 0
    .wavefront_size: 64
  - .agpr_count:     0
    .args:
      - .offset:         0
        .size:           3368
        .value_kind:     by_value
      - .offset:         3368
        .size:           1
        .value_kind:     by_value
      - .address_space:  global
        .offset:         3376
        .size:           8
        .value_kind:     global_buffer
      - .offset:         3384
        .size:           4
        .value_kind:     by_value
      - .offset:         3392
        .size:           4
        .value_kind:     hidden_block_count_x
      - .offset:         3396
        .size:           4
        .value_kind:     hidden_block_count_y
      - .offset:         3400
        .size:           4
        .value_kind:     hidden_block_count_z
      - .offset:         3404
        .size:           2
        .value_kind:     hidden_group_size_x
      - .offset:         3406
        .size:           2
        .value_kind:     hidden_group_size_y
      - .offset:         3408
        .size:           2
        .value_kind:     hidden_group_size_z
      - .offset:         3410
        .size:           2
        .value_kind:     hidden_remainder_x
      - .offset:         3412
        .size:           2
        .value_kind:     hidden_remainder_y
      - .offset:         3414
        .size:           2
        .value_kind:     hidden_remainder_z
      - .offset:         3432
        .size:           8
        .value_kind:     hidden_global_offset_x
      - .offset:         3440
        .size:           8
        .value_kind:     hidden_global_offset_y
      - .offset:         3448
        .size:           8
        .value_kind:     hidden_global_offset_z
      - .offset:         3456
        .size:           2
        .value_kind:     hidden_grid_dims
    .group_segment_fixed_size: 4096
    .kernarg_segment_align: 8
    .kernarg_segment_size: 3648
    .language:       OpenCL C
    .language_version:
      - 2
      - 0
    .max_flat_workgroup_size: 512
    .name:           _ZN2at6native12_GLOBAL__N_125multi_tensor_apply_kernelINS1_18TensorListMetadataILi1EEENS0_13LpNormFunctorIN3c104HalfELNS0_8NormTypeE1EdLi1ELi1ELi0EEEJPdiEEEvT_T0_DpT1_
    .private_segment_fixed_size: 0
    .sgpr_count:     28
    .sgpr_spill_count: 0
    .symbol:         _ZN2at6native12_GLOBAL__N_125multi_tensor_apply_kernelINS1_18TensorListMetadataILi1EEENS0_13LpNormFunctorIN3c104HalfELNS0_8NormTypeE1EdLi1ELi1ELi0EEEJPdiEEEvT_T0_DpT1_.kd
    .uniform_work_group_size: 1
    .uses_dynamic_stack: false
    .vgpr_count:     23
    .vgpr_spill_count: 0
    .wavefront_size: 64
  - .agpr_count:     0
    .args:
      - .offset:         0
        .size:           3368
        .value_kind:     by_value
      - .offset:         3368
        .size:           1
        .value_kind:     by_value
      - .address_space:  global
        .offset:         3376
        .size:           8
        .value_kind:     global_buffer
      - .offset:         3384
        .size:           4
        .value_kind:     by_value
      - .offset:         3392
        .size:           4
        .value_kind:     hidden_block_count_x
      - .offset:         3396
        .size:           4
        .value_kind:     hidden_block_count_y
      - .offset:         3400
        .size:           4
        .value_kind:     hidden_block_count_z
      - .offset:         3404
        .size:           2
        .value_kind:     hidden_group_size_x
      - .offset:         3406
        .size:           2
        .value_kind:     hidden_group_size_y
      - .offset:         3408
        .size:           2
        .value_kind:     hidden_group_size_z
      - .offset:         3410
        .size:           2
        .value_kind:     hidden_remainder_x
      - .offset:         3412
        .size:           2
        .value_kind:     hidden_remainder_y
      - .offset:         3414
        .size:           2
        .value_kind:     hidden_remainder_z
      - .offset:         3432
        .size:           8
        .value_kind:     hidden_global_offset_x
      - .offset:         3440
        .size:           8
        .value_kind:     hidden_global_offset_y
      - .offset:         3448
        .size:           8
        .value_kind:     hidden_global_offset_z
      - .offset:         3456
        .size:           2
        .value_kind:     hidden_grid_dims
    .group_segment_fixed_size: 4096
    .kernarg_segment_align: 8
    .kernarg_segment_size: 3648
    .language:       OpenCL C
    .language_version:
      - 2
      - 0
    .max_flat_workgroup_size: 512
    .name:           _ZN2at6native12_GLOBAL__N_125multi_tensor_apply_kernelINS1_18TensorListMetadataILi1EEENS0_13LpNormFunctorIN3c104HalfELNS0_8NormTypeE2EdLi1ELi1ELi0EEEJPdiEEEvT_T0_DpT1_
    .private_segment_fixed_size: 0
    .sgpr_count:     28
    .sgpr_spill_count: 0
    .symbol:         _ZN2at6native12_GLOBAL__N_125multi_tensor_apply_kernelINS1_18TensorListMetadataILi1EEENS0_13LpNormFunctorIN3c104HalfELNS0_8NormTypeE2EdLi1ELi1ELi0EEEJPdiEEEvT_T0_DpT1_.kd
    .uniform_work_group_size: 1
    .uses_dynamic_stack: false
    .vgpr_count:     23
    .vgpr_spill_count: 0
    .wavefront_size: 64
  - .agpr_count:     0
    .args:
      - .offset:         0
        .size:           3368
        .value_kind:     by_value
      - .offset:         3368
        .size:           1
        .value_kind:     by_value
      - .address_space:  global
        .offset:         3376
        .size:           8
        .value_kind:     global_buffer
      - .offset:         3384
        .size:           4
        .value_kind:     by_value
      - .offset:         3392
        .size:           4
        .value_kind:     hidden_block_count_x
      - .offset:         3396
        .size:           4
        .value_kind:     hidden_block_count_y
      - .offset:         3400
        .size:           4
        .value_kind:     hidden_block_count_z
      - .offset:         3404
        .size:           2
        .value_kind:     hidden_group_size_x
      - .offset:         3406
        .size:           2
        .value_kind:     hidden_group_size_y
      - .offset:         3408
        .size:           2
        .value_kind:     hidden_group_size_z
      - .offset:         3410
        .size:           2
        .value_kind:     hidden_remainder_x
      - .offset:         3412
        .size:           2
        .value_kind:     hidden_remainder_y
      - .offset:         3414
        .size:           2
        .value_kind:     hidden_remainder_z
      - .offset:         3432
        .size:           8
        .value_kind:     hidden_global_offset_x
      - .offset:         3440
        .size:           8
        .value_kind:     hidden_global_offset_y
      - .offset:         3448
        .size:           8
        .value_kind:     hidden_global_offset_z
      - .offset:         3456
        .size:           2
        .value_kind:     hidden_grid_dims
    .group_segment_fixed_size: 4096
    .kernarg_segment_align: 8
    .kernarg_segment_size: 3648
    .language:       OpenCL C
    .language_version:
      - 2
      - 0
    .max_flat_workgroup_size: 512
    .name:           _ZN2at6native12_GLOBAL__N_125multi_tensor_apply_kernelINS1_18TensorListMetadataILi1EEENS0_13LpNormFunctorIN3c104HalfELNS0_8NormTypeE3EdLi1ELi1ELi0EEEJPdiEEEvT_T0_DpT1_
    .private_segment_fixed_size: 0
    .sgpr_count:     38
    .sgpr_spill_count: 0
    .symbol:         _ZN2at6native12_GLOBAL__N_125multi_tensor_apply_kernelINS1_18TensorListMetadataILi1EEENS0_13LpNormFunctorIN3c104HalfELNS0_8NormTypeE3EdLi1ELi1ELi0EEEJPdiEEEvT_T0_DpT1_.kd
    .uniform_work_group_size: 1
    .uses_dynamic_stack: false
    .vgpr_count:     23
    .vgpr_spill_count: 0
    .wavefront_size: 64
  - .agpr_count:     0
    .args:
      - .address_space:  global
        .offset:         0
        .size:           8
        .value_kind:     global_buffer
      - .offset:         8
        .size:           3200
        .value_kind:     by_value
      - .offset:         3208
        .size:           4
        .value_kind:     by_value
      - .offset:         3216
        .size:           4
        .value_kind:     hidden_block_count_x
      - .offset:         3220
        .size:           4
        .value_kind:     hidden_block_count_y
      - .offset:         3224
        .size:           4
        .value_kind:     hidden_block_count_z
      - .offset:         3228
        .size:           2
        .value_kind:     hidden_group_size_x
      - .offset:         3230
        .size:           2
        .value_kind:     hidden_group_size_y
      - .offset:         3232
        .size:           2
        .value_kind:     hidden_group_size_z
      - .offset:         3234
        .size:           2
        .value_kind:     hidden_remainder_x
      - .offset:         3236
        .size:           2
        .value_kind:     hidden_remainder_y
      - .offset:         3238
        .size:           2
        .value_kind:     hidden_remainder_z
      - .offset:         3256
        .size:           8
        .value_kind:     hidden_global_offset_x
      - .offset:         3264
        .size:           8
        .value_kind:     hidden_global_offset_y
      - .offset:         3272
        .size:           8
        .value_kind:     hidden_global_offset_z
      - .offset:         3280
        .size:           2
        .value_kind:     hidden_grid_dims
    .group_segment_fixed_size: 4096
    .kernarg_segment_align: 8
    .kernarg_segment_size: 3472
    .language:       OpenCL C
    .language_version:
      - 2
      - 0
    .max_flat_workgroup_size: 1024
    .name:           _ZN2at6native14lpnorm_cleanupIN3c104HalfELNS0_8NormTypeE0EdLb1EdEEvPKT3_NS0_19TensorListAddressesEi
    .private_segment_fixed_size: 0
    .sgpr_count:     22
    .sgpr_spill_count: 0
    .symbol:         _ZN2at6native14lpnorm_cleanupIN3c104HalfELNS0_8NormTypeE0EdLb1EdEEvPKT3_NS0_19TensorListAddressesEi.kd
    .uniform_work_group_size: 1
    .uses_dynamic_stack: false
    .vgpr_count:     13
    .vgpr_spill_count: 0
    .wavefront_size: 64
  - .agpr_count:     0
    .args:
      - .address_space:  global
        .offset:         0
        .size:           8
        .value_kind:     global_buffer
      - .offset:         8
        .size:           3200
        .value_kind:     by_value
      - .offset:         3208
        .size:           4
        .value_kind:     by_value
      - .offset:         3216
        .size:           4
        .value_kind:     hidden_block_count_x
      - .offset:         3220
        .size:           4
        .value_kind:     hidden_block_count_y
      - .offset:         3224
        .size:           4
        .value_kind:     hidden_block_count_z
      - .offset:         3228
        .size:           2
        .value_kind:     hidden_group_size_x
      - .offset:         3230
        .size:           2
        .value_kind:     hidden_group_size_y
      - .offset:         3232
        .size:           2
        .value_kind:     hidden_group_size_z
      - .offset:         3234
        .size:           2
        .value_kind:     hidden_remainder_x
      - .offset:         3236
        .size:           2
        .value_kind:     hidden_remainder_y
      - .offset:         3238
        .size:           2
        .value_kind:     hidden_remainder_z
      - .offset:         3256
        .size:           8
        .value_kind:     hidden_global_offset_x
      - .offset:         3264
        .size:           8
        .value_kind:     hidden_global_offset_y
      - .offset:         3272
        .size:           8
        .value_kind:     hidden_global_offset_z
      - .offset:         3280
        .size:           2
        .value_kind:     hidden_grid_dims
    .group_segment_fixed_size: 4096
    .kernarg_segment_align: 8
    .kernarg_segment_size: 3472
    .language:       OpenCL C
    .language_version:
      - 2
      - 0
    .max_flat_workgroup_size: 1024
    .name:           _ZN2at6native14lpnorm_cleanupIN3c104HalfELNS0_8NormTypeE1EdLb1EdEEvPKT3_NS0_19TensorListAddressesEi
    .private_segment_fixed_size: 0
    .sgpr_count:     22
    .sgpr_spill_count: 0
    .symbol:         _ZN2at6native14lpnorm_cleanupIN3c104HalfELNS0_8NormTypeE1EdLb1EdEEvPKT3_NS0_19TensorListAddressesEi.kd
    .uniform_work_group_size: 1
    .uses_dynamic_stack: false
    .vgpr_count:     13
    .vgpr_spill_count: 0
    .wavefront_size: 64
  - .agpr_count:     0
    .args:
      - .address_space:  global
        .offset:         0
        .size:           8
        .value_kind:     global_buffer
      - .offset:         8
        .size:           3200
        .value_kind:     by_value
      - .offset:         3208
        .size:           4
        .value_kind:     by_value
      - .offset:         3216
        .size:           4
        .value_kind:     hidden_block_count_x
      - .offset:         3220
        .size:           4
        .value_kind:     hidden_block_count_y
      - .offset:         3224
        .size:           4
        .value_kind:     hidden_block_count_z
      - .offset:         3228
        .size:           2
        .value_kind:     hidden_group_size_x
      - .offset:         3230
        .size:           2
        .value_kind:     hidden_group_size_y
      - .offset:         3232
        .size:           2
        .value_kind:     hidden_group_size_z
      - .offset:         3234
        .size:           2
        .value_kind:     hidden_remainder_x
      - .offset:         3236
        .size:           2
        .value_kind:     hidden_remainder_y
      - .offset:         3238
        .size:           2
        .value_kind:     hidden_remainder_z
      - .offset:         3256
        .size:           8
        .value_kind:     hidden_global_offset_x
      - .offset:         3264
        .size:           8
        .value_kind:     hidden_global_offset_y
      - .offset:         3272
        .size:           8
        .value_kind:     hidden_global_offset_z
      - .offset:         3280
        .size:           2
        .value_kind:     hidden_grid_dims
    .group_segment_fixed_size: 4096
    .kernarg_segment_align: 8
    .kernarg_segment_size: 3472
    .language:       OpenCL C
    .language_version:
      - 2
      - 0
    .max_flat_workgroup_size: 1024
    .name:           _ZN2at6native14lpnorm_cleanupIN3c104HalfELNS0_8NormTypeE2EdLb1EdEEvPKT3_NS0_19TensorListAddressesEi
    .private_segment_fixed_size: 0
    .sgpr_count:     22
    .sgpr_spill_count: 0
    .symbol:         _ZN2at6native14lpnorm_cleanupIN3c104HalfELNS0_8NormTypeE2EdLb1EdEEvPKT3_NS0_19TensorListAddressesEi.kd
    .uniform_work_group_size: 1
    .uses_dynamic_stack: false
    .vgpr_count:     13
    .vgpr_spill_count: 0
    .wavefront_size: 64
  - .agpr_count:     0
    .args:
      - .address_space:  global
        .offset:         0
        .size:           8
        .value_kind:     global_buffer
      - .offset:         8
        .size:           3200
        .value_kind:     by_value
      - .offset:         3208
        .size:           4
        .value_kind:     by_value
      - .offset:         3216
        .size:           4
        .value_kind:     hidden_block_count_x
      - .offset:         3220
        .size:           4
        .value_kind:     hidden_block_count_y
      - .offset:         3224
        .size:           4
        .value_kind:     hidden_block_count_z
      - .offset:         3228
        .size:           2
        .value_kind:     hidden_group_size_x
      - .offset:         3230
        .size:           2
        .value_kind:     hidden_group_size_y
      - .offset:         3232
        .size:           2
        .value_kind:     hidden_group_size_z
      - .offset:         3234
        .size:           2
        .value_kind:     hidden_remainder_x
      - .offset:         3236
        .size:           2
        .value_kind:     hidden_remainder_y
      - .offset:         3238
        .size:           2
        .value_kind:     hidden_remainder_z
      - .offset:         3256
        .size:           8
        .value_kind:     hidden_global_offset_x
      - .offset:         3264
        .size:           8
        .value_kind:     hidden_global_offset_y
      - .offset:         3272
        .size:           8
        .value_kind:     hidden_global_offset_z
      - .offset:         3280
        .size:           2
        .value_kind:     hidden_grid_dims
    .group_segment_fixed_size: 4096
    .kernarg_segment_align: 8
    .kernarg_segment_size: 3472
    .language:       OpenCL C
    .language_version:
      - 2
      - 0
    .max_flat_workgroup_size: 1024
    .name:           _ZN2at6native14lpnorm_cleanupIN3c104HalfELNS0_8NormTypeE3EdLb1EdEEvPKT3_NS0_19TensorListAddressesEi
    .private_segment_fixed_size: 0
    .sgpr_count:     24
    .sgpr_spill_count: 0
    .symbol:         _ZN2at6native14lpnorm_cleanupIN3c104HalfELNS0_8NormTypeE3EdLb1EdEEvPKT3_NS0_19TensorListAddressesEi.kd
    .uniform_work_group_size: 1
    .uses_dynamic_stack: false
    .vgpr_count:     13
    .vgpr_spill_count: 0
    .wavefront_size: 64
  - .agpr_count:     0
    .args:
      - .offset:         0
        .size:           3368
        .value_kind:     by_value
      - .offset:         3368
        .size:           1
        .value_kind:     by_value
      - .address_space:  global
        .offset:         3376
        .size:           8
        .value_kind:     global_buffer
      - .offset:         3384
        .size:           4
        .value_kind:     by_value
      - .offset:         3392
        .size:           4
        .value_kind:     hidden_block_count_x
      - .offset:         3396
        .size:           4
        .value_kind:     hidden_block_count_y
      - .offset:         3400
        .size:           4
        .value_kind:     hidden_block_count_z
      - .offset:         3404
        .size:           2
        .value_kind:     hidden_group_size_x
      - .offset:         3406
        .size:           2
        .value_kind:     hidden_group_size_y
      - .offset:         3408
        .size:           2
        .value_kind:     hidden_group_size_z
      - .offset:         3410
        .size:           2
        .value_kind:     hidden_remainder_x
      - .offset:         3412
        .size:           2
        .value_kind:     hidden_remainder_y
      - .offset:         3414
        .size:           2
        .value_kind:     hidden_remainder_z
      - .offset:         3432
        .size:           8
        .value_kind:     hidden_global_offset_x
      - .offset:         3440
        .size:           8
        .value_kind:     hidden_global_offset_y
      - .offset:         3448
        .size:           8
        .value_kind:     hidden_global_offset_z
      - .offset:         3456
        .size:           2
        .value_kind:     hidden_grid_dims
    .group_segment_fixed_size: 2048
    .kernarg_segment_align: 8
    .kernarg_segment_size: 3648
    .language:       OpenCL C
    .language_version:
      - 2
      - 0
    .max_flat_workgroup_size: 512
    .name:           _ZN2at6native12_GLOBAL__N_125multi_tensor_apply_kernelINS1_18TensorListMetadataILi1EEENS0_13LpNormFunctorIN3c104HalfELNS0_8NormTypeE0EfLi1ELi1ELi0EEEJPfiEEEvT_T0_DpT1_
    .private_segment_fixed_size: 0
    .sgpr_count:     26
    .sgpr_spill_count: 0
    .symbol:         _ZN2at6native12_GLOBAL__N_125multi_tensor_apply_kernelINS1_18TensorListMetadataILi1EEENS0_13LpNormFunctorIN3c104HalfELNS0_8NormTypeE0EfLi1ELi1ELi0EEEJPfiEEEvT_T0_DpT1_.kd
    .uniform_work_group_size: 1
    .uses_dynamic_stack: false
    .vgpr_count:     18
    .vgpr_spill_count: 0
    .wavefront_size: 64
  - .agpr_count:     0
    .args:
      - .offset:         0
        .size:           3368
        .value_kind:     by_value
      - .offset:         3368
        .size:           1
        .value_kind:     by_value
      - .address_space:  global
        .offset:         3376
        .size:           8
        .value_kind:     global_buffer
      - .offset:         3384
        .size:           4
        .value_kind:     by_value
      - .offset:         3392
        .size:           4
        .value_kind:     hidden_block_count_x
      - .offset:         3396
        .size:           4
        .value_kind:     hidden_block_count_y
      - .offset:         3400
        .size:           4
        .value_kind:     hidden_block_count_z
      - .offset:         3404
        .size:           2
        .value_kind:     hidden_group_size_x
      - .offset:         3406
        .size:           2
        .value_kind:     hidden_group_size_y
      - .offset:         3408
        .size:           2
        .value_kind:     hidden_group_size_z
      - .offset:         3410
        .size:           2
        .value_kind:     hidden_remainder_x
      - .offset:         3412
        .size:           2
        .value_kind:     hidden_remainder_y
      - .offset:         3414
        .size:           2
        .value_kind:     hidden_remainder_z
      - .offset:         3432
        .size:           8
        .value_kind:     hidden_global_offset_x
      - .offset:         3440
        .size:           8
        .value_kind:     hidden_global_offset_y
      - .offset:         3448
        .size:           8
        .value_kind:     hidden_global_offset_z
      - .offset:         3456
        .size:           2
        .value_kind:     hidden_grid_dims
    .group_segment_fixed_size: 2048
    .kernarg_segment_align: 8
    .kernarg_segment_size: 3648
    .language:       OpenCL C
    .language_version:
      - 2
      - 0
    .max_flat_workgroup_size: 512
    .name:           _ZN2at6native12_GLOBAL__N_125multi_tensor_apply_kernelINS1_18TensorListMetadataILi1EEENS0_13LpNormFunctorIN3c104HalfELNS0_8NormTypeE1EfLi1ELi1ELi0EEEJPfiEEEvT_T0_DpT1_
    .private_segment_fixed_size: 0
    .sgpr_count:     26
    .sgpr_spill_count: 0
    .symbol:         _ZN2at6native12_GLOBAL__N_125multi_tensor_apply_kernelINS1_18TensorListMetadataILi1EEENS0_13LpNormFunctorIN3c104HalfELNS0_8NormTypeE1EfLi1ELi1ELi0EEEJPfiEEEvT_T0_DpT1_.kd
    .uniform_work_group_size: 1
    .uses_dynamic_stack: false
    .vgpr_count:     18
    .vgpr_spill_count: 0
    .wavefront_size: 64
  - .agpr_count:     0
    .args:
      - .offset:         0
        .size:           3368
        .value_kind:     by_value
      - .offset:         3368
        .size:           1
        .value_kind:     by_value
      - .address_space:  global
        .offset:         3376
        .size:           8
        .value_kind:     global_buffer
      - .offset:         3384
        .size:           4
        .value_kind:     by_value
      - .offset:         3392
        .size:           4
        .value_kind:     hidden_block_count_x
      - .offset:         3396
        .size:           4
        .value_kind:     hidden_block_count_y
      - .offset:         3400
        .size:           4
        .value_kind:     hidden_block_count_z
      - .offset:         3404
        .size:           2
        .value_kind:     hidden_group_size_x
      - .offset:         3406
        .size:           2
        .value_kind:     hidden_group_size_y
      - .offset:         3408
        .size:           2
        .value_kind:     hidden_group_size_z
      - .offset:         3410
        .size:           2
        .value_kind:     hidden_remainder_x
      - .offset:         3412
        .size:           2
        .value_kind:     hidden_remainder_y
      - .offset:         3414
        .size:           2
        .value_kind:     hidden_remainder_z
      - .offset:         3432
        .size:           8
        .value_kind:     hidden_global_offset_x
      - .offset:         3440
        .size:           8
        .value_kind:     hidden_global_offset_y
      - .offset:         3448
        .size:           8
        .value_kind:     hidden_global_offset_z
      - .offset:         3456
        .size:           2
        .value_kind:     hidden_grid_dims
    .group_segment_fixed_size: 2048
    .kernarg_segment_align: 8
    .kernarg_segment_size: 3648
    .language:       OpenCL C
    .language_version:
      - 2
      - 0
    .max_flat_workgroup_size: 512
    .name:           _ZN2at6native12_GLOBAL__N_125multi_tensor_apply_kernelINS1_18TensorListMetadataILi1EEENS0_13LpNormFunctorIN3c104HalfELNS0_8NormTypeE2EfLi1ELi1ELi0EEEJPfiEEEvT_T0_DpT1_
    .private_segment_fixed_size: 0
    .sgpr_count:     26
    .sgpr_spill_count: 0
    .symbol:         _ZN2at6native12_GLOBAL__N_125multi_tensor_apply_kernelINS1_18TensorListMetadataILi1EEENS0_13LpNormFunctorIN3c104HalfELNS0_8NormTypeE2EfLi1ELi1ELi0EEEJPfiEEEvT_T0_DpT1_.kd
    .uniform_work_group_size: 1
    .uses_dynamic_stack: false
    .vgpr_count:     18
    .vgpr_spill_count: 0
    .wavefront_size: 64
  - .agpr_count:     0
    .args:
      - .offset:         0
        .size:           3368
        .value_kind:     by_value
      - .offset:         3368
        .size:           1
        .value_kind:     by_value
      - .address_space:  global
        .offset:         3376
        .size:           8
        .value_kind:     global_buffer
      - .offset:         3384
        .size:           4
        .value_kind:     by_value
      - .offset:         3392
        .size:           4
        .value_kind:     hidden_block_count_x
      - .offset:         3396
        .size:           4
        .value_kind:     hidden_block_count_y
      - .offset:         3400
        .size:           4
        .value_kind:     hidden_block_count_z
      - .offset:         3404
        .size:           2
        .value_kind:     hidden_group_size_x
      - .offset:         3406
        .size:           2
        .value_kind:     hidden_group_size_y
      - .offset:         3408
        .size:           2
        .value_kind:     hidden_group_size_z
      - .offset:         3410
        .size:           2
        .value_kind:     hidden_remainder_x
      - .offset:         3412
        .size:           2
        .value_kind:     hidden_remainder_y
      - .offset:         3414
        .size:           2
        .value_kind:     hidden_remainder_z
      - .offset:         3432
        .size:           8
        .value_kind:     hidden_global_offset_x
      - .offset:         3440
        .size:           8
        .value_kind:     hidden_global_offset_y
      - .offset:         3448
        .size:           8
        .value_kind:     hidden_global_offset_z
      - .offset:         3456
        .size:           2
        .value_kind:     hidden_grid_dims
    .group_segment_fixed_size: 2048
    .kernarg_segment_align: 8
    .kernarg_segment_size: 3648
    .language:       OpenCL C
    .language_version:
      - 2
      - 0
    .max_flat_workgroup_size: 512
    .name:           _ZN2at6native12_GLOBAL__N_125multi_tensor_apply_kernelINS1_18TensorListMetadataILi1EEENS0_13LpNormFunctorIN3c104HalfELNS0_8NormTypeE3EfLi1ELi1ELi0EEEJPfiEEEvT_T0_DpT1_
    .private_segment_fixed_size: 0
    .sgpr_count:     38
    .sgpr_spill_count: 0
    .symbol:         _ZN2at6native12_GLOBAL__N_125multi_tensor_apply_kernelINS1_18TensorListMetadataILi1EEENS0_13LpNormFunctorIN3c104HalfELNS0_8NormTypeE3EfLi1ELi1ELi0EEEJPfiEEEvT_T0_DpT1_.kd
    .uniform_work_group_size: 1
    .uses_dynamic_stack: false
    .vgpr_count:     16
    .vgpr_spill_count: 0
    .wavefront_size: 64
  - .agpr_count:     0
    .args:
      - .address_space:  global
        .offset:         0
        .size:           8
        .value_kind:     global_buffer
      - .offset:         8
        .size:           3200
        .value_kind:     by_value
      - .offset:         3208
        .size:           4
        .value_kind:     by_value
      - .offset:         3216
        .size:           4
        .value_kind:     hidden_block_count_x
      - .offset:         3220
        .size:           4
        .value_kind:     hidden_block_count_y
      - .offset:         3224
        .size:           4
        .value_kind:     hidden_block_count_z
      - .offset:         3228
        .size:           2
        .value_kind:     hidden_group_size_x
      - .offset:         3230
        .size:           2
        .value_kind:     hidden_group_size_y
      - .offset:         3232
        .size:           2
        .value_kind:     hidden_group_size_z
      - .offset:         3234
        .size:           2
        .value_kind:     hidden_remainder_x
      - .offset:         3236
        .size:           2
        .value_kind:     hidden_remainder_y
      - .offset:         3238
        .size:           2
        .value_kind:     hidden_remainder_z
      - .offset:         3256
        .size:           8
        .value_kind:     hidden_global_offset_x
      - .offset:         3264
        .size:           8
        .value_kind:     hidden_global_offset_y
      - .offset:         3272
        .size:           8
        .value_kind:     hidden_global_offset_z
      - .offset:         3280
        .size:           2
        .value_kind:     hidden_grid_dims
    .group_segment_fixed_size: 2048
    .kernarg_segment_align: 8
    .kernarg_segment_size: 3472
    .language:       OpenCL C
    .language_version:
      - 2
      - 0
    .max_flat_workgroup_size: 1024
    .name:           _ZN2at6native14lpnorm_cleanupIN3c104HalfELNS0_8NormTypeE0EfLb1EfEEvPKT3_NS0_19TensorListAddressesEi
    .private_segment_fixed_size: 0
    .sgpr_count:     22
    .sgpr_spill_count: 0
    .symbol:         _ZN2at6native14lpnorm_cleanupIN3c104HalfELNS0_8NormTypeE0EfLb1EfEEvPKT3_NS0_19TensorListAddressesEi.kd
    .uniform_work_group_size: 1
    .uses_dynamic_stack: false
    .vgpr_count:     11
    .vgpr_spill_count: 0
    .wavefront_size: 64
  - .agpr_count:     0
    .args:
      - .address_space:  global
        .offset:         0
        .size:           8
        .value_kind:     global_buffer
      - .offset:         8
        .size:           3200
        .value_kind:     by_value
      - .offset:         3208
        .size:           4
        .value_kind:     by_value
      - .offset:         3216
        .size:           4
        .value_kind:     hidden_block_count_x
      - .offset:         3220
        .size:           4
        .value_kind:     hidden_block_count_y
      - .offset:         3224
        .size:           4
        .value_kind:     hidden_block_count_z
      - .offset:         3228
        .size:           2
        .value_kind:     hidden_group_size_x
      - .offset:         3230
        .size:           2
        .value_kind:     hidden_group_size_y
      - .offset:         3232
        .size:           2
        .value_kind:     hidden_group_size_z
      - .offset:         3234
        .size:           2
        .value_kind:     hidden_remainder_x
      - .offset:         3236
        .size:           2
        .value_kind:     hidden_remainder_y
      - .offset:         3238
        .size:           2
        .value_kind:     hidden_remainder_z
      - .offset:         3256
        .size:           8
        .value_kind:     hidden_global_offset_x
      - .offset:         3264
        .size:           8
        .value_kind:     hidden_global_offset_y
      - .offset:         3272
        .size:           8
        .value_kind:     hidden_global_offset_z
      - .offset:         3280
        .size:           2
        .value_kind:     hidden_grid_dims
    .group_segment_fixed_size: 2048
    .kernarg_segment_align: 8
    .kernarg_segment_size: 3472
    .language:       OpenCL C
    .language_version:
      - 2
      - 0
    .max_flat_workgroup_size: 1024
    .name:           _ZN2at6native14lpnorm_cleanupIN3c104HalfELNS0_8NormTypeE1EfLb1EfEEvPKT3_NS0_19TensorListAddressesEi
    .private_segment_fixed_size: 0
    .sgpr_count:     22
    .sgpr_spill_count: 0
    .symbol:         _ZN2at6native14lpnorm_cleanupIN3c104HalfELNS0_8NormTypeE1EfLb1EfEEvPKT3_NS0_19TensorListAddressesEi.kd
    .uniform_work_group_size: 1
    .uses_dynamic_stack: false
    .vgpr_count:     11
    .vgpr_spill_count: 0
    .wavefront_size: 64
  - .agpr_count:     0
    .args:
      - .address_space:  global
        .offset:         0
        .size:           8
        .value_kind:     global_buffer
      - .offset:         8
        .size:           3200
        .value_kind:     by_value
      - .offset:         3208
        .size:           4
        .value_kind:     by_value
      - .offset:         3216
        .size:           4
        .value_kind:     hidden_block_count_x
      - .offset:         3220
        .size:           4
        .value_kind:     hidden_block_count_y
      - .offset:         3224
        .size:           4
        .value_kind:     hidden_block_count_z
      - .offset:         3228
        .size:           2
        .value_kind:     hidden_group_size_x
      - .offset:         3230
        .size:           2
        .value_kind:     hidden_group_size_y
      - .offset:         3232
        .size:           2
        .value_kind:     hidden_group_size_z
      - .offset:         3234
        .size:           2
        .value_kind:     hidden_remainder_x
      - .offset:         3236
        .size:           2
        .value_kind:     hidden_remainder_y
      - .offset:         3238
        .size:           2
        .value_kind:     hidden_remainder_z
      - .offset:         3256
        .size:           8
        .value_kind:     hidden_global_offset_x
      - .offset:         3264
        .size:           8
        .value_kind:     hidden_global_offset_y
      - .offset:         3272
        .size:           8
        .value_kind:     hidden_global_offset_z
      - .offset:         3280
        .size:           2
        .value_kind:     hidden_grid_dims
    .group_segment_fixed_size: 2048
    .kernarg_segment_align: 8
    .kernarg_segment_size: 3472
    .language:       OpenCL C
    .language_version:
      - 2
      - 0
    .max_flat_workgroup_size: 1024
    .name:           _ZN2at6native14lpnorm_cleanupIN3c104HalfELNS0_8NormTypeE2EfLb1EfEEvPKT3_NS0_19TensorListAddressesEi
    .private_segment_fixed_size: 0
    .sgpr_count:     22
    .sgpr_spill_count: 0
    .symbol:         _ZN2at6native14lpnorm_cleanupIN3c104HalfELNS0_8NormTypeE2EfLb1EfEEvPKT3_NS0_19TensorListAddressesEi.kd
    .uniform_work_group_size: 1
    .uses_dynamic_stack: false
    .vgpr_count:     11
    .vgpr_spill_count: 0
    .wavefront_size: 64
  - .agpr_count:     0
    .args:
      - .address_space:  global
        .offset:         0
        .size:           8
        .value_kind:     global_buffer
      - .offset:         8
        .size:           3200
        .value_kind:     by_value
      - .offset:         3208
        .size:           4
        .value_kind:     by_value
      - .offset:         3216
        .size:           4
        .value_kind:     hidden_block_count_x
      - .offset:         3220
        .size:           4
        .value_kind:     hidden_block_count_y
      - .offset:         3224
        .size:           4
        .value_kind:     hidden_block_count_z
      - .offset:         3228
        .size:           2
        .value_kind:     hidden_group_size_x
      - .offset:         3230
        .size:           2
        .value_kind:     hidden_group_size_y
      - .offset:         3232
        .size:           2
        .value_kind:     hidden_group_size_z
      - .offset:         3234
        .size:           2
        .value_kind:     hidden_remainder_x
      - .offset:         3236
        .size:           2
        .value_kind:     hidden_remainder_y
      - .offset:         3238
        .size:           2
        .value_kind:     hidden_remainder_z
      - .offset:         3256
        .size:           8
        .value_kind:     hidden_global_offset_x
      - .offset:         3264
        .size:           8
        .value_kind:     hidden_global_offset_y
      - .offset:         3272
        .size:           8
        .value_kind:     hidden_global_offset_z
      - .offset:         3280
        .size:           2
        .value_kind:     hidden_grid_dims
    .group_segment_fixed_size: 2048
    .kernarg_segment_align: 8
    .kernarg_segment_size: 3472
    .language:       OpenCL C
    .language_version:
      - 2
      - 0
    .max_flat_workgroup_size: 1024
    .name:           _ZN2at6native14lpnorm_cleanupIN3c104HalfELNS0_8NormTypeE3EfLb1EfEEvPKT3_NS0_19TensorListAddressesEi
    .private_segment_fixed_size: 0
    .sgpr_count:     24
    .sgpr_spill_count: 0
    .symbol:         _ZN2at6native14lpnorm_cleanupIN3c104HalfELNS0_8NormTypeE3EfLb1EfEEvPKT3_NS0_19TensorListAddressesEi.kd
    .uniform_work_group_size: 1
    .uses_dynamic_stack: false
    .vgpr_count:     11
    .vgpr_spill_count: 0
    .wavefront_size: 64
  - .agpr_count:     0
    .args:
      - .offset:         0
        .size:           3368
        .value_kind:     by_value
      - .offset:         3368
        .size:           1
        .value_kind:     by_value
      - .address_space:  global
        .offset:         3376
        .size:           8
        .value_kind:     global_buffer
      - .offset:         3384
        .size:           4
        .value_kind:     by_value
      - .offset:         3392
        .size:           4
        .value_kind:     hidden_block_count_x
      - .offset:         3396
        .size:           4
        .value_kind:     hidden_block_count_y
      - .offset:         3400
        .size:           4
        .value_kind:     hidden_block_count_z
      - .offset:         3404
        .size:           2
        .value_kind:     hidden_group_size_x
      - .offset:         3406
        .size:           2
        .value_kind:     hidden_group_size_y
      - .offset:         3408
        .size:           2
        .value_kind:     hidden_group_size_z
      - .offset:         3410
        .size:           2
        .value_kind:     hidden_remainder_x
      - .offset:         3412
        .size:           2
        .value_kind:     hidden_remainder_y
      - .offset:         3414
        .size:           2
        .value_kind:     hidden_remainder_z
      - .offset:         3432
        .size:           8
        .value_kind:     hidden_global_offset_x
      - .offset:         3440
        .size:           8
        .value_kind:     hidden_global_offset_y
      - .offset:         3448
        .size:           8
        .value_kind:     hidden_global_offset_z
      - .offset:         3456
        .size:           2
        .value_kind:     hidden_grid_dims
    .group_segment_fixed_size: 2048
    .kernarg_segment_align: 8
    .kernarg_segment_size: 3648
    .language:       OpenCL C
    .language_version:
      - 2
      - 0
    .max_flat_workgroup_size: 512
    .name:           _ZN2at6native12_GLOBAL__N_125multi_tensor_apply_kernelINS1_18TensorListMetadataILi1EEENS0_13LpNormFunctorIN3c104HalfELNS0_8NormTypeE0ES7_Li1ELi1ELi0EEEJPfiEEEvT_T0_DpT1_
    .private_segment_fixed_size: 0
    .sgpr_count:     26
    .sgpr_spill_count: 0
    .symbol:         _ZN2at6native12_GLOBAL__N_125multi_tensor_apply_kernelINS1_18TensorListMetadataILi1EEENS0_13LpNormFunctorIN3c104HalfELNS0_8NormTypeE0ES7_Li1ELi1ELi0EEEJPfiEEEvT_T0_DpT1_.kd
    .uniform_work_group_size: 1
    .uses_dynamic_stack: false
    .vgpr_count:     18
    .vgpr_spill_count: 0
    .wavefront_size: 64
  - .agpr_count:     0
    .args:
      - .offset:         0
        .size:           3368
        .value_kind:     by_value
      - .offset:         3368
        .size:           1
        .value_kind:     by_value
      - .address_space:  global
        .offset:         3376
        .size:           8
        .value_kind:     global_buffer
      - .offset:         3384
        .size:           4
        .value_kind:     by_value
      - .offset:         3392
        .size:           4
        .value_kind:     hidden_block_count_x
      - .offset:         3396
        .size:           4
        .value_kind:     hidden_block_count_y
      - .offset:         3400
        .size:           4
        .value_kind:     hidden_block_count_z
      - .offset:         3404
        .size:           2
        .value_kind:     hidden_group_size_x
      - .offset:         3406
        .size:           2
        .value_kind:     hidden_group_size_y
      - .offset:         3408
        .size:           2
        .value_kind:     hidden_group_size_z
      - .offset:         3410
        .size:           2
        .value_kind:     hidden_remainder_x
      - .offset:         3412
        .size:           2
        .value_kind:     hidden_remainder_y
      - .offset:         3414
        .size:           2
        .value_kind:     hidden_remainder_z
      - .offset:         3432
        .size:           8
        .value_kind:     hidden_global_offset_x
      - .offset:         3440
        .size:           8
        .value_kind:     hidden_global_offset_y
      - .offset:         3448
        .size:           8
        .value_kind:     hidden_global_offset_z
      - .offset:         3456
        .size:           2
        .value_kind:     hidden_grid_dims
    .group_segment_fixed_size: 2048
    .kernarg_segment_align: 8
    .kernarg_segment_size: 3648
    .language:       OpenCL C
    .language_version:
      - 2
      - 0
    .max_flat_workgroup_size: 512
    .name:           _ZN2at6native12_GLOBAL__N_125multi_tensor_apply_kernelINS1_18TensorListMetadataILi1EEENS0_13LpNormFunctorIN3c104HalfELNS0_8NormTypeE1ES7_Li1ELi1ELi0EEEJPfiEEEvT_T0_DpT1_
    .private_segment_fixed_size: 0
    .sgpr_count:     26
    .sgpr_spill_count: 0
    .symbol:         _ZN2at6native12_GLOBAL__N_125multi_tensor_apply_kernelINS1_18TensorListMetadataILi1EEENS0_13LpNormFunctorIN3c104HalfELNS0_8NormTypeE1ES7_Li1ELi1ELi0EEEJPfiEEEvT_T0_DpT1_.kd
    .uniform_work_group_size: 1
    .uses_dynamic_stack: false
    .vgpr_count:     18
    .vgpr_spill_count: 0
    .wavefront_size: 64
  - .agpr_count:     0
    .args:
      - .offset:         0
        .size:           3368
        .value_kind:     by_value
      - .offset:         3368
        .size:           1
        .value_kind:     by_value
      - .address_space:  global
        .offset:         3376
        .size:           8
        .value_kind:     global_buffer
      - .offset:         3384
        .size:           4
        .value_kind:     by_value
      - .offset:         3392
        .size:           4
        .value_kind:     hidden_block_count_x
      - .offset:         3396
        .size:           4
        .value_kind:     hidden_block_count_y
      - .offset:         3400
        .size:           4
        .value_kind:     hidden_block_count_z
      - .offset:         3404
        .size:           2
        .value_kind:     hidden_group_size_x
      - .offset:         3406
        .size:           2
        .value_kind:     hidden_group_size_y
      - .offset:         3408
        .size:           2
        .value_kind:     hidden_group_size_z
      - .offset:         3410
        .size:           2
        .value_kind:     hidden_remainder_x
      - .offset:         3412
        .size:           2
        .value_kind:     hidden_remainder_y
      - .offset:         3414
        .size:           2
        .value_kind:     hidden_remainder_z
      - .offset:         3432
        .size:           8
        .value_kind:     hidden_global_offset_x
      - .offset:         3440
        .size:           8
        .value_kind:     hidden_global_offset_y
      - .offset:         3448
        .size:           8
        .value_kind:     hidden_global_offset_z
      - .offset:         3456
        .size:           2
        .value_kind:     hidden_grid_dims
    .group_segment_fixed_size: 2048
    .kernarg_segment_align: 8
    .kernarg_segment_size: 3648
    .language:       OpenCL C
    .language_version:
      - 2
      - 0
    .max_flat_workgroup_size: 512
    .name:           _ZN2at6native12_GLOBAL__N_125multi_tensor_apply_kernelINS1_18TensorListMetadataILi1EEENS0_13LpNormFunctorIN3c104HalfELNS0_8NormTypeE2ES7_Li1ELi1ELi0EEEJPfiEEEvT_T0_DpT1_
    .private_segment_fixed_size: 0
    .sgpr_count:     26
    .sgpr_spill_count: 0
    .symbol:         _ZN2at6native12_GLOBAL__N_125multi_tensor_apply_kernelINS1_18TensorListMetadataILi1EEENS0_13LpNormFunctorIN3c104HalfELNS0_8NormTypeE2ES7_Li1ELi1ELi0EEEJPfiEEEvT_T0_DpT1_.kd
    .uniform_work_group_size: 1
    .uses_dynamic_stack: false
    .vgpr_count:     18
    .vgpr_spill_count: 0
    .wavefront_size: 64
  - .agpr_count:     0
    .args:
      - .offset:         0
        .size:           3368
        .value_kind:     by_value
      - .offset:         3368
        .size:           1
        .value_kind:     by_value
      - .address_space:  global
        .offset:         3376
        .size:           8
        .value_kind:     global_buffer
      - .offset:         3384
        .size:           4
        .value_kind:     by_value
      - .offset:         3392
        .size:           4
        .value_kind:     hidden_block_count_x
      - .offset:         3396
        .size:           4
        .value_kind:     hidden_block_count_y
      - .offset:         3400
        .size:           4
        .value_kind:     hidden_block_count_z
      - .offset:         3404
        .size:           2
        .value_kind:     hidden_group_size_x
      - .offset:         3406
        .size:           2
        .value_kind:     hidden_group_size_y
      - .offset:         3408
        .size:           2
        .value_kind:     hidden_group_size_z
      - .offset:         3410
        .size:           2
        .value_kind:     hidden_remainder_x
      - .offset:         3412
        .size:           2
        .value_kind:     hidden_remainder_y
      - .offset:         3414
        .size:           2
        .value_kind:     hidden_remainder_z
      - .offset:         3432
        .size:           8
        .value_kind:     hidden_global_offset_x
      - .offset:         3440
        .size:           8
        .value_kind:     hidden_global_offset_y
      - .offset:         3448
        .size:           8
        .value_kind:     hidden_global_offset_z
      - .offset:         3456
        .size:           2
        .value_kind:     hidden_grid_dims
    .group_segment_fixed_size: 2048
    .kernarg_segment_align: 8
    .kernarg_segment_size: 3648
    .language:       OpenCL C
    .language_version:
      - 2
      - 0
    .max_flat_workgroup_size: 512
    .name:           _ZN2at6native12_GLOBAL__N_125multi_tensor_apply_kernelINS1_18TensorListMetadataILi1EEENS0_13LpNormFunctorIN3c104HalfELNS0_8NormTypeE3ES7_Li1ELi1ELi0EEEJPfiEEEvT_T0_DpT1_
    .private_segment_fixed_size: 0
    .sgpr_count:     38
    .sgpr_spill_count: 0
    .symbol:         _ZN2at6native12_GLOBAL__N_125multi_tensor_apply_kernelINS1_18TensorListMetadataILi1EEENS0_13LpNormFunctorIN3c104HalfELNS0_8NormTypeE3ES7_Li1ELi1ELi0EEEJPfiEEEvT_T0_DpT1_.kd
    .uniform_work_group_size: 1
    .uses_dynamic_stack: false
    .vgpr_count:     16
    .vgpr_spill_count: 0
    .wavefront_size: 64
  - .agpr_count:     0
    .args:
      - .address_space:  global
        .offset:         0
        .size:           8
        .value_kind:     global_buffer
      - .offset:         8
        .size:           3200
        .value_kind:     by_value
      - .offset:         3208
        .size:           4
        .value_kind:     by_value
      - .offset:         3216
        .size:           4
        .value_kind:     hidden_block_count_x
      - .offset:         3220
        .size:           4
        .value_kind:     hidden_block_count_y
      - .offset:         3224
        .size:           4
        .value_kind:     hidden_block_count_z
      - .offset:         3228
        .size:           2
        .value_kind:     hidden_group_size_x
      - .offset:         3230
        .size:           2
        .value_kind:     hidden_group_size_y
      - .offset:         3232
        .size:           2
        .value_kind:     hidden_group_size_z
      - .offset:         3234
        .size:           2
        .value_kind:     hidden_remainder_x
      - .offset:         3236
        .size:           2
        .value_kind:     hidden_remainder_y
      - .offset:         3238
        .size:           2
        .value_kind:     hidden_remainder_z
      - .offset:         3256
        .size:           8
        .value_kind:     hidden_global_offset_x
      - .offset:         3264
        .size:           8
        .value_kind:     hidden_global_offset_y
      - .offset:         3272
        .size:           8
        .value_kind:     hidden_global_offset_z
      - .offset:         3280
        .size:           2
        .value_kind:     hidden_grid_dims
    .group_segment_fixed_size: 2048
    .kernarg_segment_align: 8
    .kernarg_segment_size: 3472
    .language:       OpenCL C
    .language_version:
      - 2
      - 0
    .max_flat_workgroup_size: 1024
    .name:           _ZN2at6native14lpnorm_cleanupIN3c104HalfELNS0_8NormTypeE0ES3_Lb1EfEEvPKT3_NS0_19TensorListAddressesEi
    .private_segment_fixed_size: 0
    .sgpr_count:     22
    .sgpr_spill_count: 0
    .symbol:         _ZN2at6native14lpnorm_cleanupIN3c104HalfELNS0_8NormTypeE0ES3_Lb1EfEEvPKT3_NS0_19TensorListAddressesEi.kd
    .uniform_work_group_size: 1
    .uses_dynamic_stack: false
    .vgpr_count:     11
    .vgpr_spill_count: 0
    .wavefront_size: 64
  - .agpr_count:     0
    .args:
      - .address_space:  global
        .offset:         0
        .size:           8
        .value_kind:     global_buffer
      - .offset:         8
        .size:           3200
        .value_kind:     by_value
      - .offset:         3208
        .size:           4
        .value_kind:     by_value
      - .offset:         3216
        .size:           4
        .value_kind:     hidden_block_count_x
      - .offset:         3220
        .size:           4
        .value_kind:     hidden_block_count_y
      - .offset:         3224
        .size:           4
        .value_kind:     hidden_block_count_z
      - .offset:         3228
        .size:           2
        .value_kind:     hidden_group_size_x
      - .offset:         3230
        .size:           2
        .value_kind:     hidden_group_size_y
      - .offset:         3232
        .size:           2
        .value_kind:     hidden_group_size_z
      - .offset:         3234
        .size:           2
        .value_kind:     hidden_remainder_x
      - .offset:         3236
        .size:           2
        .value_kind:     hidden_remainder_y
      - .offset:         3238
        .size:           2
        .value_kind:     hidden_remainder_z
      - .offset:         3256
        .size:           8
        .value_kind:     hidden_global_offset_x
      - .offset:         3264
        .size:           8
        .value_kind:     hidden_global_offset_y
      - .offset:         3272
        .size:           8
        .value_kind:     hidden_global_offset_z
      - .offset:         3280
        .size:           2
        .value_kind:     hidden_grid_dims
    .group_segment_fixed_size: 2048
    .kernarg_segment_align: 8
    .kernarg_segment_size: 3472
    .language:       OpenCL C
    .language_version:
      - 2
      - 0
    .max_flat_workgroup_size: 1024
    .name:           _ZN2at6native14lpnorm_cleanupIN3c104HalfELNS0_8NormTypeE1ES3_Lb1EfEEvPKT3_NS0_19TensorListAddressesEi
    .private_segment_fixed_size: 0
    .sgpr_count:     22
    .sgpr_spill_count: 0
    .symbol:         _ZN2at6native14lpnorm_cleanupIN3c104HalfELNS0_8NormTypeE1ES3_Lb1EfEEvPKT3_NS0_19TensorListAddressesEi.kd
    .uniform_work_group_size: 1
    .uses_dynamic_stack: false
    .vgpr_count:     11
    .vgpr_spill_count: 0
    .wavefront_size: 64
  - .agpr_count:     0
    .args:
      - .address_space:  global
        .offset:         0
        .size:           8
        .value_kind:     global_buffer
      - .offset:         8
        .size:           3200
        .value_kind:     by_value
      - .offset:         3208
        .size:           4
        .value_kind:     by_value
      - .offset:         3216
        .size:           4
        .value_kind:     hidden_block_count_x
      - .offset:         3220
        .size:           4
        .value_kind:     hidden_block_count_y
      - .offset:         3224
        .size:           4
        .value_kind:     hidden_block_count_z
      - .offset:         3228
        .size:           2
        .value_kind:     hidden_group_size_x
      - .offset:         3230
        .size:           2
        .value_kind:     hidden_group_size_y
      - .offset:         3232
        .size:           2
        .value_kind:     hidden_group_size_z
      - .offset:         3234
        .size:           2
        .value_kind:     hidden_remainder_x
      - .offset:         3236
        .size:           2
        .value_kind:     hidden_remainder_y
      - .offset:         3238
        .size:           2
        .value_kind:     hidden_remainder_z
      - .offset:         3256
        .size:           8
        .value_kind:     hidden_global_offset_x
      - .offset:         3264
        .size:           8
        .value_kind:     hidden_global_offset_y
      - .offset:         3272
        .size:           8
        .value_kind:     hidden_global_offset_z
      - .offset:         3280
        .size:           2
        .value_kind:     hidden_grid_dims
    .group_segment_fixed_size: 2048
    .kernarg_segment_align: 8
    .kernarg_segment_size: 3472
    .language:       OpenCL C
    .language_version:
      - 2
      - 0
    .max_flat_workgroup_size: 1024
    .name:           _ZN2at6native14lpnorm_cleanupIN3c104HalfELNS0_8NormTypeE2ES3_Lb1EfEEvPKT3_NS0_19TensorListAddressesEi
    .private_segment_fixed_size: 0
    .sgpr_count:     22
    .sgpr_spill_count: 0
    .symbol:         _ZN2at6native14lpnorm_cleanupIN3c104HalfELNS0_8NormTypeE2ES3_Lb1EfEEvPKT3_NS0_19TensorListAddressesEi.kd
    .uniform_work_group_size: 1
    .uses_dynamic_stack: false
    .vgpr_count:     11
    .vgpr_spill_count: 0
    .wavefront_size: 64
  - .agpr_count:     0
    .args:
      - .address_space:  global
        .offset:         0
        .size:           8
        .value_kind:     global_buffer
      - .offset:         8
        .size:           3200
        .value_kind:     by_value
      - .offset:         3208
        .size:           4
        .value_kind:     by_value
      - .offset:         3216
        .size:           4
        .value_kind:     hidden_block_count_x
      - .offset:         3220
        .size:           4
        .value_kind:     hidden_block_count_y
      - .offset:         3224
        .size:           4
        .value_kind:     hidden_block_count_z
      - .offset:         3228
        .size:           2
        .value_kind:     hidden_group_size_x
      - .offset:         3230
        .size:           2
        .value_kind:     hidden_group_size_y
      - .offset:         3232
        .size:           2
        .value_kind:     hidden_group_size_z
      - .offset:         3234
        .size:           2
        .value_kind:     hidden_remainder_x
      - .offset:         3236
        .size:           2
        .value_kind:     hidden_remainder_y
      - .offset:         3238
        .size:           2
        .value_kind:     hidden_remainder_z
      - .offset:         3256
        .size:           8
        .value_kind:     hidden_global_offset_x
      - .offset:         3264
        .size:           8
        .value_kind:     hidden_global_offset_y
      - .offset:         3272
        .size:           8
        .value_kind:     hidden_global_offset_z
      - .offset:         3280
        .size:           2
        .value_kind:     hidden_grid_dims
    .group_segment_fixed_size: 2048
    .kernarg_segment_align: 8
    .kernarg_segment_size: 3472
    .language:       OpenCL C
    .language_version:
      - 2
      - 0
    .max_flat_workgroup_size: 1024
    .name:           _ZN2at6native14lpnorm_cleanupIN3c104HalfELNS0_8NormTypeE3ES3_Lb1EfEEvPKT3_NS0_19TensorListAddressesEi
    .private_segment_fixed_size: 0
    .sgpr_count:     24
    .sgpr_spill_count: 0
    .symbol:         _ZN2at6native14lpnorm_cleanupIN3c104HalfELNS0_8NormTypeE3ES3_Lb1EfEEvPKT3_NS0_19TensorListAddressesEi.kd
    .uniform_work_group_size: 1
    .uses_dynamic_stack: false
    .vgpr_count:     11
    .vgpr_spill_count: 0
    .wavefront_size: 64
  - .agpr_count:     0
    .args:
      - .offset:         0
        .size:           3368
        .value_kind:     by_value
      - .offset:         3368
        .size:           1
        .value_kind:     by_value
      - .address_space:  global
        .offset:         3376
        .size:           8
        .value_kind:     global_buffer
      - .offset:         3384
        .size:           4
        .value_kind:     by_value
      - .offset:         3392
        .size:           4
        .value_kind:     hidden_block_count_x
      - .offset:         3396
        .size:           4
        .value_kind:     hidden_block_count_y
      - .offset:         3400
        .size:           4
        .value_kind:     hidden_block_count_z
      - .offset:         3404
        .size:           2
        .value_kind:     hidden_group_size_x
      - .offset:         3406
        .size:           2
        .value_kind:     hidden_group_size_y
      - .offset:         3408
        .size:           2
        .value_kind:     hidden_group_size_z
      - .offset:         3410
        .size:           2
        .value_kind:     hidden_remainder_x
      - .offset:         3412
        .size:           2
        .value_kind:     hidden_remainder_y
      - .offset:         3414
        .size:           2
        .value_kind:     hidden_remainder_z
      - .offset:         3432
        .size:           8
        .value_kind:     hidden_global_offset_x
      - .offset:         3440
        .size:           8
        .value_kind:     hidden_global_offset_y
      - .offset:         3448
        .size:           8
        .value_kind:     hidden_global_offset_z
      - .offset:         3456
        .size:           2
        .value_kind:     hidden_grid_dims
    .group_segment_fixed_size: 2048
    .kernarg_segment_align: 8
    .kernarg_segment_size: 3648
    .language:       OpenCL C
    .language_version:
      - 2
      - 0
    .max_flat_workgroup_size: 512
    .name:           _ZN2at6native12_GLOBAL__N_125multi_tensor_apply_kernelINS1_18TensorListMetadataILi1EEENS0_13LpNormFunctorIN3c104HalfELNS0_8NormTypeE0ENS6_8BFloat16ELi1ELi1ELi0EEEJPfiEEEvT_T0_DpT1_
    .private_segment_fixed_size: 0
    .sgpr_count:     26
    .sgpr_spill_count: 0
    .symbol:         _ZN2at6native12_GLOBAL__N_125multi_tensor_apply_kernelINS1_18TensorListMetadataILi1EEENS0_13LpNormFunctorIN3c104HalfELNS0_8NormTypeE0ENS6_8BFloat16ELi1ELi1ELi0EEEJPfiEEEvT_T0_DpT1_.kd
    .uniform_work_group_size: 1
    .uses_dynamic_stack: false
    .vgpr_count:     18
    .vgpr_spill_count: 0
    .wavefront_size: 64
  - .agpr_count:     0
    .args:
      - .offset:         0
        .size:           3368
        .value_kind:     by_value
      - .offset:         3368
        .size:           1
        .value_kind:     by_value
      - .address_space:  global
        .offset:         3376
        .size:           8
        .value_kind:     global_buffer
      - .offset:         3384
        .size:           4
        .value_kind:     by_value
      - .offset:         3392
        .size:           4
        .value_kind:     hidden_block_count_x
      - .offset:         3396
        .size:           4
        .value_kind:     hidden_block_count_y
      - .offset:         3400
        .size:           4
        .value_kind:     hidden_block_count_z
      - .offset:         3404
        .size:           2
        .value_kind:     hidden_group_size_x
      - .offset:         3406
        .size:           2
        .value_kind:     hidden_group_size_y
      - .offset:         3408
        .size:           2
        .value_kind:     hidden_group_size_z
      - .offset:         3410
        .size:           2
        .value_kind:     hidden_remainder_x
      - .offset:         3412
        .size:           2
        .value_kind:     hidden_remainder_y
      - .offset:         3414
        .size:           2
        .value_kind:     hidden_remainder_z
      - .offset:         3432
        .size:           8
        .value_kind:     hidden_global_offset_x
      - .offset:         3440
        .size:           8
        .value_kind:     hidden_global_offset_y
      - .offset:         3448
        .size:           8
        .value_kind:     hidden_global_offset_z
      - .offset:         3456
        .size:           2
        .value_kind:     hidden_grid_dims
    .group_segment_fixed_size: 2048
    .kernarg_segment_align: 8
    .kernarg_segment_size: 3648
    .language:       OpenCL C
    .language_version:
      - 2
      - 0
    .max_flat_workgroup_size: 512
    .name:           _ZN2at6native12_GLOBAL__N_125multi_tensor_apply_kernelINS1_18TensorListMetadataILi1EEENS0_13LpNormFunctorIN3c104HalfELNS0_8NormTypeE1ENS6_8BFloat16ELi1ELi1ELi0EEEJPfiEEEvT_T0_DpT1_
    .private_segment_fixed_size: 0
    .sgpr_count:     26
    .sgpr_spill_count: 0
    .symbol:         _ZN2at6native12_GLOBAL__N_125multi_tensor_apply_kernelINS1_18TensorListMetadataILi1EEENS0_13LpNormFunctorIN3c104HalfELNS0_8NormTypeE1ENS6_8BFloat16ELi1ELi1ELi0EEEJPfiEEEvT_T0_DpT1_.kd
    .uniform_work_group_size: 1
    .uses_dynamic_stack: false
    .vgpr_count:     18
    .vgpr_spill_count: 0
    .wavefront_size: 64
  - .agpr_count:     0
    .args:
      - .offset:         0
        .size:           3368
        .value_kind:     by_value
      - .offset:         3368
        .size:           1
        .value_kind:     by_value
      - .address_space:  global
        .offset:         3376
        .size:           8
        .value_kind:     global_buffer
      - .offset:         3384
        .size:           4
        .value_kind:     by_value
      - .offset:         3392
        .size:           4
        .value_kind:     hidden_block_count_x
      - .offset:         3396
        .size:           4
        .value_kind:     hidden_block_count_y
      - .offset:         3400
        .size:           4
        .value_kind:     hidden_block_count_z
      - .offset:         3404
        .size:           2
        .value_kind:     hidden_group_size_x
      - .offset:         3406
        .size:           2
        .value_kind:     hidden_group_size_y
      - .offset:         3408
        .size:           2
        .value_kind:     hidden_group_size_z
      - .offset:         3410
        .size:           2
        .value_kind:     hidden_remainder_x
      - .offset:         3412
        .size:           2
        .value_kind:     hidden_remainder_y
      - .offset:         3414
        .size:           2
        .value_kind:     hidden_remainder_z
      - .offset:         3432
        .size:           8
        .value_kind:     hidden_global_offset_x
      - .offset:         3440
        .size:           8
        .value_kind:     hidden_global_offset_y
      - .offset:         3448
        .size:           8
        .value_kind:     hidden_global_offset_z
      - .offset:         3456
        .size:           2
        .value_kind:     hidden_grid_dims
    .group_segment_fixed_size: 2048
    .kernarg_segment_align: 8
    .kernarg_segment_size: 3648
    .language:       OpenCL C
    .language_version:
      - 2
      - 0
    .max_flat_workgroup_size: 512
    .name:           _ZN2at6native12_GLOBAL__N_125multi_tensor_apply_kernelINS1_18TensorListMetadataILi1EEENS0_13LpNormFunctorIN3c104HalfELNS0_8NormTypeE2ENS6_8BFloat16ELi1ELi1ELi0EEEJPfiEEEvT_T0_DpT1_
    .private_segment_fixed_size: 0
    .sgpr_count:     26
    .sgpr_spill_count: 0
    .symbol:         _ZN2at6native12_GLOBAL__N_125multi_tensor_apply_kernelINS1_18TensorListMetadataILi1EEENS0_13LpNormFunctorIN3c104HalfELNS0_8NormTypeE2ENS6_8BFloat16ELi1ELi1ELi0EEEJPfiEEEvT_T0_DpT1_.kd
    .uniform_work_group_size: 1
    .uses_dynamic_stack: false
    .vgpr_count:     18
    .vgpr_spill_count: 0
    .wavefront_size: 64
  - .agpr_count:     0
    .args:
      - .offset:         0
        .size:           3368
        .value_kind:     by_value
      - .offset:         3368
        .size:           1
        .value_kind:     by_value
      - .address_space:  global
        .offset:         3376
        .size:           8
        .value_kind:     global_buffer
      - .offset:         3384
        .size:           4
        .value_kind:     by_value
      - .offset:         3392
        .size:           4
        .value_kind:     hidden_block_count_x
      - .offset:         3396
        .size:           4
        .value_kind:     hidden_block_count_y
      - .offset:         3400
        .size:           4
        .value_kind:     hidden_block_count_z
      - .offset:         3404
        .size:           2
        .value_kind:     hidden_group_size_x
      - .offset:         3406
        .size:           2
        .value_kind:     hidden_group_size_y
      - .offset:         3408
        .size:           2
        .value_kind:     hidden_group_size_z
      - .offset:         3410
        .size:           2
        .value_kind:     hidden_remainder_x
      - .offset:         3412
        .size:           2
        .value_kind:     hidden_remainder_y
      - .offset:         3414
        .size:           2
        .value_kind:     hidden_remainder_z
      - .offset:         3432
        .size:           8
        .value_kind:     hidden_global_offset_x
      - .offset:         3440
        .size:           8
        .value_kind:     hidden_global_offset_y
      - .offset:         3448
        .size:           8
        .value_kind:     hidden_global_offset_z
      - .offset:         3456
        .size:           2
        .value_kind:     hidden_grid_dims
    .group_segment_fixed_size: 2048
    .kernarg_segment_align: 8
    .kernarg_segment_size: 3648
    .language:       OpenCL C
    .language_version:
      - 2
      - 0
    .max_flat_workgroup_size: 512
    .name:           _ZN2at6native12_GLOBAL__N_125multi_tensor_apply_kernelINS1_18TensorListMetadataILi1EEENS0_13LpNormFunctorIN3c104HalfELNS0_8NormTypeE3ENS6_8BFloat16ELi1ELi1ELi0EEEJPfiEEEvT_T0_DpT1_
    .private_segment_fixed_size: 0
    .sgpr_count:     38
    .sgpr_spill_count: 0
    .symbol:         _ZN2at6native12_GLOBAL__N_125multi_tensor_apply_kernelINS1_18TensorListMetadataILi1EEENS0_13LpNormFunctorIN3c104HalfELNS0_8NormTypeE3ENS6_8BFloat16ELi1ELi1ELi0EEEJPfiEEEvT_T0_DpT1_.kd
    .uniform_work_group_size: 1
    .uses_dynamic_stack: false
    .vgpr_count:     16
    .vgpr_spill_count: 0
    .wavefront_size: 64
  - .agpr_count:     0
    .args:
      - .address_space:  global
        .offset:         0
        .size:           8
        .value_kind:     global_buffer
      - .offset:         8
        .size:           3200
        .value_kind:     by_value
      - .offset:         3208
        .size:           4
        .value_kind:     by_value
      - .offset:         3216
        .size:           4
        .value_kind:     hidden_block_count_x
      - .offset:         3220
        .size:           4
        .value_kind:     hidden_block_count_y
      - .offset:         3224
        .size:           4
        .value_kind:     hidden_block_count_z
      - .offset:         3228
        .size:           2
        .value_kind:     hidden_group_size_x
      - .offset:         3230
        .size:           2
        .value_kind:     hidden_group_size_y
      - .offset:         3232
        .size:           2
        .value_kind:     hidden_group_size_z
      - .offset:         3234
        .size:           2
        .value_kind:     hidden_remainder_x
      - .offset:         3236
        .size:           2
        .value_kind:     hidden_remainder_y
      - .offset:         3238
        .size:           2
        .value_kind:     hidden_remainder_z
      - .offset:         3256
        .size:           8
        .value_kind:     hidden_global_offset_x
      - .offset:         3264
        .size:           8
        .value_kind:     hidden_global_offset_y
      - .offset:         3272
        .size:           8
        .value_kind:     hidden_global_offset_z
      - .offset:         3280
        .size:           2
        .value_kind:     hidden_grid_dims
    .group_segment_fixed_size: 2048
    .kernarg_segment_align: 8
    .kernarg_segment_size: 3472
    .language:       OpenCL C
    .language_version:
      - 2
      - 0
    .max_flat_workgroup_size: 1024
    .name:           _ZN2at6native14lpnorm_cleanupIN3c104HalfELNS0_8NormTypeE0ENS2_8BFloat16ELb1EfEEvPKT3_NS0_19TensorListAddressesEi
    .private_segment_fixed_size: 0
    .sgpr_count:     22
    .sgpr_spill_count: 0
    .symbol:         _ZN2at6native14lpnorm_cleanupIN3c104HalfELNS0_8NormTypeE0ENS2_8BFloat16ELb1EfEEvPKT3_NS0_19TensorListAddressesEi.kd
    .uniform_work_group_size: 1
    .uses_dynamic_stack: false
    .vgpr_count:     11
    .vgpr_spill_count: 0
    .wavefront_size: 64
  - .agpr_count:     0
    .args:
      - .address_space:  global
        .offset:         0
        .size:           8
        .value_kind:     global_buffer
      - .offset:         8
        .size:           3200
        .value_kind:     by_value
      - .offset:         3208
        .size:           4
        .value_kind:     by_value
      - .offset:         3216
        .size:           4
        .value_kind:     hidden_block_count_x
      - .offset:         3220
        .size:           4
        .value_kind:     hidden_block_count_y
      - .offset:         3224
        .size:           4
        .value_kind:     hidden_block_count_z
      - .offset:         3228
        .size:           2
        .value_kind:     hidden_group_size_x
      - .offset:         3230
        .size:           2
        .value_kind:     hidden_group_size_y
      - .offset:         3232
        .size:           2
        .value_kind:     hidden_group_size_z
      - .offset:         3234
        .size:           2
        .value_kind:     hidden_remainder_x
      - .offset:         3236
        .size:           2
        .value_kind:     hidden_remainder_y
      - .offset:         3238
        .size:           2
        .value_kind:     hidden_remainder_z
      - .offset:         3256
        .size:           8
        .value_kind:     hidden_global_offset_x
      - .offset:         3264
        .size:           8
        .value_kind:     hidden_global_offset_y
      - .offset:         3272
        .size:           8
        .value_kind:     hidden_global_offset_z
      - .offset:         3280
        .size:           2
        .value_kind:     hidden_grid_dims
    .group_segment_fixed_size: 2048
    .kernarg_segment_align: 8
    .kernarg_segment_size: 3472
    .language:       OpenCL C
    .language_version:
      - 2
      - 0
    .max_flat_workgroup_size: 1024
    .name:           _ZN2at6native14lpnorm_cleanupIN3c104HalfELNS0_8NormTypeE1ENS2_8BFloat16ELb1EfEEvPKT3_NS0_19TensorListAddressesEi
    .private_segment_fixed_size: 0
    .sgpr_count:     22
    .sgpr_spill_count: 0
    .symbol:         _ZN2at6native14lpnorm_cleanupIN3c104HalfELNS0_8NormTypeE1ENS2_8BFloat16ELb1EfEEvPKT3_NS0_19TensorListAddressesEi.kd
    .uniform_work_group_size: 1
    .uses_dynamic_stack: false
    .vgpr_count:     11
    .vgpr_spill_count: 0
    .wavefront_size: 64
  - .agpr_count:     0
    .args:
      - .address_space:  global
        .offset:         0
        .size:           8
        .value_kind:     global_buffer
      - .offset:         8
        .size:           3200
        .value_kind:     by_value
      - .offset:         3208
        .size:           4
        .value_kind:     by_value
      - .offset:         3216
        .size:           4
        .value_kind:     hidden_block_count_x
      - .offset:         3220
        .size:           4
        .value_kind:     hidden_block_count_y
      - .offset:         3224
        .size:           4
        .value_kind:     hidden_block_count_z
      - .offset:         3228
        .size:           2
        .value_kind:     hidden_group_size_x
      - .offset:         3230
        .size:           2
        .value_kind:     hidden_group_size_y
      - .offset:         3232
        .size:           2
        .value_kind:     hidden_group_size_z
      - .offset:         3234
        .size:           2
        .value_kind:     hidden_remainder_x
      - .offset:         3236
        .size:           2
        .value_kind:     hidden_remainder_y
      - .offset:         3238
        .size:           2
        .value_kind:     hidden_remainder_z
      - .offset:         3256
        .size:           8
        .value_kind:     hidden_global_offset_x
      - .offset:         3264
        .size:           8
        .value_kind:     hidden_global_offset_y
      - .offset:         3272
        .size:           8
        .value_kind:     hidden_global_offset_z
      - .offset:         3280
        .size:           2
        .value_kind:     hidden_grid_dims
    .group_segment_fixed_size: 2048
    .kernarg_segment_align: 8
    .kernarg_segment_size: 3472
    .language:       OpenCL C
    .language_version:
      - 2
      - 0
    .max_flat_workgroup_size: 1024
    .name:           _ZN2at6native14lpnorm_cleanupIN3c104HalfELNS0_8NormTypeE2ENS2_8BFloat16ELb1EfEEvPKT3_NS0_19TensorListAddressesEi
    .private_segment_fixed_size: 0
    .sgpr_count:     22
    .sgpr_spill_count: 0
    .symbol:         _ZN2at6native14lpnorm_cleanupIN3c104HalfELNS0_8NormTypeE2ENS2_8BFloat16ELb1EfEEvPKT3_NS0_19TensorListAddressesEi.kd
    .uniform_work_group_size: 1
    .uses_dynamic_stack: false
    .vgpr_count:     11
    .vgpr_spill_count: 0
    .wavefront_size: 64
  - .agpr_count:     0
    .args:
      - .address_space:  global
        .offset:         0
        .size:           8
        .value_kind:     global_buffer
      - .offset:         8
        .size:           3200
        .value_kind:     by_value
      - .offset:         3208
        .size:           4
        .value_kind:     by_value
      - .offset:         3216
        .size:           4
        .value_kind:     hidden_block_count_x
      - .offset:         3220
        .size:           4
        .value_kind:     hidden_block_count_y
      - .offset:         3224
        .size:           4
        .value_kind:     hidden_block_count_z
      - .offset:         3228
        .size:           2
        .value_kind:     hidden_group_size_x
      - .offset:         3230
        .size:           2
        .value_kind:     hidden_group_size_y
      - .offset:         3232
        .size:           2
        .value_kind:     hidden_group_size_z
      - .offset:         3234
        .size:           2
        .value_kind:     hidden_remainder_x
      - .offset:         3236
        .size:           2
        .value_kind:     hidden_remainder_y
      - .offset:         3238
        .size:           2
        .value_kind:     hidden_remainder_z
      - .offset:         3256
        .size:           8
        .value_kind:     hidden_global_offset_x
      - .offset:         3264
        .size:           8
        .value_kind:     hidden_global_offset_y
      - .offset:         3272
        .size:           8
        .value_kind:     hidden_global_offset_z
      - .offset:         3280
        .size:           2
        .value_kind:     hidden_grid_dims
    .group_segment_fixed_size: 2048
    .kernarg_segment_align: 8
    .kernarg_segment_size: 3472
    .language:       OpenCL C
    .language_version:
      - 2
      - 0
    .max_flat_workgroup_size: 1024
    .name:           _ZN2at6native14lpnorm_cleanupIN3c104HalfELNS0_8NormTypeE3ENS2_8BFloat16ELb1EfEEvPKT3_NS0_19TensorListAddressesEi
    .private_segment_fixed_size: 0
    .sgpr_count:     24
    .sgpr_spill_count: 0
    .symbol:         _ZN2at6native14lpnorm_cleanupIN3c104HalfELNS0_8NormTypeE3ENS2_8BFloat16ELb1EfEEvPKT3_NS0_19TensorListAddressesEi.kd
    .uniform_work_group_size: 1
    .uses_dynamic_stack: false
    .vgpr_count:     11
    .vgpr_spill_count: 0
    .wavefront_size: 64
  - .agpr_count:     0
    .args:
      - .offset:         0
        .size:           3368
        .value_kind:     by_value
      - .offset:         3368
        .size:           1
        .value_kind:     by_value
      - .address_space:  global
        .offset:         3376
        .size:           8
        .value_kind:     global_buffer
      - .offset:         3384
        .size:           4
        .value_kind:     by_value
      - .offset:         3392
        .size:           4
        .value_kind:     hidden_block_count_x
      - .offset:         3396
        .size:           4
        .value_kind:     hidden_block_count_y
      - .offset:         3400
        .size:           4
        .value_kind:     hidden_block_count_z
      - .offset:         3404
        .size:           2
        .value_kind:     hidden_group_size_x
      - .offset:         3406
        .size:           2
        .value_kind:     hidden_group_size_y
      - .offset:         3408
        .size:           2
        .value_kind:     hidden_group_size_z
      - .offset:         3410
        .size:           2
        .value_kind:     hidden_remainder_x
      - .offset:         3412
        .size:           2
        .value_kind:     hidden_remainder_y
      - .offset:         3414
        .size:           2
        .value_kind:     hidden_remainder_z
      - .offset:         3432
        .size:           8
        .value_kind:     hidden_global_offset_x
      - .offset:         3440
        .size:           8
        .value_kind:     hidden_global_offset_y
      - .offset:         3448
        .size:           8
        .value_kind:     hidden_global_offset_z
      - .offset:         3456
        .size:           2
        .value_kind:     hidden_grid_dims
    .group_segment_fixed_size: 4096
    .kernarg_segment_align: 8
    .kernarg_segment_size: 3648
    .language:       OpenCL C
    .language_version:
      - 2
      - 0
    .max_flat_workgroup_size: 512
    .name:           _ZN2at6native12_GLOBAL__N_125multi_tensor_apply_kernelINS1_18TensorListMetadataILi1EEENS0_13LpNormFunctorIN3c108BFloat16ELNS0_8NormTypeE0EdLi1ELi1ELi0EEEJPdiEEEvT_T0_DpT1_
    .private_segment_fixed_size: 0
    .sgpr_count:     28
    .sgpr_spill_count: 0
    .symbol:         _ZN2at6native12_GLOBAL__N_125multi_tensor_apply_kernelINS1_18TensorListMetadataILi1EEENS0_13LpNormFunctorIN3c108BFloat16ELNS0_8NormTypeE0EdLi1ELi1ELi0EEEJPdiEEEvT_T0_DpT1_.kd
    .uniform_work_group_size: 1
    .uses_dynamic_stack: false
    .vgpr_count:     34
    .vgpr_spill_count: 0
    .wavefront_size: 64
  - .agpr_count:     0
    .args:
      - .offset:         0
        .size:           3368
        .value_kind:     by_value
      - .offset:         3368
        .size:           1
        .value_kind:     by_value
      - .address_space:  global
        .offset:         3376
        .size:           8
        .value_kind:     global_buffer
      - .offset:         3384
        .size:           4
        .value_kind:     by_value
      - .offset:         3392
        .size:           4
        .value_kind:     hidden_block_count_x
      - .offset:         3396
        .size:           4
        .value_kind:     hidden_block_count_y
      - .offset:         3400
        .size:           4
        .value_kind:     hidden_block_count_z
      - .offset:         3404
        .size:           2
        .value_kind:     hidden_group_size_x
      - .offset:         3406
        .size:           2
        .value_kind:     hidden_group_size_y
      - .offset:         3408
        .size:           2
        .value_kind:     hidden_group_size_z
      - .offset:         3410
        .size:           2
        .value_kind:     hidden_remainder_x
      - .offset:         3412
        .size:           2
        .value_kind:     hidden_remainder_y
      - .offset:         3414
        .size:           2
        .value_kind:     hidden_remainder_z
      - .offset:         3432
        .size:           8
        .value_kind:     hidden_global_offset_x
      - .offset:         3440
        .size:           8
        .value_kind:     hidden_global_offset_y
      - .offset:         3448
        .size:           8
        .value_kind:     hidden_global_offset_z
      - .offset:         3456
        .size:           2
        .value_kind:     hidden_grid_dims
    .group_segment_fixed_size: 4096
    .kernarg_segment_align: 8
    .kernarg_segment_size: 3648
    .language:       OpenCL C
    .language_version:
      - 2
      - 0
    .max_flat_workgroup_size: 512
    .name:           _ZN2at6native12_GLOBAL__N_125multi_tensor_apply_kernelINS1_18TensorListMetadataILi1EEENS0_13LpNormFunctorIN3c108BFloat16ELNS0_8NormTypeE1EdLi1ELi1ELi0EEEJPdiEEEvT_T0_DpT1_
    .private_segment_fixed_size: 0
    .sgpr_count:     28
    .sgpr_spill_count: 0
    .symbol:         _ZN2at6native12_GLOBAL__N_125multi_tensor_apply_kernelINS1_18TensorListMetadataILi1EEENS0_13LpNormFunctorIN3c108BFloat16ELNS0_8NormTypeE1EdLi1ELi1ELi0EEEJPdiEEEvT_T0_DpT1_.kd
    .uniform_work_group_size: 1
    .uses_dynamic_stack: false
    .vgpr_count:     23
    .vgpr_spill_count: 0
    .wavefront_size: 64
  - .agpr_count:     0
    .args:
      - .offset:         0
        .size:           3368
        .value_kind:     by_value
      - .offset:         3368
        .size:           1
        .value_kind:     by_value
      - .address_space:  global
        .offset:         3376
        .size:           8
        .value_kind:     global_buffer
      - .offset:         3384
        .size:           4
        .value_kind:     by_value
      - .offset:         3392
        .size:           4
        .value_kind:     hidden_block_count_x
      - .offset:         3396
        .size:           4
        .value_kind:     hidden_block_count_y
      - .offset:         3400
        .size:           4
        .value_kind:     hidden_block_count_z
      - .offset:         3404
        .size:           2
        .value_kind:     hidden_group_size_x
      - .offset:         3406
        .size:           2
        .value_kind:     hidden_group_size_y
      - .offset:         3408
        .size:           2
        .value_kind:     hidden_group_size_z
      - .offset:         3410
        .size:           2
        .value_kind:     hidden_remainder_x
      - .offset:         3412
        .size:           2
        .value_kind:     hidden_remainder_y
      - .offset:         3414
        .size:           2
        .value_kind:     hidden_remainder_z
      - .offset:         3432
        .size:           8
        .value_kind:     hidden_global_offset_x
      - .offset:         3440
        .size:           8
        .value_kind:     hidden_global_offset_y
      - .offset:         3448
        .size:           8
        .value_kind:     hidden_global_offset_z
      - .offset:         3456
        .size:           2
        .value_kind:     hidden_grid_dims
    .group_segment_fixed_size: 4096
    .kernarg_segment_align: 8
    .kernarg_segment_size: 3648
    .language:       OpenCL C
    .language_version:
      - 2
      - 0
    .max_flat_workgroup_size: 512
    .name:           _ZN2at6native12_GLOBAL__N_125multi_tensor_apply_kernelINS1_18TensorListMetadataILi1EEENS0_13LpNormFunctorIN3c108BFloat16ELNS0_8NormTypeE2EdLi1ELi1ELi0EEEJPdiEEEvT_T0_DpT1_
    .private_segment_fixed_size: 0
    .sgpr_count:     28
    .sgpr_spill_count: 0
    .symbol:         _ZN2at6native12_GLOBAL__N_125multi_tensor_apply_kernelINS1_18TensorListMetadataILi1EEENS0_13LpNormFunctorIN3c108BFloat16ELNS0_8NormTypeE2EdLi1ELi1ELi0EEEJPdiEEEvT_T0_DpT1_.kd
    .uniform_work_group_size: 1
    .uses_dynamic_stack: false
    .vgpr_count:     23
    .vgpr_spill_count: 0
    .wavefront_size: 64
  - .agpr_count:     0
    .args:
      - .offset:         0
        .size:           3368
        .value_kind:     by_value
      - .offset:         3368
        .size:           1
        .value_kind:     by_value
      - .address_space:  global
        .offset:         3376
        .size:           8
        .value_kind:     global_buffer
      - .offset:         3384
        .size:           4
        .value_kind:     by_value
      - .offset:         3392
        .size:           4
        .value_kind:     hidden_block_count_x
      - .offset:         3396
        .size:           4
        .value_kind:     hidden_block_count_y
      - .offset:         3400
        .size:           4
        .value_kind:     hidden_block_count_z
      - .offset:         3404
        .size:           2
        .value_kind:     hidden_group_size_x
      - .offset:         3406
        .size:           2
        .value_kind:     hidden_group_size_y
      - .offset:         3408
        .size:           2
        .value_kind:     hidden_group_size_z
      - .offset:         3410
        .size:           2
        .value_kind:     hidden_remainder_x
      - .offset:         3412
        .size:           2
        .value_kind:     hidden_remainder_y
      - .offset:         3414
        .size:           2
        .value_kind:     hidden_remainder_z
      - .offset:         3432
        .size:           8
        .value_kind:     hidden_global_offset_x
      - .offset:         3440
        .size:           8
        .value_kind:     hidden_global_offset_y
      - .offset:         3448
        .size:           8
        .value_kind:     hidden_global_offset_z
      - .offset:         3456
        .size:           2
        .value_kind:     hidden_grid_dims
    .group_segment_fixed_size: 4096
    .kernarg_segment_align: 8
    .kernarg_segment_size: 3648
    .language:       OpenCL C
    .language_version:
      - 2
      - 0
    .max_flat_workgroup_size: 512
    .name:           _ZN2at6native12_GLOBAL__N_125multi_tensor_apply_kernelINS1_18TensorListMetadataILi1EEENS0_13LpNormFunctorIN3c108BFloat16ELNS0_8NormTypeE3EdLi1ELi1ELi0EEEJPdiEEEvT_T0_DpT1_
    .private_segment_fixed_size: 0
    .sgpr_count:     35
    .sgpr_spill_count: 0
    .symbol:         _ZN2at6native12_GLOBAL__N_125multi_tensor_apply_kernelINS1_18TensorListMetadataILi1EEENS0_13LpNormFunctorIN3c108BFloat16ELNS0_8NormTypeE3EdLi1ELi1ELi0EEEJPdiEEEvT_T0_DpT1_.kd
    .uniform_work_group_size: 1
    .uses_dynamic_stack: false
    .vgpr_count:     23
    .vgpr_spill_count: 0
    .wavefront_size: 64
  - .agpr_count:     0
    .args:
      - .address_space:  global
        .offset:         0
        .size:           8
        .value_kind:     global_buffer
      - .offset:         8
        .size:           3200
        .value_kind:     by_value
      - .offset:         3208
        .size:           4
        .value_kind:     by_value
      - .offset:         3216
        .size:           4
        .value_kind:     hidden_block_count_x
      - .offset:         3220
        .size:           4
        .value_kind:     hidden_block_count_y
      - .offset:         3224
        .size:           4
        .value_kind:     hidden_block_count_z
      - .offset:         3228
        .size:           2
        .value_kind:     hidden_group_size_x
      - .offset:         3230
        .size:           2
        .value_kind:     hidden_group_size_y
      - .offset:         3232
        .size:           2
        .value_kind:     hidden_group_size_z
      - .offset:         3234
        .size:           2
        .value_kind:     hidden_remainder_x
      - .offset:         3236
        .size:           2
        .value_kind:     hidden_remainder_y
      - .offset:         3238
        .size:           2
        .value_kind:     hidden_remainder_z
      - .offset:         3256
        .size:           8
        .value_kind:     hidden_global_offset_x
      - .offset:         3264
        .size:           8
        .value_kind:     hidden_global_offset_y
      - .offset:         3272
        .size:           8
        .value_kind:     hidden_global_offset_z
      - .offset:         3280
        .size:           2
        .value_kind:     hidden_grid_dims
    .group_segment_fixed_size: 4096
    .kernarg_segment_align: 8
    .kernarg_segment_size: 3472
    .language:       OpenCL C
    .language_version:
      - 2
      - 0
    .max_flat_workgroup_size: 1024
    .name:           _ZN2at6native14lpnorm_cleanupIN3c108BFloat16ELNS0_8NormTypeE0EdLb1EdEEvPKT3_NS0_19TensorListAddressesEi
    .private_segment_fixed_size: 0
    .sgpr_count:     22
    .sgpr_spill_count: 0
    .symbol:         _ZN2at6native14lpnorm_cleanupIN3c108BFloat16ELNS0_8NormTypeE0EdLb1EdEEvPKT3_NS0_19TensorListAddressesEi.kd
    .uniform_work_group_size: 1
    .uses_dynamic_stack: false
    .vgpr_count:     13
    .vgpr_spill_count: 0
    .wavefront_size: 64
  - .agpr_count:     0
    .args:
      - .address_space:  global
        .offset:         0
        .size:           8
        .value_kind:     global_buffer
      - .offset:         8
        .size:           3200
        .value_kind:     by_value
      - .offset:         3208
        .size:           4
        .value_kind:     by_value
      - .offset:         3216
        .size:           4
        .value_kind:     hidden_block_count_x
      - .offset:         3220
        .size:           4
        .value_kind:     hidden_block_count_y
      - .offset:         3224
        .size:           4
        .value_kind:     hidden_block_count_z
      - .offset:         3228
        .size:           2
        .value_kind:     hidden_group_size_x
      - .offset:         3230
        .size:           2
        .value_kind:     hidden_group_size_y
      - .offset:         3232
        .size:           2
        .value_kind:     hidden_group_size_z
      - .offset:         3234
        .size:           2
        .value_kind:     hidden_remainder_x
      - .offset:         3236
        .size:           2
        .value_kind:     hidden_remainder_y
      - .offset:         3238
        .size:           2
        .value_kind:     hidden_remainder_z
      - .offset:         3256
        .size:           8
        .value_kind:     hidden_global_offset_x
      - .offset:         3264
        .size:           8
        .value_kind:     hidden_global_offset_y
      - .offset:         3272
        .size:           8
        .value_kind:     hidden_global_offset_z
      - .offset:         3280
        .size:           2
        .value_kind:     hidden_grid_dims
    .group_segment_fixed_size: 4096
    .kernarg_segment_align: 8
    .kernarg_segment_size: 3472
    .language:       OpenCL C
    .language_version:
      - 2
      - 0
    .max_flat_workgroup_size: 1024
    .name:           _ZN2at6native14lpnorm_cleanupIN3c108BFloat16ELNS0_8NormTypeE1EdLb1EdEEvPKT3_NS0_19TensorListAddressesEi
    .private_segment_fixed_size: 0
    .sgpr_count:     22
    .sgpr_spill_count: 0
    .symbol:         _ZN2at6native14lpnorm_cleanupIN3c108BFloat16ELNS0_8NormTypeE1EdLb1EdEEvPKT3_NS0_19TensorListAddressesEi.kd
    .uniform_work_group_size: 1
    .uses_dynamic_stack: false
    .vgpr_count:     13
    .vgpr_spill_count: 0
    .wavefront_size: 64
  - .agpr_count:     0
    .args:
      - .address_space:  global
        .offset:         0
        .size:           8
        .value_kind:     global_buffer
      - .offset:         8
        .size:           3200
        .value_kind:     by_value
      - .offset:         3208
        .size:           4
        .value_kind:     by_value
      - .offset:         3216
        .size:           4
        .value_kind:     hidden_block_count_x
      - .offset:         3220
        .size:           4
        .value_kind:     hidden_block_count_y
      - .offset:         3224
        .size:           4
        .value_kind:     hidden_block_count_z
      - .offset:         3228
        .size:           2
        .value_kind:     hidden_group_size_x
      - .offset:         3230
        .size:           2
        .value_kind:     hidden_group_size_y
      - .offset:         3232
        .size:           2
        .value_kind:     hidden_group_size_z
      - .offset:         3234
        .size:           2
        .value_kind:     hidden_remainder_x
      - .offset:         3236
        .size:           2
        .value_kind:     hidden_remainder_y
      - .offset:         3238
        .size:           2
        .value_kind:     hidden_remainder_z
      - .offset:         3256
        .size:           8
        .value_kind:     hidden_global_offset_x
      - .offset:         3264
        .size:           8
        .value_kind:     hidden_global_offset_y
      - .offset:         3272
        .size:           8
        .value_kind:     hidden_global_offset_z
      - .offset:         3280
        .size:           2
        .value_kind:     hidden_grid_dims
    .group_segment_fixed_size: 4096
    .kernarg_segment_align: 8
    .kernarg_segment_size: 3472
    .language:       OpenCL C
    .language_version:
      - 2
      - 0
    .max_flat_workgroup_size: 1024
    .name:           _ZN2at6native14lpnorm_cleanupIN3c108BFloat16ELNS0_8NormTypeE2EdLb1EdEEvPKT3_NS0_19TensorListAddressesEi
    .private_segment_fixed_size: 0
    .sgpr_count:     22
    .sgpr_spill_count: 0
    .symbol:         _ZN2at6native14lpnorm_cleanupIN3c108BFloat16ELNS0_8NormTypeE2EdLb1EdEEvPKT3_NS0_19TensorListAddressesEi.kd
    .uniform_work_group_size: 1
    .uses_dynamic_stack: false
    .vgpr_count:     13
    .vgpr_spill_count: 0
    .wavefront_size: 64
  - .agpr_count:     0
    .args:
      - .address_space:  global
        .offset:         0
        .size:           8
        .value_kind:     global_buffer
      - .offset:         8
        .size:           3200
        .value_kind:     by_value
      - .offset:         3208
        .size:           4
        .value_kind:     by_value
      - .offset:         3216
        .size:           4
        .value_kind:     hidden_block_count_x
      - .offset:         3220
        .size:           4
        .value_kind:     hidden_block_count_y
      - .offset:         3224
        .size:           4
        .value_kind:     hidden_block_count_z
      - .offset:         3228
        .size:           2
        .value_kind:     hidden_group_size_x
      - .offset:         3230
        .size:           2
        .value_kind:     hidden_group_size_y
      - .offset:         3232
        .size:           2
        .value_kind:     hidden_group_size_z
      - .offset:         3234
        .size:           2
        .value_kind:     hidden_remainder_x
      - .offset:         3236
        .size:           2
        .value_kind:     hidden_remainder_y
      - .offset:         3238
        .size:           2
        .value_kind:     hidden_remainder_z
      - .offset:         3256
        .size:           8
        .value_kind:     hidden_global_offset_x
      - .offset:         3264
        .size:           8
        .value_kind:     hidden_global_offset_y
      - .offset:         3272
        .size:           8
        .value_kind:     hidden_global_offset_z
      - .offset:         3280
        .size:           2
        .value_kind:     hidden_grid_dims
    .group_segment_fixed_size: 4096
    .kernarg_segment_align: 8
    .kernarg_segment_size: 3472
    .language:       OpenCL C
    .language_version:
      - 2
      - 0
    .max_flat_workgroup_size: 1024
    .name:           _ZN2at6native14lpnorm_cleanupIN3c108BFloat16ELNS0_8NormTypeE3EdLb1EdEEvPKT3_NS0_19TensorListAddressesEi
    .private_segment_fixed_size: 0
    .sgpr_count:     24
    .sgpr_spill_count: 0
    .symbol:         _ZN2at6native14lpnorm_cleanupIN3c108BFloat16ELNS0_8NormTypeE3EdLb1EdEEvPKT3_NS0_19TensorListAddressesEi.kd
    .uniform_work_group_size: 1
    .uses_dynamic_stack: false
    .vgpr_count:     13
    .vgpr_spill_count: 0
    .wavefront_size: 64
  - .agpr_count:     0
    .args:
      - .offset:         0
        .size:           3368
        .value_kind:     by_value
      - .offset:         3368
        .size:           1
        .value_kind:     by_value
      - .address_space:  global
        .offset:         3376
        .size:           8
        .value_kind:     global_buffer
      - .offset:         3384
        .size:           4
        .value_kind:     by_value
      - .offset:         3392
        .size:           4
        .value_kind:     hidden_block_count_x
      - .offset:         3396
        .size:           4
        .value_kind:     hidden_block_count_y
      - .offset:         3400
        .size:           4
        .value_kind:     hidden_block_count_z
      - .offset:         3404
        .size:           2
        .value_kind:     hidden_group_size_x
      - .offset:         3406
        .size:           2
        .value_kind:     hidden_group_size_y
      - .offset:         3408
        .size:           2
        .value_kind:     hidden_group_size_z
      - .offset:         3410
        .size:           2
        .value_kind:     hidden_remainder_x
      - .offset:         3412
        .size:           2
        .value_kind:     hidden_remainder_y
      - .offset:         3414
        .size:           2
        .value_kind:     hidden_remainder_z
      - .offset:         3432
        .size:           8
        .value_kind:     hidden_global_offset_x
      - .offset:         3440
        .size:           8
        .value_kind:     hidden_global_offset_y
      - .offset:         3448
        .size:           8
        .value_kind:     hidden_global_offset_z
      - .offset:         3456
        .size:           2
        .value_kind:     hidden_grid_dims
    .group_segment_fixed_size: 2048
    .kernarg_segment_align: 8
    .kernarg_segment_size: 3648
    .language:       OpenCL C
    .language_version:
      - 2
      - 0
    .max_flat_workgroup_size: 512
    .name:           _ZN2at6native12_GLOBAL__N_125multi_tensor_apply_kernelINS1_18TensorListMetadataILi1EEENS0_13LpNormFunctorIN3c108BFloat16ELNS0_8NormTypeE0EfLi1ELi1ELi0EEEJPfiEEEvT_T0_DpT1_
    .private_segment_fixed_size: 0
    .sgpr_count:     26
    .sgpr_spill_count: 0
    .symbol:         _ZN2at6native12_GLOBAL__N_125multi_tensor_apply_kernelINS1_18TensorListMetadataILi1EEENS0_13LpNormFunctorIN3c108BFloat16ELNS0_8NormTypeE0EfLi1ELi1ELi0EEEJPfiEEEvT_T0_DpT1_.kd
    .uniform_work_group_size: 1
    .uses_dynamic_stack: false
    .vgpr_count:     20
    .vgpr_spill_count: 0
    .wavefront_size: 64
  - .agpr_count:     0
    .args:
      - .offset:         0
        .size:           3368
        .value_kind:     by_value
      - .offset:         3368
        .size:           1
        .value_kind:     by_value
      - .address_space:  global
        .offset:         3376
        .size:           8
        .value_kind:     global_buffer
      - .offset:         3384
        .size:           4
        .value_kind:     by_value
      - .offset:         3392
        .size:           4
        .value_kind:     hidden_block_count_x
      - .offset:         3396
        .size:           4
        .value_kind:     hidden_block_count_y
      - .offset:         3400
        .size:           4
        .value_kind:     hidden_block_count_z
      - .offset:         3404
        .size:           2
        .value_kind:     hidden_group_size_x
      - .offset:         3406
        .size:           2
        .value_kind:     hidden_group_size_y
      - .offset:         3408
        .size:           2
        .value_kind:     hidden_group_size_z
      - .offset:         3410
        .size:           2
        .value_kind:     hidden_remainder_x
      - .offset:         3412
        .size:           2
        .value_kind:     hidden_remainder_y
      - .offset:         3414
        .size:           2
        .value_kind:     hidden_remainder_z
      - .offset:         3432
        .size:           8
        .value_kind:     hidden_global_offset_x
      - .offset:         3440
        .size:           8
        .value_kind:     hidden_global_offset_y
      - .offset:         3448
        .size:           8
        .value_kind:     hidden_global_offset_z
      - .offset:         3456
        .size:           2
        .value_kind:     hidden_grid_dims
    .group_segment_fixed_size: 2048
    .kernarg_segment_align: 8
    .kernarg_segment_size: 3648
    .language:       OpenCL C
    .language_version:
      - 2
      - 0
    .max_flat_workgroup_size: 512
    .name:           _ZN2at6native12_GLOBAL__N_125multi_tensor_apply_kernelINS1_18TensorListMetadataILi1EEENS0_13LpNormFunctorIN3c108BFloat16ELNS0_8NormTypeE1EfLi1ELi1ELi0EEEJPfiEEEvT_T0_DpT1_
    .private_segment_fixed_size: 0
    .sgpr_count:     26
    .sgpr_spill_count: 0
    .symbol:         _ZN2at6native12_GLOBAL__N_125multi_tensor_apply_kernelINS1_18TensorListMetadataILi1EEENS0_13LpNormFunctorIN3c108BFloat16ELNS0_8NormTypeE1EfLi1ELi1ELi0EEEJPfiEEEvT_T0_DpT1_.kd
    .uniform_work_group_size: 1
    .uses_dynamic_stack: false
    .vgpr_count:     18
    .vgpr_spill_count: 0
    .wavefront_size: 64
  - .agpr_count:     0
    .args:
      - .offset:         0
        .size:           3368
        .value_kind:     by_value
      - .offset:         3368
        .size:           1
        .value_kind:     by_value
      - .address_space:  global
        .offset:         3376
        .size:           8
        .value_kind:     global_buffer
      - .offset:         3384
        .size:           4
        .value_kind:     by_value
      - .offset:         3392
        .size:           4
        .value_kind:     hidden_block_count_x
      - .offset:         3396
        .size:           4
        .value_kind:     hidden_block_count_y
      - .offset:         3400
        .size:           4
        .value_kind:     hidden_block_count_z
      - .offset:         3404
        .size:           2
        .value_kind:     hidden_group_size_x
      - .offset:         3406
        .size:           2
        .value_kind:     hidden_group_size_y
      - .offset:         3408
        .size:           2
        .value_kind:     hidden_group_size_z
      - .offset:         3410
        .size:           2
        .value_kind:     hidden_remainder_x
      - .offset:         3412
        .size:           2
        .value_kind:     hidden_remainder_y
      - .offset:         3414
        .size:           2
        .value_kind:     hidden_remainder_z
      - .offset:         3432
        .size:           8
        .value_kind:     hidden_global_offset_x
      - .offset:         3440
        .size:           8
        .value_kind:     hidden_global_offset_y
      - .offset:         3448
        .size:           8
        .value_kind:     hidden_global_offset_z
      - .offset:         3456
        .size:           2
        .value_kind:     hidden_grid_dims
    .group_segment_fixed_size: 2048
    .kernarg_segment_align: 8
    .kernarg_segment_size: 3648
    .language:       OpenCL C
    .language_version:
      - 2
      - 0
    .max_flat_workgroup_size: 512
    .name:           _ZN2at6native12_GLOBAL__N_125multi_tensor_apply_kernelINS1_18TensorListMetadataILi1EEENS0_13LpNormFunctorIN3c108BFloat16ELNS0_8NormTypeE2EfLi1ELi1ELi0EEEJPfiEEEvT_T0_DpT1_
    .private_segment_fixed_size: 0
    .sgpr_count:     26
    .sgpr_spill_count: 0
    .symbol:         _ZN2at6native12_GLOBAL__N_125multi_tensor_apply_kernelINS1_18TensorListMetadataILi1EEENS0_13LpNormFunctorIN3c108BFloat16ELNS0_8NormTypeE2EfLi1ELi1ELi0EEEJPfiEEEvT_T0_DpT1_.kd
    .uniform_work_group_size: 1
    .uses_dynamic_stack: false
    .vgpr_count:     18
    .vgpr_spill_count: 0
    .wavefront_size: 64
  - .agpr_count:     0
    .args:
      - .offset:         0
        .size:           3368
        .value_kind:     by_value
      - .offset:         3368
        .size:           1
        .value_kind:     by_value
      - .address_space:  global
        .offset:         3376
        .size:           8
        .value_kind:     global_buffer
      - .offset:         3384
        .size:           4
        .value_kind:     by_value
      - .offset:         3392
        .size:           4
        .value_kind:     hidden_block_count_x
      - .offset:         3396
        .size:           4
        .value_kind:     hidden_block_count_y
      - .offset:         3400
        .size:           4
        .value_kind:     hidden_block_count_z
      - .offset:         3404
        .size:           2
        .value_kind:     hidden_group_size_x
      - .offset:         3406
        .size:           2
        .value_kind:     hidden_group_size_y
      - .offset:         3408
        .size:           2
        .value_kind:     hidden_group_size_z
      - .offset:         3410
        .size:           2
        .value_kind:     hidden_remainder_x
      - .offset:         3412
        .size:           2
        .value_kind:     hidden_remainder_y
      - .offset:         3414
        .size:           2
        .value_kind:     hidden_remainder_z
      - .offset:         3432
        .size:           8
        .value_kind:     hidden_global_offset_x
      - .offset:         3440
        .size:           8
        .value_kind:     hidden_global_offset_y
      - .offset:         3448
        .size:           8
        .value_kind:     hidden_global_offset_z
      - .offset:         3456
        .size:           2
        .value_kind:     hidden_grid_dims
    .group_segment_fixed_size: 2048
    .kernarg_segment_align: 8
    .kernarg_segment_size: 3648
    .language:       OpenCL C
    .language_version:
      - 2
      - 0
    .max_flat_workgroup_size: 512
    .name:           _ZN2at6native12_GLOBAL__N_125multi_tensor_apply_kernelINS1_18TensorListMetadataILi1EEENS0_13LpNormFunctorIN3c108BFloat16ELNS0_8NormTypeE3EfLi1ELi1ELi0EEEJPfiEEEvT_T0_DpT1_
    .private_segment_fixed_size: 0
    .sgpr_count:     38
    .sgpr_spill_count: 0
    .symbol:         _ZN2at6native12_GLOBAL__N_125multi_tensor_apply_kernelINS1_18TensorListMetadataILi1EEENS0_13LpNormFunctorIN3c108BFloat16ELNS0_8NormTypeE3EfLi1ELi1ELi0EEEJPfiEEEvT_T0_DpT1_.kd
    .uniform_work_group_size: 1
    .uses_dynamic_stack: false
    .vgpr_count:     18
    .vgpr_spill_count: 0
    .wavefront_size: 64
  - .agpr_count:     0
    .args:
      - .address_space:  global
        .offset:         0
        .size:           8
        .value_kind:     global_buffer
      - .offset:         8
        .size:           3200
        .value_kind:     by_value
      - .offset:         3208
        .size:           4
        .value_kind:     by_value
      - .offset:         3216
        .size:           4
        .value_kind:     hidden_block_count_x
      - .offset:         3220
        .size:           4
        .value_kind:     hidden_block_count_y
      - .offset:         3224
        .size:           4
        .value_kind:     hidden_block_count_z
      - .offset:         3228
        .size:           2
        .value_kind:     hidden_group_size_x
      - .offset:         3230
        .size:           2
        .value_kind:     hidden_group_size_y
      - .offset:         3232
        .size:           2
        .value_kind:     hidden_group_size_z
      - .offset:         3234
        .size:           2
        .value_kind:     hidden_remainder_x
      - .offset:         3236
        .size:           2
        .value_kind:     hidden_remainder_y
      - .offset:         3238
        .size:           2
        .value_kind:     hidden_remainder_z
      - .offset:         3256
        .size:           8
        .value_kind:     hidden_global_offset_x
      - .offset:         3264
        .size:           8
        .value_kind:     hidden_global_offset_y
      - .offset:         3272
        .size:           8
        .value_kind:     hidden_global_offset_z
      - .offset:         3280
        .size:           2
        .value_kind:     hidden_grid_dims
    .group_segment_fixed_size: 2048
    .kernarg_segment_align: 8
    .kernarg_segment_size: 3472
    .language:       OpenCL C
    .language_version:
      - 2
      - 0
    .max_flat_workgroup_size: 1024
    .name:           _ZN2at6native14lpnorm_cleanupIN3c108BFloat16ELNS0_8NormTypeE0EfLb1EfEEvPKT3_NS0_19TensorListAddressesEi
    .private_segment_fixed_size: 0
    .sgpr_count:     22
    .sgpr_spill_count: 0
    .symbol:         _ZN2at6native14lpnorm_cleanupIN3c108BFloat16ELNS0_8NormTypeE0EfLb1EfEEvPKT3_NS0_19TensorListAddressesEi.kd
    .uniform_work_group_size: 1
    .uses_dynamic_stack: false
    .vgpr_count:     11
    .vgpr_spill_count: 0
    .wavefront_size: 64
  - .agpr_count:     0
    .args:
      - .address_space:  global
        .offset:         0
        .size:           8
        .value_kind:     global_buffer
      - .offset:         8
        .size:           3200
        .value_kind:     by_value
      - .offset:         3208
        .size:           4
        .value_kind:     by_value
      - .offset:         3216
        .size:           4
        .value_kind:     hidden_block_count_x
      - .offset:         3220
        .size:           4
        .value_kind:     hidden_block_count_y
      - .offset:         3224
        .size:           4
        .value_kind:     hidden_block_count_z
      - .offset:         3228
        .size:           2
        .value_kind:     hidden_group_size_x
      - .offset:         3230
        .size:           2
        .value_kind:     hidden_group_size_y
      - .offset:         3232
        .size:           2
        .value_kind:     hidden_group_size_z
      - .offset:         3234
        .size:           2
        .value_kind:     hidden_remainder_x
      - .offset:         3236
        .size:           2
        .value_kind:     hidden_remainder_y
      - .offset:         3238
        .size:           2
        .value_kind:     hidden_remainder_z
      - .offset:         3256
        .size:           8
        .value_kind:     hidden_global_offset_x
      - .offset:         3264
        .size:           8
        .value_kind:     hidden_global_offset_y
      - .offset:         3272
        .size:           8
        .value_kind:     hidden_global_offset_z
      - .offset:         3280
        .size:           2
        .value_kind:     hidden_grid_dims
    .group_segment_fixed_size: 2048
    .kernarg_segment_align: 8
    .kernarg_segment_size: 3472
    .language:       OpenCL C
    .language_version:
      - 2
      - 0
    .max_flat_workgroup_size: 1024
    .name:           _ZN2at6native14lpnorm_cleanupIN3c108BFloat16ELNS0_8NormTypeE1EfLb1EfEEvPKT3_NS0_19TensorListAddressesEi
    .private_segment_fixed_size: 0
    .sgpr_count:     22
    .sgpr_spill_count: 0
    .symbol:         _ZN2at6native14lpnorm_cleanupIN3c108BFloat16ELNS0_8NormTypeE1EfLb1EfEEvPKT3_NS0_19TensorListAddressesEi.kd
    .uniform_work_group_size: 1
    .uses_dynamic_stack: false
    .vgpr_count:     11
    .vgpr_spill_count: 0
    .wavefront_size: 64
  - .agpr_count:     0
    .args:
      - .address_space:  global
        .offset:         0
        .size:           8
        .value_kind:     global_buffer
      - .offset:         8
        .size:           3200
        .value_kind:     by_value
      - .offset:         3208
        .size:           4
        .value_kind:     by_value
      - .offset:         3216
        .size:           4
        .value_kind:     hidden_block_count_x
      - .offset:         3220
        .size:           4
        .value_kind:     hidden_block_count_y
      - .offset:         3224
        .size:           4
        .value_kind:     hidden_block_count_z
      - .offset:         3228
        .size:           2
        .value_kind:     hidden_group_size_x
      - .offset:         3230
        .size:           2
        .value_kind:     hidden_group_size_y
      - .offset:         3232
        .size:           2
        .value_kind:     hidden_group_size_z
      - .offset:         3234
        .size:           2
        .value_kind:     hidden_remainder_x
      - .offset:         3236
        .size:           2
        .value_kind:     hidden_remainder_y
      - .offset:         3238
        .size:           2
        .value_kind:     hidden_remainder_z
      - .offset:         3256
        .size:           8
        .value_kind:     hidden_global_offset_x
      - .offset:         3264
        .size:           8
        .value_kind:     hidden_global_offset_y
      - .offset:         3272
        .size:           8
        .value_kind:     hidden_global_offset_z
      - .offset:         3280
        .size:           2
        .value_kind:     hidden_grid_dims
    .group_segment_fixed_size: 2048
    .kernarg_segment_align: 8
    .kernarg_segment_size: 3472
    .language:       OpenCL C
    .language_version:
      - 2
      - 0
    .max_flat_workgroup_size: 1024
    .name:           _ZN2at6native14lpnorm_cleanupIN3c108BFloat16ELNS0_8NormTypeE2EfLb1EfEEvPKT3_NS0_19TensorListAddressesEi
    .private_segment_fixed_size: 0
    .sgpr_count:     22
    .sgpr_spill_count: 0
    .symbol:         _ZN2at6native14lpnorm_cleanupIN3c108BFloat16ELNS0_8NormTypeE2EfLb1EfEEvPKT3_NS0_19TensorListAddressesEi.kd
    .uniform_work_group_size: 1
    .uses_dynamic_stack: false
    .vgpr_count:     11
    .vgpr_spill_count: 0
    .wavefront_size: 64
  - .agpr_count:     0
    .args:
      - .address_space:  global
        .offset:         0
        .size:           8
        .value_kind:     global_buffer
      - .offset:         8
        .size:           3200
        .value_kind:     by_value
      - .offset:         3208
        .size:           4
        .value_kind:     by_value
      - .offset:         3216
        .size:           4
        .value_kind:     hidden_block_count_x
      - .offset:         3220
        .size:           4
        .value_kind:     hidden_block_count_y
      - .offset:         3224
        .size:           4
        .value_kind:     hidden_block_count_z
      - .offset:         3228
        .size:           2
        .value_kind:     hidden_group_size_x
      - .offset:         3230
        .size:           2
        .value_kind:     hidden_group_size_y
      - .offset:         3232
        .size:           2
        .value_kind:     hidden_group_size_z
      - .offset:         3234
        .size:           2
        .value_kind:     hidden_remainder_x
      - .offset:         3236
        .size:           2
        .value_kind:     hidden_remainder_y
      - .offset:         3238
        .size:           2
        .value_kind:     hidden_remainder_z
      - .offset:         3256
        .size:           8
        .value_kind:     hidden_global_offset_x
      - .offset:         3264
        .size:           8
        .value_kind:     hidden_global_offset_y
      - .offset:         3272
        .size:           8
        .value_kind:     hidden_global_offset_z
      - .offset:         3280
        .size:           2
        .value_kind:     hidden_grid_dims
    .group_segment_fixed_size: 2048
    .kernarg_segment_align: 8
    .kernarg_segment_size: 3472
    .language:       OpenCL C
    .language_version:
      - 2
      - 0
    .max_flat_workgroup_size: 1024
    .name:           _ZN2at6native14lpnorm_cleanupIN3c108BFloat16ELNS0_8NormTypeE3EfLb1EfEEvPKT3_NS0_19TensorListAddressesEi
    .private_segment_fixed_size: 0
    .sgpr_count:     24
    .sgpr_spill_count: 0
    .symbol:         _ZN2at6native14lpnorm_cleanupIN3c108BFloat16ELNS0_8NormTypeE3EfLb1EfEEvPKT3_NS0_19TensorListAddressesEi.kd
    .uniform_work_group_size: 1
    .uses_dynamic_stack: false
    .vgpr_count:     11
    .vgpr_spill_count: 0
    .wavefront_size: 64
  - .agpr_count:     0
    .args:
      - .offset:         0
        .size:           3368
        .value_kind:     by_value
      - .offset:         3368
        .size:           1
        .value_kind:     by_value
      - .address_space:  global
        .offset:         3376
        .size:           8
        .value_kind:     global_buffer
      - .offset:         3384
        .size:           4
        .value_kind:     by_value
      - .offset:         3392
        .size:           4
        .value_kind:     hidden_block_count_x
      - .offset:         3396
        .size:           4
        .value_kind:     hidden_block_count_y
      - .offset:         3400
        .size:           4
        .value_kind:     hidden_block_count_z
      - .offset:         3404
        .size:           2
        .value_kind:     hidden_group_size_x
      - .offset:         3406
        .size:           2
        .value_kind:     hidden_group_size_y
      - .offset:         3408
        .size:           2
        .value_kind:     hidden_group_size_z
      - .offset:         3410
        .size:           2
        .value_kind:     hidden_remainder_x
      - .offset:         3412
        .size:           2
        .value_kind:     hidden_remainder_y
      - .offset:         3414
        .size:           2
        .value_kind:     hidden_remainder_z
      - .offset:         3432
        .size:           8
        .value_kind:     hidden_global_offset_x
      - .offset:         3440
        .size:           8
        .value_kind:     hidden_global_offset_y
      - .offset:         3448
        .size:           8
        .value_kind:     hidden_global_offset_z
      - .offset:         3456
        .size:           2
        .value_kind:     hidden_grid_dims
    .group_segment_fixed_size: 2048
    .kernarg_segment_align: 8
    .kernarg_segment_size: 3648
    .language:       OpenCL C
    .language_version:
      - 2
      - 0
    .max_flat_workgroup_size: 512
    .name:           _ZN2at6native12_GLOBAL__N_125multi_tensor_apply_kernelINS1_18TensorListMetadataILi1EEENS0_13LpNormFunctorIN3c108BFloat16ELNS0_8NormTypeE0ENS6_4HalfELi1ELi1ELi0EEEJPfiEEEvT_T0_DpT1_
    .private_segment_fixed_size: 0
    .sgpr_count:     26
    .sgpr_spill_count: 0
    .symbol:         _ZN2at6native12_GLOBAL__N_125multi_tensor_apply_kernelINS1_18TensorListMetadataILi1EEENS0_13LpNormFunctorIN3c108BFloat16ELNS0_8NormTypeE0ENS6_4HalfELi1ELi1ELi0EEEJPfiEEEvT_T0_DpT1_.kd
    .uniform_work_group_size: 1
    .uses_dynamic_stack: false
    .vgpr_count:     20
    .vgpr_spill_count: 0
    .wavefront_size: 64
  - .agpr_count:     0
    .args:
      - .offset:         0
        .size:           3368
        .value_kind:     by_value
      - .offset:         3368
        .size:           1
        .value_kind:     by_value
      - .address_space:  global
        .offset:         3376
        .size:           8
        .value_kind:     global_buffer
      - .offset:         3384
        .size:           4
        .value_kind:     by_value
      - .offset:         3392
        .size:           4
        .value_kind:     hidden_block_count_x
      - .offset:         3396
        .size:           4
        .value_kind:     hidden_block_count_y
      - .offset:         3400
        .size:           4
        .value_kind:     hidden_block_count_z
      - .offset:         3404
        .size:           2
        .value_kind:     hidden_group_size_x
      - .offset:         3406
        .size:           2
        .value_kind:     hidden_group_size_y
      - .offset:         3408
        .size:           2
        .value_kind:     hidden_group_size_z
      - .offset:         3410
        .size:           2
        .value_kind:     hidden_remainder_x
      - .offset:         3412
        .size:           2
        .value_kind:     hidden_remainder_y
      - .offset:         3414
        .size:           2
        .value_kind:     hidden_remainder_z
      - .offset:         3432
        .size:           8
        .value_kind:     hidden_global_offset_x
      - .offset:         3440
        .size:           8
        .value_kind:     hidden_global_offset_y
      - .offset:         3448
        .size:           8
        .value_kind:     hidden_global_offset_z
      - .offset:         3456
        .size:           2
        .value_kind:     hidden_grid_dims
    .group_segment_fixed_size: 2048
    .kernarg_segment_align: 8
    .kernarg_segment_size: 3648
    .language:       OpenCL C
    .language_version:
      - 2
      - 0
    .max_flat_workgroup_size: 512
    .name:           _ZN2at6native12_GLOBAL__N_125multi_tensor_apply_kernelINS1_18TensorListMetadataILi1EEENS0_13LpNormFunctorIN3c108BFloat16ELNS0_8NormTypeE1ENS6_4HalfELi1ELi1ELi0EEEJPfiEEEvT_T0_DpT1_
    .private_segment_fixed_size: 0
    .sgpr_count:     26
    .sgpr_spill_count: 0
    .symbol:         _ZN2at6native12_GLOBAL__N_125multi_tensor_apply_kernelINS1_18TensorListMetadataILi1EEENS0_13LpNormFunctorIN3c108BFloat16ELNS0_8NormTypeE1ENS6_4HalfELi1ELi1ELi0EEEJPfiEEEvT_T0_DpT1_.kd
    .uniform_work_group_size: 1
    .uses_dynamic_stack: false
    .vgpr_count:     18
    .vgpr_spill_count: 0
    .wavefront_size: 64
  - .agpr_count:     0
    .args:
      - .offset:         0
        .size:           3368
        .value_kind:     by_value
      - .offset:         3368
        .size:           1
        .value_kind:     by_value
      - .address_space:  global
        .offset:         3376
        .size:           8
        .value_kind:     global_buffer
      - .offset:         3384
        .size:           4
        .value_kind:     by_value
      - .offset:         3392
        .size:           4
        .value_kind:     hidden_block_count_x
      - .offset:         3396
        .size:           4
        .value_kind:     hidden_block_count_y
      - .offset:         3400
        .size:           4
        .value_kind:     hidden_block_count_z
      - .offset:         3404
        .size:           2
        .value_kind:     hidden_group_size_x
      - .offset:         3406
        .size:           2
        .value_kind:     hidden_group_size_y
      - .offset:         3408
        .size:           2
        .value_kind:     hidden_group_size_z
      - .offset:         3410
        .size:           2
        .value_kind:     hidden_remainder_x
      - .offset:         3412
        .size:           2
        .value_kind:     hidden_remainder_y
      - .offset:         3414
        .size:           2
        .value_kind:     hidden_remainder_z
      - .offset:         3432
        .size:           8
        .value_kind:     hidden_global_offset_x
      - .offset:         3440
        .size:           8
        .value_kind:     hidden_global_offset_y
      - .offset:         3448
        .size:           8
        .value_kind:     hidden_global_offset_z
      - .offset:         3456
        .size:           2
        .value_kind:     hidden_grid_dims
    .group_segment_fixed_size: 2048
    .kernarg_segment_align: 8
    .kernarg_segment_size: 3648
    .language:       OpenCL C
    .language_version:
      - 2
      - 0
    .max_flat_workgroup_size: 512
    .name:           _ZN2at6native12_GLOBAL__N_125multi_tensor_apply_kernelINS1_18TensorListMetadataILi1EEENS0_13LpNormFunctorIN3c108BFloat16ELNS0_8NormTypeE2ENS6_4HalfELi1ELi1ELi0EEEJPfiEEEvT_T0_DpT1_
    .private_segment_fixed_size: 0
    .sgpr_count:     26
    .sgpr_spill_count: 0
    .symbol:         _ZN2at6native12_GLOBAL__N_125multi_tensor_apply_kernelINS1_18TensorListMetadataILi1EEENS0_13LpNormFunctorIN3c108BFloat16ELNS0_8NormTypeE2ENS6_4HalfELi1ELi1ELi0EEEJPfiEEEvT_T0_DpT1_.kd
    .uniform_work_group_size: 1
    .uses_dynamic_stack: false
    .vgpr_count:     18
    .vgpr_spill_count: 0
    .wavefront_size: 64
  - .agpr_count:     0
    .args:
      - .offset:         0
        .size:           3368
        .value_kind:     by_value
      - .offset:         3368
        .size:           1
        .value_kind:     by_value
      - .address_space:  global
        .offset:         3376
        .size:           8
        .value_kind:     global_buffer
      - .offset:         3384
        .size:           4
        .value_kind:     by_value
      - .offset:         3392
        .size:           4
        .value_kind:     hidden_block_count_x
      - .offset:         3396
        .size:           4
        .value_kind:     hidden_block_count_y
      - .offset:         3400
        .size:           4
        .value_kind:     hidden_block_count_z
      - .offset:         3404
        .size:           2
        .value_kind:     hidden_group_size_x
      - .offset:         3406
        .size:           2
        .value_kind:     hidden_group_size_y
      - .offset:         3408
        .size:           2
        .value_kind:     hidden_group_size_z
      - .offset:         3410
        .size:           2
        .value_kind:     hidden_remainder_x
      - .offset:         3412
        .size:           2
        .value_kind:     hidden_remainder_y
      - .offset:         3414
        .size:           2
        .value_kind:     hidden_remainder_z
      - .offset:         3432
        .size:           8
        .value_kind:     hidden_global_offset_x
      - .offset:         3440
        .size:           8
        .value_kind:     hidden_global_offset_y
      - .offset:         3448
        .size:           8
        .value_kind:     hidden_global_offset_z
      - .offset:         3456
        .size:           2
        .value_kind:     hidden_grid_dims
    .group_segment_fixed_size: 2048
    .kernarg_segment_align: 8
    .kernarg_segment_size: 3648
    .language:       OpenCL C
    .language_version:
      - 2
      - 0
    .max_flat_workgroup_size: 512
    .name:           _ZN2at6native12_GLOBAL__N_125multi_tensor_apply_kernelINS1_18TensorListMetadataILi1EEENS0_13LpNormFunctorIN3c108BFloat16ELNS0_8NormTypeE3ENS6_4HalfELi1ELi1ELi0EEEJPfiEEEvT_T0_DpT1_
    .private_segment_fixed_size: 0
    .sgpr_count:     38
    .sgpr_spill_count: 0
    .symbol:         _ZN2at6native12_GLOBAL__N_125multi_tensor_apply_kernelINS1_18TensorListMetadataILi1EEENS0_13LpNormFunctorIN3c108BFloat16ELNS0_8NormTypeE3ENS6_4HalfELi1ELi1ELi0EEEJPfiEEEvT_T0_DpT1_.kd
    .uniform_work_group_size: 1
    .uses_dynamic_stack: false
    .vgpr_count:     18
    .vgpr_spill_count: 0
    .wavefront_size: 64
  - .agpr_count:     0
    .args:
      - .address_space:  global
        .offset:         0
        .size:           8
        .value_kind:     global_buffer
      - .offset:         8
        .size:           3200
        .value_kind:     by_value
      - .offset:         3208
        .size:           4
        .value_kind:     by_value
      - .offset:         3216
        .size:           4
        .value_kind:     hidden_block_count_x
      - .offset:         3220
        .size:           4
        .value_kind:     hidden_block_count_y
      - .offset:         3224
        .size:           4
        .value_kind:     hidden_block_count_z
      - .offset:         3228
        .size:           2
        .value_kind:     hidden_group_size_x
      - .offset:         3230
        .size:           2
        .value_kind:     hidden_group_size_y
      - .offset:         3232
        .size:           2
        .value_kind:     hidden_group_size_z
      - .offset:         3234
        .size:           2
        .value_kind:     hidden_remainder_x
      - .offset:         3236
        .size:           2
        .value_kind:     hidden_remainder_y
      - .offset:         3238
        .size:           2
        .value_kind:     hidden_remainder_z
      - .offset:         3256
        .size:           8
        .value_kind:     hidden_global_offset_x
      - .offset:         3264
        .size:           8
        .value_kind:     hidden_global_offset_y
      - .offset:         3272
        .size:           8
        .value_kind:     hidden_global_offset_z
      - .offset:         3280
        .size:           2
        .value_kind:     hidden_grid_dims
    .group_segment_fixed_size: 2048
    .kernarg_segment_align: 8
    .kernarg_segment_size: 3472
    .language:       OpenCL C
    .language_version:
      - 2
      - 0
    .max_flat_workgroup_size: 1024
    .name:           _ZN2at6native14lpnorm_cleanupIN3c108BFloat16ELNS0_8NormTypeE0ENS2_4HalfELb1EfEEvPKT3_NS0_19TensorListAddressesEi
    .private_segment_fixed_size: 0
    .sgpr_count:     22
    .sgpr_spill_count: 0
    .symbol:         _ZN2at6native14lpnorm_cleanupIN3c108BFloat16ELNS0_8NormTypeE0ENS2_4HalfELb1EfEEvPKT3_NS0_19TensorListAddressesEi.kd
    .uniform_work_group_size: 1
    .uses_dynamic_stack: false
    .vgpr_count:     11
    .vgpr_spill_count: 0
    .wavefront_size: 64
  - .agpr_count:     0
    .args:
      - .address_space:  global
        .offset:         0
        .size:           8
        .value_kind:     global_buffer
      - .offset:         8
        .size:           3200
        .value_kind:     by_value
      - .offset:         3208
        .size:           4
        .value_kind:     by_value
      - .offset:         3216
        .size:           4
        .value_kind:     hidden_block_count_x
      - .offset:         3220
        .size:           4
        .value_kind:     hidden_block_count_y
      - .offset:         3224
        .size:           4
        .value_kind:     hidden_block_count_z
      - .offset:         3228
        .size:           2
        .value_kind:     hidden_group_size_x
      - .offset:         3230
        .size:           2
        .value_kind:     hidden_group_size_y
      - .offset:         3232
        .size:           2
        .value_kind:     hidden_group_size_z
      - .offset:         3234
        .size:           2
        .value_kind:     hidden_remainder_x
      - .offset:         3236
        .size:           2
        .value_kind:     hidden_remainder_y
      - .offset:         3238
        .size:           2
        .value_kind:     hidden_remainder_z
      - .offset:         3256
        .size:           8
        .value_kind:     hidden_global_offset_x
      - .offset:         3264
        .size:           8
        .value_kind:     hidden_global_offset_y
      - .offset:         3272
        .size:           8
        .value_kind:     hidden_global_offset_z
      - .offset:         3280
        .size:           2
        .value_kind:     hidden_grid_dims
    .group_segment_fixed_size: 2048
    .kernarg_segment_align: 8
    .kernarg_segment_size: 3472
    .language:       OpenCL C
    .language_version:
      - 2
      - 0
    .max_flat_workgroup_size: 1024
    .name:           _ZN2at6native14lpnorm_cleanupIN3c108BFloat16ELNS0_8NormTypeE1ENS2_4HalfELb1EfEEvPKT3_NS0_19TensorListAddressesEi
    .private_segment_fixed_size: 0
    .sgpr_count:     22
    .sgpr_spill_count: 0
    .symbol:         _ZN2at6native14lpnorm_cleanupIN3c108BFloat16ELNS0_8NormTypeE1ENS2_4HalfELb1EfEEvPKT3_NS0_19TensorListAddressesEi.kd
    .uniform_work_group_size: 1
    .uses_dynamic_stack: false
    .vgpr_count:     11
    .vgpr_spill_count: 0
    .wavefront_size: 64
  - .agpr_count:     0
    .args:
      - .address_space:  global
        .offset:         0
        .size:           8
        .value_kind:     global_buffer
      - .offset:         8
        .size:           3200
        .value_kind:     by_value
      - .offset:         3208
        .size:           4
        .value_kind:     by_value
      - .offset:         3216
        .size:           4
        .value_kind:     hidden_block_count_x
      - .offset:         3220
        .size:           4
        .value_kind:     hidden_block_count_y
      - .offset:         3224
        .size:           4
        .value_kind:     hidden_block_count_z
      - .offset:         3228
        .size:           2
        .value_kind:     hidden_group_size_x
      - .offset:         3230
        .size:           2
        .value_kind:     hidden_group_size_y
      - .offset:         3232
        .size:           2
        .value_kind:     hidden_group_size_z
      - .offset:         3234
        .size:           2
        .value_kind:     hidden_remainder_x
      - .offset:         3236
        .size:           2
        .value_kind:     hidden_remainder_y
      - .offset:         3238
        .size:           2
        .value_kind:     hidden_remainder_z
      - .offset:         3256
        .size:           8
        .value_kind:     hidden_global_offset_x
      - .offset:         3264
        .size:           8
        .value_kind:     hidden_global_offset_y
      - .offset:         3272
        .size:           8
        .value_kind:     hidden_global_offset_z
      - .offset:         3280
        .size:           2
        .value_kind:     hidden_grid_dims
    .group_segment_fixed_size: 2048
    .kernarg_segment_align: 8
    .kernarg_segment_size: 3472
    .language:       OpenCL C
    .language_version:
      - 2
      - 0
    .max_flat_workgroup_size: 1024
    .name:           _ZN2at6native14lpnorm_cleanupIN3c108BFloat16ELNS0_8NormTypeE2ENS2_4HalfELb1EfEEvPKT3_NS0_19TensorListAddressesEi
    .private_segment_fixed_size: 0
    .sgpr_count:     22
    .sgpr_spill_count: 0
    .symbol:         _ZN2at6native14lpnorm_cleanupIN3c108BFloat16ELNS0_8NormTypeE2ENS2_4HalfELb1EfEEvPKT3_NS0_19TensorListAddressesEi.kd
    .uniform_work_group_size: 1
    .uses_dynamic_stack: false
    .vgpr_count:     11
    .vgpr_spill_count: 0
    .wavefront_size: 64
  - .agpr_count:     0
    .args:
      - .address_space:  global
        .offset:         0
        .size:           8
        .value_kind:     global_buffer
      - .offset:         8
        .size:           3200
        .value_kind:     by_value
      - .offset:         3208
        .size:           4
        .value_kind:     by_value
      - .offset:         3216
        .size:           4
        .value_kind:     hidden_block_count_x
      - .offset:         3220
        .size:           4
        .value_kind:     hidden_block_count_y
      - .offset:         3224
        .size:           4
        .value_kind:     hidden_block_count_z
      - .offset:         3228
        .size:           2
        .value_kind:     hidden_group_size_x
      - .offset:         3230
        .size:           2
        .value_kind:     hidden_group_size_y
      - .offset:         3232
        .size:           2
        .value_kind:     hidden_group_size_z
      - .offset:         3234
        .size:           2
        .value_kind:     hidden_remainder_x
      - .offset:         3236
        .size:           2
        .value_kind:     hidden_remainder_y
      - .offset:         3238
        .size:           2
        .value_kind:     hidden_remainder_z
      - .offset:         3256
        .size:           8
        .value_kind:     hidden_global_offset_x
      - .offset:         3264
        .size:           8
        .value_kind:     hidden_global_offset_y
      - .offset:         3272
        .size:           8
        .value_kind:     hidden_global_offset_z
      - .offset:         3280
        .size:           2
        .value_kind:     hidden_grid_dims
    .group_segment_fixed_size: 2048
    .kernarg_segment_align: 8
    .kernarg_segment_size: 3472
    .language:       OpenCL C
    .language_version:
      - 2
      - 0
    .max_flat_workgroup_size: 1024
    .name:           _ZN2at6native14lpnorm_cleanupIN3c108BFloat16ELNS0_8NormTypeE3ENS2_4HalfELb1EfEEvPKT3_NS0_19TensorListAddressesEi
    .private_segment_fixed_size: 0
    .sgpr_count:     24
    .sgpr_spill_count: 0
    .symbol:         _ZN2at6native14lpnorm_cleanupIN3c108BFloat16ELNS0_8NormTypeE3ENS2_4HalfELb1EfEEvPKT3_NS0_19TensorListAddressesEi.kd
    .uniform_work_group_size: 1
    .uses_dynamic_stack: false
    .vgpr_count:     11
    .vgpr_spill_count: 0
    .wavefront_size: 64
  - .agpr_count:     0
    .args:
      - .offset:         0
        .size:           3368
        .value_kind:     by_value
      - .offset:         3368
        .size:           1
        .value_kind:     by_value
      - .address_space:  global
        .offset:         3376
        .size:           8
        .value_kind:     global_buffer
      - .offset:         3384
        .size:           4
        .value_kind:     by_value
      - .offset:         3392
        .size:           4
        .value_kind:     hidden_block_count_x
      - .offset:         3396
        .size:           4
        .value_kind:     hidden_block_count_y
      - .offset:         3400
        .size:           4
        .value_kind:     hidden_block_count_z
      - .offset:         3404
        .size:           2
        .value_kind:     hidden_group_size_x
      - .offset:         3406
        .size:           2
        .value_kind:     hidden_group_size_y
      - .offset:         3408
        .size:           2
        .value_kind:     hidden_group_size_z
      - .offset:         3410
        .size:           2
        .value_kind:     hidden_remainder_x
      - .offset:         3412
        .size:           2
        .value_kind:     hidden_remainder_y
      - .offset:         3414
        .size:           2
        .value_kind:     hidden_remainder_z
      - .offset:         3432
        .size:           8
        .value_kind:     hidden_global_offset_x
      - .offset:         3440
        .size:           8
        .value_kind:     hidden_global_offset_y
      - .offset:         3448
        .size:           8
        .value_kind:     hidden_global_offset_z
      - .offset:         3456
        .size:           2
        .value_kind:     hidden_grid_dims
    .group_segment_fixed_size: 2048
    .kernarg_segment_align: 8
    .kernarg_segment_size: 3648
    .language:       OpenCL C
    .language_version:
      - 2
      - 0
    .max_flat_workgroup_size: 512
    .name:           _ZN2at6native12_GLOBAL__N_125multi_tensor_apply_kernelINS1_18TensorListMetadataILi1EEENS0_13LpNormFunctorIN3c108BFloat16ELNS0_8NormTypeE0ES7_Li1ELi1ELi0EEEJPfiEEEvT_T0_DpT1_
    .private_segment_fixed_size: 0
    .sgpr_count:     26
    .sgpr_spill_count: 0
    .symbol:         _ZN2at6native12_GLOBAL__N_125multi_tensor_apply_kernelINS1_18TensorListMetadataILi1EEENS0_13LpNormFunctorIN3c108BFloat16ELNS0_8NormTypeE0ES7_Li1ELi1ELi0EEEJPfiEEEvT_T0_DpT1_.kd
    .uniform_work_group_size: 1
    .uses_dynamic_stack: false
    .vgpr_count:     20
    .vgpr_spill_count: 0
    .wavefront_size: 64
  - .agpr_count:     0
    .args:
      - .offset:         0
        .size:           3368
        .value_kind:     by_value
      - .offset:         3368
        .size:           1
        .value_kind:     by_value
      - .address_space:  global
        .offset:         3376
        .size:           8
        .value_kind:     global_buffer
      - .offset:         3384
        .size:           4
        .value_kind:     by_value
      - .offset:         3392
        .size:           4
        .value_kind:     hidden_block_count_x
      - .offset:         3396
        .size:           4
        .value_kind:     hidden_block_count_y
      - .offset:         3400
        .size:           4
        .value_kind:     hidden_block_count_z
      - .offset:         3404
        .size:           2
        .value_kind:     hidden_group_size_x
      - .offset:         3406
        .size:           2
        .value_kind:     hidden_group_size_y
      - .offset:         3408
        .size:           2
        .value_kind:     hidden_group_size_z
      - .offset:         3410
        .size:           2
        .value_kind:     hidden_remainder_x
      - .offset:         3412
        .size:           2
        .value_kind:     hidden_remainder_y
      - .offset:         3414
        .size:           2
        .value_kind:     hidden_remainder_z
      - .offset:         3432
        .size:           8
        .value_kind:     hidden_global_offset_x
      - .offset:         3440
        .size:           8
        .value_kind:     hidden_global_offset_y
      - .offset:         3448
        .size:           8
        .value_kind:     hidden_global_offset_z
      - .offset:         3456
        .size:           2
        .value_kind:     hidden_grid_dims
    .group_segment_fixed_size: 2048
    .kernarg_segment_align: 8
    .kernarg_segment_size: 3648
    .language:       OpenCL C
    .language_version:
      - 2
      - 0
    .max_flat_workgroup_size: 512
    .name:           _ZN2at6native12_GLOBAL__N_125multi_tensor_apply_kernelINS1_18TensorListMetadataILi1EEENS0_13LpNormFunctorIN3c108BFloat16ELNS0_8NormTypeE1ES7_Li1ELi1ELi0EEEJPfiEEEvT_T0_DpT1_
    .private_segment_fixed_size: 0
    .sgpr_count:     26
    .sgpr_spill_count: 0
    .symbol:         _ZN2at6native12_GLOBAL__N_125multi_tensor_apply_kernelINS1_18TensorListMetadataILi1EEENS0_13LpNormFunctorIN3c108BFloat16ELNS0_8NormTypeE1ES7_Li1ELi1ELi0EEEJPfiEEEvT_T0_DpT1_.kd
    .uniform_work_group_size: 1
    .uses_dynamic_stack: false
    .vgpr_count:     18
    .vgpr_spill_count: 0
    .wavefront_size: 64
  - .agpr_count:     0
    .args:
      - .offset:         0
        .size:           3368
        .value_kind:     by_value
      - .offset:         3368
        .size:           1
        .value_kind:     by_value
      - .address_space:  global
        .offset:         3376
        .size:           8
        .value_kind:     global_buffer
      - .offset:         3384
        .size:           4
        .value_kind:     by_value
      - .offset:         3392
        .size:           4
        .value_kind:     hidden_block_count_x
      - .offset:         3396
        .size:           4
        .value_kind:     hidden_block_count_y
      - .offset:         3400
        .size:           4
        .value_kind:     hidden_block_count_z
      - .offset:         3404
        .size:           2
        .value_kind:     hidden_group_size_x
      - .offset:         3406
        .size:           2
        .value_kind:     hidden_group_size_y
      - .offset:         3408
        .size:           2
        .value_kind:     hidden_group_size_z
      - .offset:         3410
        .size:           2
        .value_kind:     hidden_remainder_x
      - .offset:         3412
        .size:           2
        .value_kind:     hidden_remainder_y
      - .offset:         3414
        .size:           2
        .value_kind:     hidden_remainder_z
      - .offset:         3432
        .size:           8
        .value_kind:     hidden_global_offset_x
      - .offset:         3440
        .size:           8
        .value_kind:     hidden_global_offset_y
      - .offset:         3448
        .size:           8
        .value_kind:     hidden_global_offset_z
      - .offset:         3456
        .size:           2
        .value_kind:     hidden_grid_dims
    .group_segment_fixed_size: 2048
    .kernarg_segment_align: 8
    .kernarg_segment_size: 3648
    .language:       OpenCL C
    .language_version:
      - 2
      - 0
    .max_flat_workgroup_size: 512
    .name:           _ZN2at6native12_GLOBAL__N_125multi_tensor_apply_kernelINS1_18TensorListMetadataILi1EEENS0_13LpNormFunctorIN3c108BFloat16ELNS0_8NormTypeE2ES7_Li1ELi1ELi0EEEJPfiEEEvT_T0_DpT1_
    .private_segment_fixed_size: 0
    .sgpr_count:     26
    .sgpr_spill_count: 0
    .symbol:         _ZN2at6native12_GLOBAL__N_125multi_tensor_apply_kernelINS1_18TensorListMetadataILi1EEENS0_13LpNormFunctorIN3c108BFloat16ELNS0_8NormTypeE2ES7_Li1ELi1ELi0EEEJPfiEEEvT_T0_DpT1_.kd
    .uniform_work_group_size: 1
    .uses_dynamic_stack: false
    .vgpr_count:     18
    .vgpr_spill_count: 0
    .wavefront_size: 64
  - .agpr_count:     0
    .args:
      - .offset:         0
        .size:           3368
        .value_kind:     by_value
      - .offset:         3368
        .size:           1
        .value_kind:     by_value
      - .address_space:  global
        .offset:         3376
        .size:           8
        .value_kind:     global_buffer
      - .offset:         3384
        .size:           4
        .value_kind:     by_value
      - .offset:         3392
        .size:           4
        .value_kind:     hidden_block_count_x
      - .offset:         3396
        .size:           4
        .value_kind:     hidden_block_count_y
      - .offset:         3400
        .size:           4
        .value_kind:     hidden_block_count_z
      - .offset:         3404
        .size:           2
        .value_kind:     hidden_group_size_x
      - .offset:         3406
        .size:           2
        .value_kind:     hidden_group_size_y
      - .offset:         3408
        .size:           2
        .value_kind:     hidden_group_size_z
      - .offset:         3410
        .size:           2
        .value_kind:     hidden_remainder_x
      - .offset:         3412
        .size:           2
        .value_kind:     hidden_remainder_y
      - .offset:         3414
        .size:           2
        .value_kind:     hidden_remainder_z
      - .offset:         3432
        .size:           8
        .value_kind:     hidden_global_offset_x
      - .offset:         3440
        .size:           8
        .value_kind:     hidden_global_offset_y
      - .offset:         3448
        .size:           8
        .value_kind:     hidden_global_offset_z
      - .offset:         3456
        .size:           2
        .value_kind:     hidden_grid_dims
    .group_segment_fixed_size: 2048
    .kernarg_segment_align: 8
    .kernarg_segment_size: 3648
    .language:       OpenCL C
    .language_version:
      - 2
      - 0
    .max_flat_workgroup_size: 512
    .name:           _ZN2at6native12_GLOBAL__N_125multi_tensor_apply_kernelINS1_18TensorListMetadataILi1EEENS0_13LpNormFunctorIN3c108BFloat16ELNS0_8NormTypeE3ES7_Li1ELi1ELi0EEEJPfiEEEvT_T0_DpT1_
    .private_segment_fixed_size: 0
    .sgpr_count:     38
    .sgpr_spill_count: 0
    .symbol:         _ZN2at6native12_GLOBAL__N_125multi_tensor_apply_kernelINS1_18TensorListMetadataILi1EEENS0_13LpNormFunctorIN3c108BFloat16ELNS0_8NormTypeE3ES7_Li1ELi1ELi0EEEJPfiEEEvT_T0_DpT1_.kd
    .uniform_work_group_size: 1
    .uses_dynamic_stack: false
    .vgpr_count:     18
    .vgpr_spill_count: 0
    .wavefront_size: 64
  - .agpr_count:     0
    .args:
      - .address_space:  global
        .offset:         0
        .size:           8
        .value_kind:     global_buffer
      - .offset:         8
        .size:           3200
        .value_kind:     by_value
      - .offset:         3208
        .size:           4
        .value_kind:     by_value
      - .offset:         3216
        .size:           4
        .value_kind:     hidden_block_count_x
      - .offset:         3220
        .size:           4
        .value_kind:     hidden_block_count_y
      - .offset:         3224
        .size:           4
        .value_kind:     hidden_block_count_z
      - .offset:         3228
        .size:           2
        .value_kind:     hidden_group_size_x
      - .offset:         3230
        .size:           2
        .value_kind:     hidden_group_size_y
      - .offset:         3232
        .size:           2
        .value_kind:     hidden_group_size_z
      - .offset:         3234
        .size:           2
        .value_kind:     hidden_remainder_x
      - .offset:         3236
        .size:           2
        .value_kind:     hidden_remainder_y
      - .offset:         3238
        .size:           2
        .value_kind:     hidden_remainder_z
      - .offset:         3256
        .size:           8
        .value_kind:     hidden_global_offset_x
      - .offset:         3264
        .size:           8
        .value_kind:     hidden_global_offset_y
      - .offset:         3272
        .size:           8
        .value_kind:     hidden_global_offset_z
      - .offset:         3280
        .size:           2
        .value_kind:     hidden_grid_dims
    .group_segment_fixed_size: 2048
    .kernarg_segment_align: 8
    .kernarg_segment_size: 3472
    .language:       OpenCL C
    .language_version:
      - 2
      - 0
    .max_flat_workgroup_size: 1024
    .name:           _ZN2at6native14lpnorm_cleanupIN3c108BFloat16ELNS0_8NormTypeE0ES3_Lb1EfEEvPKT3_NS0_19TensorListAddressesEi
    .private_segment_fixed_size: 0
    .sgpr_count:     22
    .sgpr_spill_count: 0
    .symbol:         _ZN2at6native14lpnorm_cleanupIN3c108BFloat16ELNS0_8NormTypeE0ES3_Lb1EfEEvPKT3_NS0_19TensorListAddressesEi.kd
    .uniform_work_group_size: 1
    .uses_dynamic_stack: false
    .vgpr_count:     11
    .vgpr_spill_count: 0
    .wavefront_size: 64
  - .agpr_count:     0
    .args:
      - .address_space:  global
        .offset:         0
        .size:           8
        .value_kind:     global_buffer
      - .offset:         8
        .size:           3200
        .value_kind:     by_value
      - .offset:         3208
        .size:           4
        .value_kind:     by_value
      - .offset:         3216
        .size:           4
        .value_kind:     hidden_block_count_x
      - .offset:         3220
        .size:           4
        .value_kind:     hidden_block_count_y
      - .offset:         3224
        .size:           4
        .value_kind:     hidden_block_count_z
      - .offset:         3228
        .size:           2
        .value_kind:     hidden_group_size_x
      - .offset:         3230
        .size:           2
        .value_kind:     hidden_group_size_y
      - .offset:         3232
        .size:           2
        .value_kind:     hidden_group_size_z
      - .offset:         3234
        .size:           2
        .value_kind:     hidden_remainder_x
      - .offset:         3236
        .size:           2
        .value_kind:     hidden_remainder_y
      - .offset:         3238
        .size:           2
        .value_kind:     hidden_remainder_z
      - .offset:         3256
        .size:           8
        .value_kind:     hidden_global_offset_x
      - .offset:         3264
        .size:           8
        .value_kind:     hidden_global_offset_y
      - .offset:         3272
        .size:           8
        .value_kind:     hidden_global_offset_z
      - .offset:         3280
        .size:           2
        .value_kind:     hidden_grid_dims
    .group_segment_fixed_size: 2048
    .kernarg_segment_align: 8
    .kernarg_segment_size: 3472
    .language:       OpenCL C
    .language_version:
      - 2
      - 0
    .max_flat_workgroup_size: 1024
    .name:           _ZN2at6native14lpnorm_cleanupIN3c108BFloat16ELNS0_8NormTypeE1ES3_Lb1EfEEvPKT3_NS0_19TensorListAddressesEi
    .private_segment_fixed_size: 0
    .sgpr_count:     22
    .sgpr_spill_count: 0
    .symbol:         _ZN2at6native14lpnorm_cleanupIN3c108BFloat16ELNS0_8NormTypeE1ES3_Lb1EfEEvPKT3_NS0_19TensorListAddressesEi.kd
    .uniform_work_group_size: 1
    .uses_dynamic_stack: false
    .vgpr_count:     11
    .vgpr_spill_count: 0
    .wavefront_size: 64
  - .agpr_count:     0
    .args:
      - .address_space:  global
        .offset:         0
        .size:           8
        .value_kind:     global_buffer
      - .offset:         8
        .size:           3200
        .value_kind:     by_value
      - .offset:         3208
        .size:           4
        .value_kind:     by_value
      - .offset:         3216
        .size:           4
        .value_kind:     hidden_block_count_x
      - .offset:         3220
        .size:           4
        .value_kind:     hidden_block_count_y
      - .offset:         3224
        .size:           4
        .value_kind:     hidden_block_count_z
      - .offset:         3228
        .size:           2
        .value_kind:     hidden_group_size_x
      - .offset:         3230
        .size:           2
        .value_kind:     hidden_group_size_y
      - .offset:         3232
        .size:           2
        .value_kind:     hidden_group_size_z
      - .offset:         3234
        .size:           2
        .value_kind:     hidden_remainder_x
      - .offset:         3236
        .size:           2
        .value_kind:     hidden_remainder_y
      - .offset:         3238
        .size:           2
        .value_kind:     hidden_remainder_z
      - .offset:         3256
        .size:           8
        .value_kind:     hidden_global_offset_x
      - .offset:         3264
        .size:           8
        .value_kind:     hidden_global_offset_y
      - .offset:         3272
        .size:           8
        .value_kind:     hidden_global_offset_z
      - .offset:         3280
        .size:           2
        .value_kind:     hidden_grid_dims
    .group_segment_fixed_size: 2048
    .kernarg_segment_align: 8
    .kernarg_segment_size: 3472
    .language:       OpenCL C
    .language_version:
      - 2
      - 0
    .max_flat_workgroup_size: 1024
    .name:           _ZN2at6native14lpnorm_cleanupIN3c108BFloat16ELNS0_8NormTypeE2ES3_Lb1EfEEvPKT3_NS0_19TensorListAddressesEi
    .private_segment_fixed_size: 0
    .sgpr_count:     22
    .sgpr_spill_count: 0
    .symbol:         _ZN2at6native14lpnorm_cleanupIN3c108BFloat16ELNS0_8NormTypeE2ES3_Lb1EfEEvPKT3_NS0_19TensorListAddressesEi.kd
    .uniform_work_group_size: 1
    .uses_dynamic_stack: false
    .vgpr_count:     11
    .vgpr_spill_count: 0
    .wavefront_size: 64
  - .agpr_count:     0
    .args:
      - .address_space:  global
        .offset:         0
        .size:           8
        .value_kind:     global_buffer
      - .offset:         8
        .size:           3200
        .value_kind:     by_value
      - .offset:         3208
        .size:           4
        .value_kind:     by_value
      - .offset:         3216
        .size:           4
        .value_kind:     hidden_block_count_x
      - .offset:         3220
        .size:           4
        .value_kind:     hidden_block_count_y
      - .offset:         3224
        .size:           4
        .value_kind:     hidden_block_count_z
      - .offset:         3228
        .size:           2
        .value_kind:     hidden_group_size_x
      - .offset:         3230
        .size:           2
        .value_kind:     hidden_group_size_y
      - .offset:         3232
        .size:           2
        .value_kind:     hidden_group_size_z
      - .offset:         3234
        .size:           2
        .value_kind:     hidden_remainder_x
      - .offset:         3236
        .size:           2
        .value_kind:     hidden_remainder_y
      - .offset:         3238
        .size:           2
        .value_kind:     hidden_remainder_z
      - .offset:         3256
        .size:           8
        .value_kind:     hidden_global_offset_x
      - .offset:         3264
        .size:           8
        .value_kind:     hidden_global_offset_y
      - .offset:         3272
        .size:           8
        .value_kind:     hidden_global_offset_z
      - .offset:         3280
        .size:           2
        .value_kind:     hidden_grid_dims
    .group_segment_fixed_size: 2048
    .kernarg_segment_align: 8
    .kernarg_segment_size: 3472
    .language:       OpenCL C
    .language_version:
      - 2
      - 0
    .max_flat_workgroup_size: 1024
    .name:           _ZN2at6native14lpnorm_cleanupIN3c108BFloat16ELNS0_8NormTypeE3ES3_Lb1EfEEvPKT3_NS0_19TensorListAddressesEi
    .private_segment_fixed_size: 0
    .sgpr_count:     24
    .sgpr_spill_count: 0
    .symbol:         _ZN2at6native14lpnorm_cleanupIN3c108BFloat16ELNS0_8NormTypeE3ES3_Lb1EfEEvPKT3_NS0_19TensorListAddressesEi.kd
    .uniform_work_group_size: 1
    .uses_dynamic_stack: false
    .vgpr_count:     11
    .vgpr_spill_count: 0
    .wavefront_size: 64
  - .agpr_count:     0
    .args:
      - .address_space:  global
        .offset:         0
        .size:           8
        .value_kind:     global_buffer
      - .offset:         8
        .size:           3200
        .value_kind:     by_value
      - .offset:         3208
        .size:           4
        .value_kind:     by_value
      - .offset:         3216
        .size:           4
        .value_kind:     hidden_block_count_x
      - .offset:         3220
        .size:           4
        .value_kind:     hidden_block_count_y
      - .offset:         3224
        .size:           4
        .value_kind:     hidden_block_count_z
      - .offset:         3228
        .size:           2
        .value_kind:     hidden_group_size_x
      - .offset:         3230
        .size:           2
        .value_kind:     hidden_group_size_y
      - .offset:         3232
        .size:           2
        .value_kind:     hidden_group_size_z
      - .offset:         3234
        .size:           2
        .value_kind:     hidden_remainder_x
      - .offset:         3236
        .size:           2
        .value_kind:     hidden_remainder_y
      - .offset:         3238
        .size:           2
        .value_kind:     hidden_remainder_z
      - .offset:         3256
        .size:           8
        .value_kind:     hidden_global_offset_x
      - .offset:         3264
        .size:           8
        .value_kind:     hidden_global_offset_y
      - .offset:         3272
        .size:           8
        .value_kind:     hidden_global_offset_z
      - .offset:         3280
        .size:           2
        .value_kind:     hidden_grid_dims
    .group_segment_fixed_size: 4096
    .kernarg_segment_align: 8
    .kernarg_segment_size: 3472
    .language:       OpenCL C
    .language_version:
      - 2
      - 0
    .max_flat_workgroup_size: 1024
    .name:           _ZN2at6native14lpnorm_cleanupIdLNS0_8NormTypeE0EdLb0EdEEvPKT3_NS0_19TensorListAddressesEi
    .private_segment_fixed_size: 0
    .sgpr_count:     22
    .sgpr_spill_count: 0
    .symbol:         _ZN2at6native14lpnorm_cleanupIdLNS0_8NormTypeE0EdLb0EdEEvPKT3_NS0_19TensorListAddressesEi.kd
    .uniform_work_group_size: 1
    .uses_dynamic_stack: false
    .vgpr_count:     13
    .vgpr_spill_count: 0
    .wavefront_size: 64
  - .agpr_count:     0
    .args:
      - .address_space:  global
        .offset:         0
        .size:           8
        .value_kind:     global_buffer
      - .offset:         8
        .size:           3200
        .value_kind:     by_value
      - .offset:         3208
        .size:           4
        .value_kind:     by_value
      - .offset:         3216
        .size:           4
        .value_kind:     hidden_block_count_x
      - .offset:         3220
        .size:           4
        .value_kind:     hidden_block_count_y
      - .offset:         3224
        .size:           4
        .value_kind:     hidden_block_count_z
      - .offset:         3228
        .size:           2
        .value_kind:     hidden_group_size_x
      - .offset:         3230
        .size:           2
        .value_kind:     hidden_group_size_y
      - .offset:         3232
        .size:           2
        .value_kind:     hidden_group_size_z
      - .offset:         3234
        .size:           2
        .value_kind:     hidden_remainder_x
      - .offset:         3236
        .size:           2
        .value_kind:     hidden_remainder_y
      - .offset:         3238
        .size:           2
        .value_kind:     hidden_remainder_z
      - .offset:         3256
        .size:           8
        .value_kind:     hidden_global_offset_x
      - .offset:         3264
        .size:           8
        .value_kind:     hidden_global_offset_y
      - .offset:         3272
        .size:           8
        .value_kind:     hidden_global_offset_z
      - .offset:         3280
        .size:           2
        .value_kind:     hidden_grid_dims
    .group_segment_fixed_size: 4096
    .kernarg_segment_align: 8
    .kernarg_segment_size: 3472
    .language:       OpenCL C
    .language_version:
      - 2
      - 0
    .max_flat_workgroup_size: 1024
    .name:           _ZN2at6native14lpnorm_cleanupIdLNS0_8NormTypeE1EdLb0EdEEvPKT3_NS0_19TensorListAddressesEi
    .private_segment_fixed_size: 0
    .sgpr_count:     22
    .sgpr_spill_count: 0
    .symbol:         _ZN2at6native14lpnorm_cleanupIdLNS0_8NormTypeE1EdLb0EdEEvPKT3_NS0_19TensorListAddressesEi.kd
    .uniform_work_group_size: 1
    .uses_dynamic_stack: false
    .vgpr_count:     13
    .vgpr_spill_count: 0
    .wavefront_size: 64
  - .agpr_count:     0
    .args:
      - .address_space:  global
        .offset:         0
        .size:           8
        .value_kind:     global_buffer
      - .offset:         8
        .size:           3200
        .value_kind:     by_value
      - .offset:         3208
        .size:           4
        .value_kind:     by_value
      - .offset:         3216
        .size:           4
        .value_kind:     hidden_block_count_x
      - .offset:         3220
        .size:           4
        .value_kind:     hidden_block_count_y
      - .offset:         3224
        .size:           4
        .value_kind:     hidden_block_count_z
      - .offset:         3228
        .size:           2
        .value_kind:     hidden_group_size_x
      - .offset:         3230
        .size:           2
        .value_kind:     hidden_group_size_y
      - .offset:         3232
        .size:           2
        .value_kind:     hidden_group_size_z
      - .offset:         3234
        .size:           2
        .value_kind:     hidden_remainder_x
      - .offset:         3236
        .size:           2
        .value_kind:     hidden_remainder_y
      - .offset:         3238
        .size:           2
        .value_kind:     hidden_remainder_z
      - .offset:         3256
        .size:           8
        .value_kind:     hidden_global_offset_x
      - .offset:         3264
        .size:           8
        .value_kind:     hidden_global_offset_y
      - .offset:         3272
        .size:           8
        .value_kind:     hidden_global_offset_z
      - .offset:         3280
        .size:           2
        .value_kind:     hidden_grid_dims
    .group_segment_fixed_size: 4096
    .kernarg_segment_align: 8
    .kernarg_segment_size: 3472
    .language:       OpenCL C
    .language_version:
      - 2
      - 0
    .max_flat_workgroup_size: 1024
    .name:           _ZN2at6native14lpnorm_cleanupIdLNS0_8NormTypeE2EdLb0EdEEvPKT3_NS0_19TensorListAddressesEi
    .private_segment_fixed_size: 0
    .sgpr_count:     22
    .sgpr_spill_count: 0
    .symbol:         _ZN2at6native14lpnorm_cleanupIdLNS0_8NormTypeE2EdLb0EdEEvPKT3_NS0_19TensorListAddressesEi.kd
    .uniform_work_group_size: 1
    .uses_dynamic_stack: false
    .vgpr_count:     13
    .vgpr_spill_count: 0
    .wavefront_size: 64
  - .agpr_count:     0
    .args:
      - .address_space:  global
        .offset:         0
        .size:           8
        .value_kind:     global_buffer
      - .offset:         8
        .size:           3200
        .value_kind:     by_value
      - .offset:         3208
        .size:           4
        .value_kind:     by_value
      - .offset:         3216
        .size:           4
        .value_kind:     hidden_block_count_x
      - .offset:         3220
        .size:           4
        .value_kind:     hidden_block_count_y
      - .offset:         3224
        .size:           4
        .value_kind:     hidden_block_count_z
      - .offset:         3228
        .size:           2
        .value_kind:     hidden_group_size_x
      - .offset:         3230
        .size:           2
        .value_kind:     hidden_group_size_y
      - .offset:         3232
        .size:           2
        .value_kind:     hidden_group_size_z
      - .offset:         3234
        .size:           2
        .value_kind:     hidden_remainder_x
      - .offset:         3236
        .size:           2
        .value_kind:     hidden_remainder_y
      - .offset:         3238
        .size:           2
        .value_kind:     hidden_remainder_z
      - .offset:         3256
        .size:           8
        .value_kind:     hidden_global_offset_x
      - .offset:         3264
        .size:           8
        .value_kind:     hidden_global_offset_y
      - .offset:         3272
        .size:           8
        .value_kind:     hidden_global_offset_z
      - .offset:         3280
        .size:           2
        .value_kind:     hidden_grid_dims
    .group_segment_fixed_size: 2048
    .kernarg_segment_align: 8
    .kernarg_segment_size: 3472
    .language:       OpenCL C
    .language_version:
      - 2
      - 0
    .max_flat_workgroup_size: 1024
    .name:           _ZN2at6native14lpnorm_cleanupIdLNS0_8NormTypeE0EfLb0EfEEvPKT3_NS0_19TensorListAddressesEi
    .private_segment_fixed_size: 0
    .sgpr_count:     22
    .sgpr_spill_count: 0
    .symbol:         _ZN2at6native14lpnorm_cleanupIdLNS0_8NormTypeE0EfLb0EfEEvPKT3_NS0_19TensorListAddressesEi.kd
    .uniform_work_group_size: 1
    .uses_dynamic_stack: false
    .vgpr_count:     11
    .vgpr_spill_count: 0
    .wavefront_size: 64
  - .agpr_count:     0
    .args:
      - .address_space:  global
        .offset:         0
        .size:           8
        .value_kind:     global_buffer
      - .offset:         8
        .size:           3200
        .value_kind:     by_value
      - .offset:         3208
        .size:           4
        .value_kind:     by_value
      - .offset:         3216
        .size:           4
        .value_kind:     hidden_block_count_x
      - .offset:         3220
        .size:           4
        .value_kind:     hidden_block_count_y
      - .offset:         3224
        .size:           4
        .value_kind:     hidden_block_count_z
      - .offset:         3228
        .size:           2
        .value_kind:     hidden_group_size_x
      - .offset:         3230
        .size:           2
        .value_kind:     hidden_group_size_y
      - .offset:         3232
        .size:           2
        .value_kind:     hidden_group_size_z
      - .offset:         3234
        .size:           2
        .value_kind:     hidden_remainder_x
      - .offset:         3236
        .size:           2
        .value_kind:     hidden_remainder_y
      - .offset:         3238
        .size:           2
        .value_kind:     hidden_remainder_z
      - .offset:         3256
        .size:           8
        .value_kind:     hidden_global_offset_x
      - .offset:         3264
        .size:           8
        .value_kind:     hidden_global_offset_y
      - .offset:         3272
        .size:           8
        .value_kind:     hidden_global_offset_z
      - .offset:         3280
        .size:           2
        .value_kind:     hidden_grid_dims
    .group_segment_fixed_size: 2048
    .kernarg_segment_align: 8
    .kernarg_segment_size: 3472
    .language:       OpenCL C
    .language_version:
      - 2
      - 0
    .max_flat_workgroup_size: 1024
    .name:           _ZN2at6native14lpnorm_cleanupIdLNS0_8NormTypeE1EfLb0EfEEvPKT3_NS0_19TensorListAddressesEi
    .private_segment_fixed_size: 0
    .sgpr_count:     22
    .sgpr_spill_count: 0
    .symbol:         _ZN2at6native14lpnorm_cleanupIdLNS0_8NormTypeE1EfLb0EfEEvPKT3_NS0_19TensorListAddressesEi.kd
    .uniform_work_group_size: 1
    .uses_dynamic_stack: false
    .vgpr_count:     11
    .vgpr_spill_count: 0
    .wavefront_size: 64
  - .agpr_count:     0
    .args:
      - .address_space:  global
        .offset:         0
        .size:           8
        .value_kind:     global_buffer
      - .offset:         8
        .size:           3200
        .value_kind:     by_value
      - .offset:         3208
        .size:           4
        .value_kind:     by_value
      - .offset:         3216
        .size:           4
        .value_kind:     hidden_block_count_x
      - .offset:         3220
        .size:           4
        .value_kind:     hidden_block_count_y
      - .offset:         3224
        .size:           4
        .value_kind:     hidden_block_count_z
      - .offset:         3228
        .size:           2
        .value_kind:     hidden_group_size_x
      - .offset:         3230
        .size:           2
        .value_kind:     hidden_group_size_y
      - .offset:         3232
        .size:           2
        .value_kind:     hidden_group_size_z
      - .offset:         3234
        .size:           2
        .value_kind:     hidden_remainder_x
      - .offset:         3236
        .size:           2
        .value_kind:     hidden_remainder_y
      - .offset:         3238
        .size:           2
        .value_kind:     hidden_remainder_z
      - .offset:         3256
        .size:           8
        .value_kind:     hidden_global_offset_x
      - .offset:         3264
        .size:           8
        .value_kind:     hidden_global_offset_y
      - .offset:         3272
        .size:           8
        .value_kind:     hidden_global_offset_z
      - .offset:         3280
        .size:           2
        .value_kind:     hidden_grid_dims
    .group_segment_fixed_size: 2048
    .kernarg_segment_align: 8
    .kernarg_segment_size: 3472
    .language:       OpenCL C
    .language_version:
      - 2
      - 0
    .max_flat_workgroup_size: 1024
    .name:           _ZN2at6native14lpnorm_cleanupIdLNS0_8NormTypeE2EfLb0EfEEvPKT3_NS0_19TensorListAddressesEi
    .private_segment_fixed_size: 0
    .sgpr_count:     22
    .sgpr_spill_count: 0
    .symbol:         _ZN2at6native14lpnorm_cleanupIdLNS0_8NormTypeE2EfLb0EfEEvPKT3_NS0_19TensorListAddressesEi.kd
    .uniform_work_group_size: 1
    .uses_dynamic_stack: false
    .vgpr_count:     11
    .vgpr_spill_count: 0
    .wavefront_size: 64
  - .agpr_count:     0
    .args:
      - .address_space:  global
        .offset:         0
        .size:           8
        .value_kind:     global_buffer
      - .offset:         8
        .size:           3200
        .value_kind:     by_value
      - .offset:         3208
        .size:           4
        .value_kind:     by_value
      - .offset:         3216
        .size:           4
        .value_kind:     hidden_block_count_x
      - .offset:         3220
        .size:           4
        .value_kind:     hidden_block_count_y
      - .offset:         3224
        .size:           4
        .value_kind:     hidden_block_count_z
      - .offset:         3228
        .size:           2
        .value_kind:     hidden_group_size_x
      - .offset:         3230
        .size:           2
        .value_kind:     hidden_group_size_y
      - .offset:         3232
        .size:           2
        .value_kind:     hidden_group_size_z
      - .offset:         3234
        .size:           2
        .value_kind:     hidden_remainder_x
      - .offset:         3236
        .size:           2
        .value_kind:     hidden_remainder_y
      - .offset:         3238
        .size:           2
        .value_kind:     hidden_remainder_z
      - .offset:         3256
        .size:           8
        .value_kind:     hidden_global_offset_x
      - .offset:         3264
        .size:           8
        .value_kind:     hidden_global_offset_y
      - .offset:         3272
        .size:           8
        .value_kind:     hidden_global_offset_z
      - .offset:         3280
        .size:           2
        .value_kind:     hidden_grid_dims
    .group_segment_fixed_size: 2048
    .kernarg_segment_align: 8
    .kernarg_segment_size: 3472
    .language:       OpenCL C
    .language_version:
      - 2
      - 0
    .max_flat_workgroup_size: 1024
    .name:           _ZN2at6native14lpnorm_cleanupIdLNS0_8NormTypeE0EN3c104HalfELb0EfEEvPKT3_NS0_19TensorListAddressesEi
    .private_segment_fixed_size: 0
    .sgpr_count:     22
    .sgpr_spill_count: 0
    .symbol:         _ZN2at6native14lpnorm_cleanupIdLNS0_8NormTypeE0EN3c104HalfELb0EfEEvPKT3_NS0_19TensorListAddressesEi.kd
    .uniform_work_group_size: 1
    .uses_dynamic_stack: false
    .vgpr_count:     11
    .vgpr_spill_count: 0
    .wavefront_size: 64
  - .agpr_count:     0
    .args:
      - .address_space:  global
        .offset:         0
        .size:           8
        .value_kind:     global_buffer
      - .offset:         8
        .size:           3200
        .value_kind:     by_value
      - .offset:         3208
        .size:           4
        .value_kind:     by_value
      - .offset:         3216
        .size:           4
        .value_kind:     hidden_block_count_x
      - .offset:         3220
        .size:           4
        .value_kind:     hidden_block_count_y
      - .offset:         3224
        .size:           4
        .value_kind:     hidden_block_count_z
      - .offset:         3228
        .size:           2
        .value_kind:     hidden_group_size_x
      - .offset:         3230
        .size:           2
        .value_kind:     hidden_group_size_y
      - .offset:         3232
        .size:           2
        .value_kind:     hidden_group_size_z
      - .offset:         3234
        .size:           2
        .value_kind:     hidden_remainder_x
      - .offset:         3236
        .size:           2
        .value_kind:     hidden_remainder_y
      - .offset:         3238
        .size:           2
        .value_kind:     hidden_remainder_z
      - .offset:         3256
        .size:           8
        .value_kind:     hidden_global_offset_x
      - .offset:         3264
        .size:           8
        .value_kind:     hidden_global_offset_y
      - .offset:         3272
        .size:           8
        .value_kind:     hidden_global_offset_z
      - .offset:         3280
        .size:           2
        .value_kind:     hidden_grid_dims
    .group_segment_fixed_size: 2048
    .kernarg_segment_align: 8
    .kernarg_segment_size: 3472
    .language:       OpenCL C
    .language_version:
      - 2
      - 0
    .max_flat_workgroup_size: 1024
    .name:           _ZN2at6native14lpnorm_cleanupIdLNS0_8NormTypeE1EN3c104HalfELb0EfEEvPKT3_NS0_19TensorListAddressesEi
    .private_segment_fixed_size: 0
    .sgpr_count:     22
    .sgpr_spill_count: 0
    .symbol:         _ZN2at6native14lpnorm_cleanupIdLNS0_8NormTypeE1EN3c104HalfELb0EfEEvPKT3_NS0_19TensorListAddressesEi.kd
    .uniform_work_group_size: 1
    .uses_dynamic_stack: false
    .vgpr_count:     11
    .vgpr_spill_count: 0
    .wavefront_size: 64
  - .agpr_count:     0
    .args:
      - .address_space:  global
        .offset:         0
        .size:           8
        .value_kind:     global_buffer
      - .offset:         8
        .size:           3200
        .value_kind:     by_value
      - .offset:         3208
        .size:           4
        .value_kind:     by_value
      - .offset:         3216
        .size:           4
        .value_kind:     hidden_block_count_x
      - .offset:         3220
        .size:           4
        .value_kind:     hidden_block_count_y
      - .offset:         3224
        .size:           4
        .value_kind:     hidden_block_count_z
      - .offset:         3228
        .size:           2
        .value_kind:     hidden_group_size_x
      - .offset:         3230
        .size:           2
        .value_kind:     hidden_group_size_y
      - .offset:         3232
        .size:           2
        .value_kind:     hidden_group_size_z
      - .offset:         3234
        .size:           2
        .value_kind:     hidden_remainder_x
      - .offset:         3236
        .size:           2
        .value_kind:     hidden_remainder_y
      - .offset:         3238
        .size:           2
        .value_kind:     hidden_remainder_z
      - .offset:         3256
        .size:           8
        .value_kind:     hidden_global_offset_x
      - .offset:         3264
        .size:           8
        .value_kind:     hidden_global_offset_y
      - .offset:         3272
        .size:           8
        .value_kind:     hidden_global_offset_z
      - .offset:         3280
        .size:           2
        .value_kind:     hidden_grid_dims
    .group_segment_fixed_size: 2048
    .kernarg_segment_align: 8
    .kernarg_segment_size: 3472
    .language:       OpenCL C
    .language_version:
      - 2
      - 0
    .max_flat_workgroup_size: 1024
    .name:           _ZN2at6native14lpnorm_cleanupIdLNS0_8NormTypeE2EN3c104HalfELb0EfEEvPKT3_NS0_19TensorListAddressesEi
    .private_segment_fixed_size: 0
    .sgpr_count:     22
    .sgpr_spill_count: 0
    .symbol:         _ZN2at6native14lpnorm_cleanupIdLNS0_8NormTypeE2EN3c104HalfELb0EfEEvPKT3_NS0_19TensorListAddressesEi.kd
    .uniform_work_group_size: 1
    .uses_dynamic_stack: false
    .vgpr_count:     11
    .vgpr_spill_count: 0
    .wavefront_size: 64
  - .agpr_count:     0
    .args:
      - .address_space:  global
        .offset:         0
        .size:           8
        .value_kind:     global_buffer
      - .offset:         8
        .size:           3200
        .value_kind:     by_value
      - .offset:         3208
        .size:           4
        .value_kind:     by_value
      - .offset:         3216
        .size:           4
        .value_kind:     hidden_block_count_x
      - .offset:         3220
        .size:           4
        .value_kind:     hidden_block_count_y
      - .offset:         3224
        .size:           4
        .value_kind:     hidden_block_count_z
      - .offset:         3228
        .size:           2
        .value_kind:     hidden_group_size_x
      - .offset:         3230
        .size:           2
        .value_kind:     hidden_group_size_y
      - .offset:         3232
        .size:           2
        .value_kind:     hidden_group_size_z
      - .offset:         3234
        .size:           2
        .value_kind:     hidden_remainder_x
      - .offset:         3236
        .size:           2
        .value_kind:     hidden_remainder_y
      - .offset:         3238
        .size:           2
        .value_kind:     hidden_remainder_z
      - .offset:         3256
        .size:           8
        .value_kind:     hidden_global_offset_x
      - .offset:         3264
        .size:           8
        .value_kind:     hidden_global_offset_y
      - .offset:         3272
        .size:           8
        .value_kind:     hidden_global_offset_z
      - .offset:         3280
        .size:           2
        .value_kind:     hidden_grid_dims
    .group_segment_fixed_size: 2048
    .kernarg_segment_align: 8
    .kernarg_segment_size: 3472
    .language:       OpenCL C
    .language_version:
      - 2
      - 0
    .max_flat_workgroup_size: 1024
    .name:           _ZN2at6native14lpnorm_cleanupIdLNS0_8NormTypeE0EN3c108BFloat16ELb0EfEEvPKT3_NS0_19TensorListAddressesEi
    .private_segment_fixed_size: 0
    .sgpr_count:     22
    .sgpr_spill_count: 0
    .symbol:         _ZN2at6native14lpnorm_cleanupIdLNS0_8NormTypeE0EN3c108BFloat16ELb0EfEEvPKT3_NS0_19TensorListAddressesEi.kd
    .uniform_work_group_size: 1
    .uses_dynamic_stack: false
    .vgpr_count:     11
    .vgpr_spill_count: 0
    .wavefront_size: 64
  - .agpr_count:     0
    .args:
      - .address_space:  global
        .offset:         0
        .size:           8
        .value_kind:     global_buffer
      - .offset:         8
        .size:           3200
        .value_kind:     by_value
      - .offset:         3208
        .size:           4
        .value_kind:     by_value
      - .offset:         3216
        .size:           4
        .value_kind:     hidden_block_count_x
      - .offset:         3220
        .size:           4
        .value_kind:     hidden_block_count_y
      - .offset:         3224
        .size:           4
        .value_kind:     hidden_block_count_z
      - .offset:         3228
        .size:           2
        .value_kind:     hidden_group_size_x
      - .offset:         3230
        .size:           2
        .value_kind:     hidden_group_size_y
      - .offset:         3232
        .size:           2
        .value_kind:     hidden_group_size_z
      - .offset:         3234
        .size:           2
        .value_kind:     hidden_remainder_x
      - .offset:         3236
        .size:           2
        .value_kind:     hidden_remainder_y
      - .offset:         3238
        .size:           2
        .value_kind:     hidden_remainder_z
      - .offset:         3256
        .size:           8
        .value_kind:     hidden_global_offset_x
      - .offset:         3264
        .size:           8
        .value_kind:     hidden_global_offset_y
      - .offset:         3272
        .size:           8
        .value_kind:     hidden_global_offset_z
      - .offset:         3280
        .size:           2
        .value_kind:     hidden_grid_dims
    .group_segment_fixed_size: 2048
    .kernarg_segment_align: 8
    .kernarg_segment_size: 3472
    .language:       OpenCL C
    .language_version:
      - 2
      - 0
    .max_flat_workgroup_size: 1024
    .name:           _ZN2at6native14lpnorm_cleanupIdLNS0_8NormTypeE1EN3c108BFloat16ELb0EfEEvPKT3_NS0_19TensorListAddressesEi
    .private_segment_fixed_size: 0
    .sgpr_count:     22
    .sgpr_spill_count: 0
    .symbol:         _ZN2at6native14lpnorm_cleanupIdLNS0_8NormTypeE1EN3c108BFloat16ELb0EfEEvPKT3_NS0_19TensorListAddressesEi.kd
    .uniform_work_group_size: 1
    .uses_dynamic_stack: false
    .vgpr_count:     11
    .vgpr_spill_count: 0
    .wavefront_size: 64
  - .agpr_count:     0
    .args:
      - .address_space:  global
        .offset:         0
        .size:           8
        .value_kind:     global_buffer
      - .offset:         8
        .size:           3200
        .value_kind:     by_value
      - .offset:         3208
        .size:           4
        .value_kind:     by_value
      - .offset:         3216
        .size:           4
        .value_kind:     hidden_block_count_x
      - .offset:         3220
        .size:           4
        .value_kind:     hidden_block_count_y
      - .offset:         3224
        .size:           4
        .value_kind:     hidden_block_count_z
      - .offset:         3228
        .size:           2
        .value_kind:     hidden_group_size_x
      - .offset:         3230
        .size:           2
        .value_kind:     hidden_group_size_y
      - .offset:         3232
        .size:           2
        .value_kind:     hidden_group_size_z
      - .offset:         3234
        .size:           2
        .value_kind:     hidden_remainder_x
      - .offset:         3236
        .size:           2
        .value_kind:     hidden_remainder_y
      - .offset:         3238
        .size:           2
        .value_kind:     hidden_remainder_z
      - .offset:         3256
        .size:           8
        .value_kind:     hidden_global_offset_x
      - .offset:         3264
        .size:           8
        .value_kind:     hidden_global_offset_y
      - .offset:         3272
        .size:           8
        .value_kind:     hidden_global_offset_z
      - .offset:         3280
        .size:           2
        .value_kind:     hidden_grid_dims
    .group_segment_fixed_size: 2048
    .kernarg_segment_align: 8
    .kernarg_segment_size: 3472
    .language:       OpenCL C
    .language_version:
      - 2
      - 0
    .max_flat_workgroup_size: 1024
    .name:           _ZN2at6native14lpnorm_cleanupIdLNS0_8NormTypeE2EN3c108BFloat16ELb0EfEEvPKT3_NS0_19TensorListAddressesEi
    .private_segment_fixed_size: 0
    .sgpr_count:     22
    .sgpr_spill_count: 0
    .symbol:         _ZN2at6native14lpnorm_cleanupIdLNS0_8NormTypeE2EN3c108BFloat16ELb0EfEEvPKT3_NS0_19TensorListAddressesEi.kd
    .uniform_work_group_size: 1
    .uses_dynamic_stack: false
    .vgpr_count:     11
    .vgpr_spill_count: 0
    .wavefront_size: 64
  - .agpr_count:     0
    .args:
      - .address_space:  global
        .offset:         0
        .size:           8
        .value_kind:     global_buffer
      - .offset:         8
        .size:           3200
        .value_kind:     by_value
      - .offset:         3208
        .size:           4
        .value_kind:     by_value
      - .offset:         3216
        .size:           4
        .value_kind:     hidden_block_count_x
      - .offset:         3220
        .size:           4
        .value_kind:     hidden_block_count_y
      - .offset:         3224
        .size:           4
        .value_kind:     hidden_block_count_z
      - .offset:         3228
        .size:           2
        .value_kind:     hidden_group_size_x
      - .offset:         3230
        .size:           2
        .value_kind:     hidden_group_size_y
      - .offset:         3232
        .size:           2
        .value_kind:     hidden_group_size_z
      - .offset:         3234
        .size:           2
        .value_kind:     hidden_remainder_x
      - .offset:         3236
        .size:           2
        .value_kind:     hidden_remainder_y
      - .offset:         3238
        .size:           2
        .value_kind:     hidden_remainder_z
      - .offset:         3256
        .size:           8
        .value_kind:     hidden_global_offset_x
      - .offset:         3264
        .size:           8
        .value_kind:     hidden_global_offset_y
      - .offset:         3272
        .size:           8
        .value_kind:     hidden_global_offset_z
      - .offset:         3280
        .size:           2
        .value_kind:     hidden_grid_dims
    .group_segment_fixed_size: 4096
    .kernarg_segment_align: 8
    .kernarg_segment_size: 3472
    .language:       OpenCL C
    .language_version:
      - 2
      - 0
    .max_flat_workgroup_size: 1024
    .name:           _ZN2at6native14lpnorm_cleanupIfLNS0_8NormTypeE0EdLb0EdEEvPKT3_NS0_19TensorListAddressesEi
    .private_segment_fixed_size: 0
    .sgpr_count:     22
    .sgpr_spill_count: 0
    .symbol:         _ZN2at6native14lpnorm_cleanupIfLNS0_8NormTypeE0EdLb0EdEEvPKT3_NS0_19TensorListAddressesEi.kd
    .uniform_work_group_size: 1
    .uses_dynamic_stack: false
    .vgpr_count:     13
    .vgpr_spill_count: 0
    .wavefront_size: 64
  - .agpr_count:     0
    .args:
      - .address_space:  global
        .offset:         0
        .size:           8
        .value_kind:     global_buffer
      - .offset:         8
        .size:           3200
        .value_kind:     by_value
      - .offset:         3208
        .size:           4
        .value_kind:     by_value
      - .offset:         3216
        .size:           4
        .value_kind:     hidden_block_count_x
      - .offset:         3220
        .size:           4
        .value_kind:     hidden_block_count_y
      - .offset:         3224
        .size:           4
        .value_kind:     hidden_block_count_z
      - .offset:         3228
        .size:           2
        .value_kind:     hidden_group_size_x
      - .offset:         3230
        .size:           2
        .value_kind:     hidden_group_size_y
      - .offset:         3232
        .size:           2
        .value_kind:     hidden_group_size_z
      - .offset:         3234
        .size:           2
        .value_kind:     hidden_remainder_x
      - .offset:         3236
        .size:           2
        .value_kind:     hidden_remainder_y
      - .offset:         3238
        .size:           2
        .value_kind:     hidden_remainder_z
      - .offset:         3256
        .size:           8
        .value_kind:     hidden_global_offset_x
      - .offset:         3264
        .size:           8
        .value_kind:     hidden_global_offset_y
      - .offset:         3272
        .size:           8
        .value_kind:     hidden_global_offset_z
      - .offset:         3280
        .size:           2
        .value_kind:     hidden_grid_dims
    .group_segment_fixed_size: 4096
    .kernarg_segment_align: 8
    .kernarg_segment_size: 3472
    .language:       OpenCL C
    .language_version:
      - 2
      - 0
    .max_flat_workgroup_size: 1024
    .name:           _ZN2at6native14lpnorm_cleanupIfLNS0_8NormTypeE1EdLb0EdEEvPKT3_NS0_19TensorListAddressesEi
    .private_segment_fixed_size: 0
    .sgpr_count:     22
    .sgpr_spill_count: 0
    .symbol:         _ZN2at6native14lpnorm_cleanupIfLNS0_8NormTypeE1EdLb0EdEEvPKT3_NS0_19TensorListAddressesEi.kd
    .uniform_work_group_size: 1
    .uses_dynamic_stack: false
    .vgpr_count:     13
    .vgpr_spill_count: 0
    .wavefront_size: 64
  - .agpr_count:     0
    .args:
      - .address_space:  global
        .offset:         0
        .size:           8
        .value_kind:     global_buffer
      - .offset:         8
        .size:           3200
        .value_kind:     by_value
      - .offset:         3208
        .size:           4
        .value_kind:     by_value
      - .offset:         3216
        .size:           4
        .value_kind:     hidden_block_count_x
      - .offset:         3220
        .size:           4
        .value_kind:     hidden_block_count_y
      - .offset:         3224
        .size:           4
        .value_kind:     hidden_block_count_z
      - .offset:         3228
        .size:           2
        .value_kind:     hidden_group_size_x
      - .offset:         3230
        .size:           2
        .value_kind:     hidden_group_size_y
      - .offset:         3232
        .size:           2
        .value_kind:     hidden_group_size_z
      - .offset:         3234
        .size:           2
        .value_kind:     hidden_remainder_x
      - .offset:         3236
        .size:           2
        .value_kind:     hidden_remainder_y
      - .offset:         3238
        .size:           2
        .value_kind:     hidden_remainder_z
      - .offset:         3256
        .size:           8
        .value_kind:     hidden_global_offset_x
      - .offset:         3264
        .size:           8
        .value_kind:     hidden_global_offset_y
      - .offset:         3272
        .size:           8
        .value_kind:     hidden_global_offset_z
      - .offset:         3280
        .size:           2
        .value_kind:     hidden_grid_dims
    .group_segment_fixed_size: 4096
    .kernarg_segment_align: 8
    .kernarg_segment_size: 3472
    .language:       OpenCL C
    .language_version:
      - 2
      - 0
    .max_flat_workgroup_size: 1024
    .name:           _ZN2at6native14lpnorm_cleanupIfLNS0_8NormTypeE2EdLb0EdEEvPKT3_NS0_19TensorListAddressesEi
    .private_segment_fixed_size: 0
    .sgpr_count:     22
    .sgpr_spill_count: 0
    .symbol:         _ZN2at6native14lpnorm_cleanupIfLNS0_8NormTypeE2EdLb0EdEEvPKT3_NS0_19TensorListAddressesEi.kd
    .uniform_work_group_size: 1
    .uses_dynamic_stack: false
    .vgpr_count:     13
    .vgpr_spill_count: 0
    .wavefront_size: 64
  - .agpr_count:     0
    .args:
      - .address_space:  global
        .offset:         0
        .size:           8
        .value_kind:     global_buffer
      - .offset:         8
        .size:           3200
        .value_kind:     by_value
      - .offset:         3208
        .size:           4
        .value_kind:     by_value
      - .offset:         3216
        .size:           4
        .value_kind:     hidden_block_count_x
      - .offset:         3220
        .size:           4
        .value_kind:     hidden_block_count_y
      - .offset:         3224
        .size:           4
        .value_kind:     hidden_block_count_z
      - .offset:         3228
        .size:           2
        .value_kind:     hidden_group_size_x
      - .offset:         3230
        .size:           2
        .value_kind:     hidden_group_size_y
      - .offset:         3232
        .size:           2
        .value_kind:     hidden_group_size_z
      - .offset:         3234
        .size:           2
        .value_kind:     hidden_remainder_x
      - .offset:         3236
        .size:           2
        .value_kind:     hidden_remainder_y
      - .offset:         3238
        .size:           2
        .value_kind:     hidden_remainder_z
      - .offset:         3256
        .size:           8
        .value_kind:     hidden_global_offset_x
      - .offset:         3264
        .size:           8
        .value_kind:     hidden_global_offset_y
      - .offset:         3272
        .size:           8
        .value_kind:     hidden_global_offset_z
      - .offset:         3280
        .size:           2
        .value_kind:     hidden_grid_dims
    .group_segment_fixed_size: 2048
    .kernarg_segment_align: 8
    .kernarg_segment_size: 3472
    .language:       OpenCL C
    .language_version:
      - 2
      - 0
    .max_flat_workgroup_size: 1024
    .name:           _ZN2at6native14lpnorm_cleanupIfLNS0_8NormTypeE0EfLb0EfEEvPKT3_NS0_19TensorListAddressesEi
    .private_segment_fixed_size: 0
    .sgpr_count:     22
    .sgpr_spill_count: 0
    .symbol:         _ZN2at6native14lpnorm_cleanupIfLNS0_8NormTypeE0EfLb0EfEEvPKT3_NS0_19TensorListAddressesEi.kd
    .uniform_work_group_size: 1
    .uses_dynamic_stack: false
    .vgpr_count:     11
    .vgpr_spill_count: 0
    .wavefront_size: 64
  - .agpr_count:     0
    .args:
      - .address_space:  global
        .offset:         0
        .size:           8
        .value_kind:     global_buffer
      - .offset:         8
        .size:           3200
        .value_kind:     by_value
      - .offset:         3208
        .size:           4
        .value_kind:     by_value
      - .offset:         3216
        .size:           4
        .value_kind:     hidden_block_count_x
      - .offset:         3220
        .size:           4
        .value_kind:     hidden_block_count_y
      - .offset:         3224
        .size:           4
        .value_kind:     hidden_block_count_z
      - .offset:         3228
        .size:           2
        .value_kind:     hidden_group_size_x
      - .offset:         3230
        .size:           2
        .value_kind:     hidden_group_size_y
      - .offset:         3232
        .size:           2
        .value_kind:     hidden_group_size_z
      - .offset:         3234
        .size:           2
        .value_kind:     hidden_remainder_x
      - .offset:         3236
        .size:           2
        .value_kind:     hidden_remainder_y
      - .offset:         3238
        .size:           2
        .value_kind:     hidden_remainder_z
      - .offset:         3256
        .size:           8
        .value_kind:     hidden_global_offset_x
      - .offset:         3264
        .size:           8
        .value_kind:     hidden_global_offset_y
      - .offset:         3272
        .size:           8
        .value_kind:     hidden_global_offset_z
      - .offset:         3280
        .size:           2
        .value_kind:     hidden_grid_dims
    .group_segment_fixed_size: 2048
    .kernarg_segment_align: 8
    .kernarg_segment_size: 3472
    .language:       OpenCL C
    .language_version:
      - 2
      - 0
    .max_flat_workgroup_size: 1024
    .name:           _ZN2at6native14lpnorm_cleanupIfLNS0_8NormTypeE1EfLb0EfEEvPKT3_NS0_19TensorListAddressesEi
    .private_segment_fixed_size: 0
    .sgpr_count:     22
    .sgpr_spill_count: 0
    .symbol:         _ZN2at6native14lpnorm_cleanupIfLNS0_8NormTypeE1EfLb0EfEEvPKT3_NS0_19TensorListAddressesEi.kd
    .uniform_work_group_size: 1
    .uses_dynamic_stack: false
    .vgpr_count:     11
    .vgpr_spill_count: 0
    .wavefront_size: 64
  - .agpr_count:     0
    .args:
      - .address_space:  global
        .offset:         0
        .size:           8
        .value_kind:     global_buffer
      - .offset:         8
        .size:           3200
        .value_kind:     by_value
      - .offset:         3208
        .size:           4
        .value_kind:     by_value
      - .offset:         3216
        .size:           4
        .value_kind:     hidden_block_count_x
      - .offset:         3220
        .size:           4
        .value_kind:     hidden_block_count_y
      - .offset:         3224
        .size:           4
        .value_kind:     hidden_block_count_z
      - .offset:         3228
        .size:           2
        .value_kind:     hidden_group_size_x
      - .offset:         3230
        .size:           2
        .value_kind:     hidden_group_size_y
      - .offset:         3232
        .size:           2
        .value_kind:     hidden_group_size_z
      - .offset:         3234
        .size:           2
        .value_kind:     hidden_remainder_x
      - .offset:         3236
        .size:           2
        .value_kind:     hidden_remainder_y
      - .offset:         3238
        .size:           2
        .value_kind:     hidden_remainder_z
      - .offset:         3256
        .size:           8
        .value_kind:     hidden_global_offset_x
      - .offset:         3264
        .size:           8
        .value_kind:     hidden_global_offset_y
      - .offset:         3272
        .size:           8
        .value_kind:     hidden_global_offset_z
      - .offset:         3280
        .size:           2
        .value_kind:     hidden_grid_dims
    .group_segment_fixed_size: 2048
    .kernarg_segment_align: 8
    .kernarg_segment_size: 3472
    .language:       OpenCL C
    .language_version:
      - 2
      - 0
    .max_flat_workgroup_size: 1024
    .name:           _ZN2at6native14lpnorm_cleanupIfLNS0_8NormTypeE2EfLb0EfEEvPKT3_NS0_19TensorListAddressesEi
    .private_segment_fixed_size: 0
    .sgpr_count:     22
    .sgpr_spill_count: 0
    .symbol:         _ZN2at6native14lpnorm_cleanupIfLNS0_8NormTypeE2EfLb0EfEEvPKT3_NS0_19TensorListAddressesEi.kd
    .uniform_work_group_size: 1
    .uses_dynamic_stack: false
    .vgpr_count:     11
    .vgpr_spill_count: 0
    .wavefront_size: 64
  - .agpr_count:     0
    .args:
      - .address_space:  global
        .offset:         0
        .size:           8
        .value_kind:     global_buffer
      - .offset:         8
        .size:           3200
        .value_kind:     by_value
      - .offset:         3208
        .size:           4
        .value_kind:     by_value
      - .offset:         3216
        .size:           4
        .value_kind:     hidden_block_count_x
      - .offset:         3220
        .size:           4
        .value_kind:     hidden_block_count_y
      - .offset:         3224
        .size:           4
        .value_kind:     hidden_block_count_z
      - .offset:         3228
        .size:           2
        .value_kind:     hidden_group_size_x
      - .offset:         3230
        .size:           2
        .value_kind:     hidden_group_size_y
      - .offset:         3232
        .size:           2
        .value_kind:     hidden_group_size_z
      - .offset:         3234
        .size:           2
        .value_kind:     hidden_remainder_x
      - .offset:         3236
        .size:           2
        .value_kind:     hidden_remainder_y
      - .offset:         3238
        .size:           2
        .value_kind:     hidden_remainder_z
      - .offset:         3256
        .size:           8
        .value_kind:     hidden_global_offset_x
      - .offset:         3264
        .size:           8
        .value_kind:     hidden_global_offset_y
      - .offset:         3272
        .size:           8
        .value_kind:     hidden_global_offset_z
      - .offset:         3280
        .size:           2
        .value_kind:     hidden_grid_dims
    .group_segment_fixed_size: 2048
    .kernarg_segment_align: 8
    .kernarg_segment_size: 3472
    .language:       OpenCL C
    .language_version:
      - 2
      - 0
    .max_flat_workgroup_size: 1024
    .name:           _ZN2at6native14lpnorm_cleanupIfLNS0_8NormTypeE0EN3c104HalfELb0EfEEvPKT3_NS0_19TensorListAddressesEi
    .private_segment_fixed_size: 0
    .sgpr_count:     22
    .sgpr_spill_count: 0
    .symbol:         _ZN2at6native14lpnorm_cleanupIfLNS0_8NormTypeE0EN3c104HalfELb0EfEEvPKT3_NS0_19TensorListAddressesEi.kd
    .uniform_work_group_size: 1
    .uses_dynamic_stack: false
    .vgpr_count:     11
    .vgpr_spill_count: 0
    .wavefront_size: 64
  - .agpr_count:     0
    .args:
      - .address_space:  global
        .offset:         0
        .size:           8
        .value_kind:     global_buffer
      - .offset:         8
        .size:           3200
        .value_kind:     by_value
      - .offset:         3208
        .size:           4
        .value_kind:     by_value
      - .offset:         3216
        .size:           4
        .value_kind:     hidden_block_count_x
      - .offset:         3220
        .size:           4
        .value_kind:     hidden_block_count_y
      - .offset:         3224
        .size:           4
        .value_kind:     hidden_block_count_z
      - .offset:         3228
        .size:           2
        .value_kind:     hidden_group_size_x
      - .offset:         3230
        .size:           2
        .value_kind:     hidden_group_size_y
      - .offset:         3232
        .size:           2
        .value_kind:     hidden_group_size_z
      - .offset:         3234
        .size:           2
        .value_kind:     hidden_remainder_x
      - .offset:         3236
        .size:           2
        .value_kind:     hidden_remainder_y
      - .offset:         3238
        .size:           2
        .value_kind:     hidden_remainder_z
      - .offset:         3256
        .size:           8
        .value_kind:     hidden_global_offset_x
      - .offset:         3264
        .size:           8
        .value_kind:     hidden_global_offset_y
      - .offset:         3272
        .size:           8
        .value_kind:     hidden_global_offset_z
      - .offset:         3280
        .size:           2
        .value_kind:     hidden_grid_dims
    .group_segment_fixed_size: 2048
    .kernarg_segment_align: 8
    .kernarg_segment_size: 3472
    .language:       OpenCL C
    .language_version:
      - 2
      - 0
    .max_flat_workgroup_size: 1024
    .name:           _ZN2at6native14lpnorm_cleanupIfLNS0_8NormTypeE1EN3c104HalfELb0EfEEvPKT3_NS0_19TensorListAddressesEi
    .private_segment_fixed_size: 0
    .sgpr_count:     22
    .sgpr_spill_count: 0
    .symbol:         _ZN2at6native14lpnorm_cleanupIfLNS0_8NormTypeE1EN3c104HalfELb0EfEEvPKT3_NS0_19TensorListAddressesEi.kd
    .uniform_work_group_size: 1
    .uses_dynamic_stack: false
    .vgpr_count:     11
    .vgpr_spill_count: 0
    .wavefront_size: 64
  - .agpr_count:     0
    .args:
      - .address_space:  global
        .offset:         0
        .size:           8
        .value_kind:     global_buffer
      - .offset:         8
        .size:           3200
        .value_kind:     by_value
      - .offset:         3208
        .size:           4
        .value_kind:     by_value
      - .offset:         3216
        .size:           4
        .value_kind:     hidden_block_count_x
      - .offset:         3220
        .size:           4
        .value_kind:     hidden_block_count_y
      - .offset:         3224
        .size:           4
        .value_kind:     hidden_block_count_z
      - .offset:         3228
        .size:           2
        .value_kind:     hidden_group_size_x
      - .offset:         3230
        .size:           2
        .value_kind:     hidden_group_size_y
      - .offset:         3232
        .size:           2
        .value_kind:     hidden_group_size_z
      - .offset:         3234
        .size:           2
        .value_kind:     hidden_remainder_x
      - .offset:         3236
        .size:           2
        .value_kind:     hidden_remainder_y
      - .offset:         3238
        .size:           2
        .value_kind:     hidden_remainder_z
      - .offset:         3256
        .size:           8
        .value_kind:     hidden_global_offset_x
      - .offset:         3264
        .size:           8
        .value_kind:     hidden_global_offset_y
      - .offset:         3272
        .size:           8
        .value_kind:     hidden_global_offset_z
      - .offset:         3280
        .size:           2
        .value_kind:     hidden_grid_dims
    .group_segment_fixed_size: 2048
    .kernarg_segment_align: 8
    .kernarg_segment_size: 3472
    .language:       OpenCL C
    .language_version:
      - 2
      - 0
    .max_flat_workgroup_size: 1024
    .name:           _ZN2at6native14lpnorm_cleanupIfLNS0_8NormTypeE2EN3c104HalfELb0EfEEvPKT3_NS0_19TensorListAddressesEi
    .private_segment_fixed_size: 0
    .sgpr_count:     22
    .sgpr_spill_count: 0
    .symbol:         _ZN2at6native14lpnorm_cleanupIfLNS0_8NormTypeE2EN3c104HalfELb0EfEEvPKT3_NS0_19TensorListAddressesEi.kd
    .uniform_work_group_size: 1
    .uses_dynamic_stack: false
    .vgpr_count:     11
    .vgpr_spill_count: 0
    .wavefront_size: 64
  - .agpr_count:     0
    .args:
      - .address_space:  global
        .offset:         0
        .size:           8
        .value_kind:     global_buffer
      - .offset:         8
        .size:           3200
        .value_kind:     by_value
      - .offset:         3208
        .size:           4
        .value_kind:     by_value
      - .offset:         3216
        .size:           4
        .value_kind:     hidden_block_count_x
      - .offset:         3220
        .size:           4
        .value_kind:     hidden_block_count_y
      - .offset:         3224
        .size:           4
        .value_kind:     hidden_block_count_z
      - .offset:         3228
        .size:           2
        .value_kind:     hidden_group_size_x
      - .offset:         3230
        .size:           2
        .value_kind:     hidden_group_size_y
      - .offset:         3232
        .size:           2
        .value_kind:     hidden_group_size_z
      - .offset:         3234
        .size:           2
        .value_kind:     hidden_remainder_x
      - .offset:         3236
        .size:           2
        .value_kind:     hidden_remainder_y
      - .offset:         3238
        .size:           2
        .value_kind:     hidden_remainder_z
      - .offset:         3256
        .size:           8
        .value_kind:     hidden_global_offset_x
      - .offset:         3264
        .size:           8
        .value_kind:     hidden_global_offset_y
      - .offset:         3272
        .size:           8
        .value_kind:     hidden_global_offset_z
      - .offset:         3280
        .size:           2
        .value_kind:     hidden_grid_dims
    .group_segment_fixed_size: 2048
    .kernarg_segment_align: 8
    .kernarg_segment_size: 3472
    .language:       OpenCL C
    .language_version:
      - 2
      - 0
    .max_flat_workgroup_size: 1024
    .name:           _ZN2at6native14lpnorm_cleanupIfLNS0_8NormTypeE0EN3c108BFloat16ELb0EfEEvPKT3_NS0_19TensorListAddressesEi
    .private_segment_fixed_size: 0
    .sgpr_count:     22
    .sgpr_spill_count: 0
    .symbol:         _ZN2at6native14lpnorm_cleanupIfLNS0_8NormTypeE0EN3c108BFloat16ELb0EfEEvPKT3_NS0_19TensorListAddressesEi.kd
    .uniform_work_group_size: 1
    .uses_dynamic_stack: false
    .vgpr_count:     11
    .vgpr_spill_count: 0
    .wavefront_size: 64
  - .agpr_count:     0
    .args:
      - .address_space:  global
        .offset:         0
        .size:           8
        .value_kind:     global_buffer
      - .offset:         8
        .size:           3200
        .value_kind:     by_value
      - .offset:         3208
        .size:           4
        .value_kind:     by_value
      - .offset:         3216
        .size:           4
        .value_kind:     hidden_block_count_x
      - .offset:         3220
        .size:           4
        .value_kind:     hidden_block_count_y
      - .offset:         3224
        .size:           4
        .value_kind:     hidden_block_count_z
      - .offset:         3228
        .size:           2
        .value_kind:     hidden_group_size_x
      - .offset:         3230
        .size:           2
        .value_kind:     hidden_group_size_y
      - .offset:         3232
        .size:           2
        .value_kind:     hidden_group_size_z
      - .offset:         3234
        .size:           2
        .value_kind:     hidden_remainder_x
      - .offset:         3236
        .size:           2
        .value_kind:     hidden_remainder_y
      - .offset:         3238
        .size:           2
        .value_kind:     hidden_remainder_z
      - .offset:         3256
        .size:           8
        .value_kind:     hidden_global_offset_x
      - .offset:         3264
        .size:           8
        .value_kind:     hidden_global_offset_y
      - .offset:         3272
        .size:           8
        .value_kind:     hidden_global_offset_z
      - .offset:         3280
        .size:           2
        .value_kind:     hidden_grid_dims
    .group_segment_fixed_size: 2048
    .kernarg_segment_align: 8
    .kernarg_segment_size: 3472
    .language:       OpenCL C
    .language_version:
      - 2
      - 0
    .max_flat_workgroup_size: 1024
    .name:           _ZN2at6native14lpnorm_cleanupIfLNS0_8NormTypeE1EN3c108BFloat16ELb0EfEEvPKT3_NS0_19TensorListAddressesEi
    .private_segment_fixed_size: 0
    .sgpr_count:     22
    .sgpr_spill_count: 0
    .symbol:         _ZN2at6native14lpnorm_cleanupIfLNS0_8NormTypeE1EN3c108BFloat16ELb0EfEEvPKT3_NS0_19TensorListAddressesEi.kd
    .uniform_work_group_size: 1
    .uses_dynamic_stack: false
    .vgpr_count:     11
    .vgpr_spill_count: 0
    .wavefront_size: 64
  - .agpr_count:     0
    .args:
      - .address_space:  global
        .offset:         0
        .size:           8
        .value_kind:     global_buffer
      - .offset:         8
        .size:           3200
        .value_kind:     by_value
      - .offset:         3208
        .size:           4
        .value_kind:     by_value
      - .offset:         3216
        .size:           4
        .value_kind:     hidden_block_count_x
      - .offset:         3220
        .size:           4
        .value_kind:     hidden_block_count_y
      - .offset:         3224
        .size:           4
        .value_kind:     hidden_block_count_z
      - .offset:         3228
        .size:           2
        .value_kind:     hidden_group_size_x
      - .offset:         3230
        .size:           2
        .value_kind:     hidden_group_size_y
      - .offset:         3232
        .size:           2
        .value_kind:     hidden_group_size_z
      - .offset:         3234
        .size:           2
        .value_kind:     hidden_remainder_x
      - .offset:         3236
        .size:           2
        .value_kind:     hidden_remainder_y
      - .offset:         3238
        .size:           2
        .value_kind:     hidden_remainder_z
      - .offset:         3256
        .size:           8
        .value_kind:     hidden_global_offset_x
      - .offset:         3264
        .size:           8
        .value_kind:     hidden_global_offset_y
      - .offset:         3272
        .size:           8
        .value_kind:     hidden_global_offset_z
      - .offset:         3280
        .size:           2
        .value_kind:     hidden_grid_dims
    .group_segment_fixed_size: 2048
    .kernarg_segment_align: 8
    .kernarg_segment_size: 3472
    .language:       OpenCL C
    .language_version:
      - 2
      - 0
    .max_flat_workgroup_size: 1024
    .name:           _ZN2at6native14lpnorm_cleanupIfLNS0_8NormTypeE2EN3c108BFloat16ELb0EfEEvPKT3_NS0_19TensorListAddressesEi
    .private_segment_fixed_size: 0
    .sgpr_count:     22
    .sgpr_spill_count: 0
    .symbol:         _ZN2at6native14lpnorm_cleanupIfLNS0_8NormTypeE2EN3c108BFloat16ELb0EfEEvPKT3_NS0_19TensorListAddressesEi.kd
    .uniform_work_group_size: 1
    .uses_dynamic_stack: false
    .vgpr_count:     11
    .vgpr_spill_count: 0
    .wavefront_size: 64
  - .agpr_count:     0
    .args:
      - .address_space:  global
        .offset:         0
        .size:           8
        .value_kind:     global_buffer
      - .offset:         8
        .size:           3200
        .value_kind:     by_value
      - .offset:         3208
        .size:           4
        .value_kind:     by_value
      - .offset:         3216
        .size:           4
        .value_kind:     hidden_block_count_x
      - .offset:         3220
        .size:           4
        .value_kind:     hidden_block_count_y
      - .offset:         3224
        .size:           4
        .value_kind:     hidden_block_count_z
      - .offset:         3228
        .size:           2
        .value_kind:     hidden_group_size_x
      - .offset:         3230
        .size:           2
        .value_kind:     hidden_group_size_y
      - .offset:         3232
        .size:           2
        .value_kind:     hidden_group_size_z
      - .offset:         3234
        .size:           2
        .value_kind:     hidden_remainder_x
      - .offset:         3236
        .size:           2
        .value_kind:     hidden_remainder_y
      - .offset:         3238
        .size:           2
        .value_kind:     hidden_remainder_z
      - .offset:         3256
        .size:           8
        .value_kind:     hidden_global_offset_x
      - .offset:         3264
        .size:           8
        .value_kind:     hidden_global_offset_y
      - .offset:         3272
        .size:           8
        .value_kind:     hidden_global_offset_z
      - .offset:         3280
        .size:           2
        .value_kind:     hidden_grid_dims
    .group_segment_fixed_size: 4096
    .kernarg_segment_align: 8
    .kernarg_segment_size: 3472
    .language:       OpenCL C
    .language_version:
      - 2
      - 0
    .max_flat_workgroup_size: 1024
    .name:           _ZN2at6native14lpnorm_cleanupIN3c104HalfELNS0_8NormTypeE0EdLb0EdEEvPKT3_NS0_19TensorListAddressesEi
    .private_segment_fixed_size: 0
    .sgpr_count:     22
    .sgpr_spill_count: 0
    .symbol:         _ZN2at6native14lpnorm_cleanupIN3c104HalfELNS0_8NormTypeE0EdLb0EdEEvPKT3_NS0_19TensorListAddressesEi.kd
    .uniform_work_group_size: 1
    .uses_dynamic_stack: false
    .vgpr_count:     13
    .vgpr_spill_count: 0
    .wavefront_size: 64
  - .agpr_count:     0
    .args:
      - .address_space:  global
        .offset:         0
        .size:           8
        .value_kind:     global_buffer
      - .offset:         8
        .size:           3200
        .value_kind:     by_value
      - .offset:         3208
        .size:           4
        .value_kind:     by_value
      - .offset:         3216
        .size:           4
        .value_kind:     hidden_block_count_x
      - .offset:         3220
        .size:           4
        .value_kind:     hidden_block_count_y
      - .offset:         3224
        .size:           4
        .value_kind:     hidden_block_count_z
      - .offset:         3228
        .size:           2
        .value_kind:     hidden_group_size_x
      - .offset:         3230
        .size:           2
        .value_kind:     hidden_group_size_y
      - .offset:         3232
        .size:           2
        .value_kind:     hidden_group_size_z
      - .offset:         3234
        .size:           2
        .value_kind:     hidden_remainder_x
      - .offset:         3236
        .size:           2
        .value_kind:     hidden_remainder_y
      - .offset:         3238
        .size:           2
        .value_kind:     hidden_remainder_z
      - .offset:         3256
        .size:           8
        .value_kind:     hidden_global_offset_x
      - .offset:         3264
        .size:           8
        .value_kind:     hidden_global_offset_y
      - .offset:         3272
        .size:           8
        .value_kind:     hidden_global_offset_z
      - .offset:         3280
        .size:           2
        .value_kind:     hidden_grid_dims
    .group_segment_fixed_size: 4096
    .kernarg_segment_align: 8
    .kernarg_segment_size: 3472
    .language:       OpenCL C
    .language_version:
      - 2
      - 0
    .max_flat_workgroup_size: 1024
    .name:           _ZN2at6native14lpnorm_cleanupIN3c104HalfELNS0_8NormTypeE1EdLb0EdEEvPKT3_NS0_19TensorListAddressesEi
    .private_segment_fixed_size: 0
    .sgpr_count:     22
    .sgpr_spill_count: 0
    .symbol:         _ZN2at6native14lpnorm_cleanupIN3c104HalfELNS0_8NormTypeE1EdLb0EdEEvPKT3_NS0_19TensorListAddressesEi.kd
    .uniform_work_group_size: 1
    .uses_dynamic_stack: false
    .vgpr_count:     13
    .vgpr_spill_count: 0
    .wavefront_size: 64
  - .agpr_count:     0
    .args:
      - .address_space:  global
        .offset:         0
        .size:           8
        .value_kind:     global_buffer
      - .offset:         8
        .size:           3200
        .value_kind:     by_value
      - .offset:         3208
        .size:           4
        .value_kind:     by_value
      - .offset:         3216
        .size:           4
        .value_kind:     hidden_block_count_x
      - .offset:         3220
        .size:           4
        .value_kind:     hidden_block_count_y
      - .offset:         3224
        .size:           4
        .value_kind:     hidden_block_count_z
      - .offset:         3228
        .size:           2
        .value_kind:     hidden_group_size_x
      - .offset:         3230
        .size:           2
        .value_kind:     hidden_group_size_y
      - .offset:         3232
        .size:           2
        .value_kind:     hidden_group_size_z
      - .offset:         3234
        .size:           2
        .value_kind:     hidden_remainder_x
      - .offset:         3236
        .size:           2
        .value_kind:     hidden_remainder_y
      - .offset:         3238
        .size:           2
        .value_kind:     hidden_remainder_z
      - .offset:         3256
        .size:           8
        .value_kind:     hidden_global_offset_x
      - .offset:         3264
        .size:           8
        .value_kind:     hidden_global_offset_y
      - .offset:         3272
        .size:           8
        .value_kind:     hidden_global_offset_z
      - .offset:         3280
        .size:           2
        .value_kind:     hidden_grid_dims
    .group_segment_fixed_size: 4096
    .kernarg_segment_align: 8
    .kernarg_segment_size: 3472
    .language:       OpenCL C
    .language_version:
      - 2
      - 0
    .max_flat_workgroup_size: 1024
    .name:           _ZN2at6native14lpnorm_cleanupIN3c104HalfELNS0_8NormTypeE2EdLb0EdEEvPKT3_NS0_19TensorListAddressesEi
    .private_segment_fixed_size: 0
    .sgpr_count:     22
    .sgpr_spill_count: 0
    .symbol:         _ZN2at6native14lpnorm_cleanupIN3c104HalfELNS0_8NormTypeE2EdLb0EdEEvPKT3_NS0_19TensorListAddressesEi.kd
    .uniform_work_group_size: 1
    .uses_dynamic_stack: false
    .vgpr_count:     13
    .vgpr_spill_count: 0
    .wavefront_size: 64
  - .agpr_count:     0
    .args:
      - .address_space:  global
        .offset:         0
        .size:           8
        .value_kind:     global_buffer
      - .offset:         8
        .size:           3200
        .value_kind:     by_value
      - .offset:         3208
        .size:           4
        .value_kind:     by_value
      - .offset:         3216
        .size:           4
        .value_kind:     hidden_block_count_x
      - .offset:         3220
        .size:           4
        .value_kind:     hidden_block_count_y
      - .offset:         3224
        .size:           4
        .value_kind:     hidden_block_count_z
      - .offset:         3228
        .size:           2
        .value_kind:     hidden_group_size_x
      - .offset:         3230
        .size:           2
        .value_kind:     hidden_group_size_y
      - .offset:         3232
        .size:           2
        .value_kind:     hidden_group_size_z
      - .offset:         3234
        .size:           2
        .value_kind:     hidden_remainder_x
      - .offset:         3236
        .size:           2
        .value_kind:     hidden_remainder_y
      - .offset:         3238
        .size:           2
        .value_kind:     hidden_remainder_z
      - .offset:         3256
        .size:           8
        .value_kind:     hidden_global_offset_x
      - .offset:         3264
        .size:           8
        .value_kind:     hidden_global_offset_y
      - .offset:         3272
        .size:           8
        .value_kind:     hidden_global_offset_z
      - .offset:         3280
        .size:           2
        .value_kind:     hidden_grid_dims
    .group_segment_fixed_size: 2048
    .kernarg_segment_align: 8
    .kernarg_segment_size: 3472
    .language:       OpenCL C
    .language_version:
      - 2
      - 0
    .max_flat_workgroup_size: 1024
    .name:           _ZN2at6native14lpnorm_cleanupIN3c104HalfELNS0_8NormTypeE0EfLb0EfEEvPKT3_NS0_19TensorListAddressesEi
    .private_segment_fixed_size: 0
    .sgpr_count:     22
    .sgpr_spill_count: 0
    .symbol:         _ZN2at6native14lpnorm_cleanupIN3c104HalfELNS0_8NormTypeE0EfLb0EfEEvPKT3_NS0_19TensorListAddressesEi.kd
    .uniform_work_group_size: 1
    .uses_dynamic_stack: false
    .vgpr_count:     11
    .vgpr_spill_count: 0
    .wavefront_size: 64
  - .agpr_count:     0
    .args:
      - .address_space:  global
        .offset:         0
        .size:           8
        .value_kind:     global_buffer
      - .offset:         8
        .size:           3200
        .value_kind:     by_value
      - .offset:         3208
        .size:           4
        .value_kind:     by_value
      - .offset:         3216
        .size:           4
        .value_kind:     hidden_block_count_x
      - .offset:         3220
        .size:           4
        .value_kind:     hidden_block_count_y
      - .offset:         3224
        .size:           4
        .value_kind:     hidden_block_count_z
      - .offset:         3228
        .size:           2
        .value_kind:     hidden_group_size_x
      - .offset:         3230
        .size:           2
        .value_kind:     hidden_group_size_y
      - .offset:         3232
        .size:           2
        .value_kind:     hidden_group_size_z
      - .offset:         3234
        .size:           2
        .value_kind:     hidden_remainder_x
      - .offset:         3236
        .size:           2
        .value_kind:     hidden_remainder_y
      - .offset:         3238
        .size:           2
        .value_kind:     hidden_remainder_z
      - .offset:         3256
        .size:           8
        .value_kind:     hidden_global_offset_x
      - .offset:         3264
        .size:           8
        .value_kind:     hidden_global_offset_y
      - .offset:         3272
        .size:           8
        .value_kind:     hidden_global_offset_z
      - .offset:         3280
        .size:           2
        .value_kind:     hidden_grid_dims
    .group_segment_fixed_size: 2048
    .kernarg_segment_align: 8
    .kernarg_segment_size: 3472
    .language:       OpenCL C
    .language_version:
      - 2
      - 0
    .max_flat_workgroup_size: 1024
    .name:           _ZN2at6native14lpnorm_cleanupIN3c104HalfELNS0_8NormTypeE1EfLb0EfEEvPKT3_NS0_19TensorListAddressesEi
    .private_segment_fixed_size: 0
    .sgpr_count:     22
    .sgpr_spill_count: 0
    .symbol:         _ZN2at6native14lpnorm_cleanupIN3c104HalfELNS0_8NormTypeE1EfLb0EfEEvPKT3_NS0_19TensorListAddressesEi.kd
    .uniform_work_group_size: 1
    .uses_dynamic_stack: false
    .vgpr_count:     11
    .vgpr_spill_count: 0
    .wavefront_size: 64
  - .agpr_count:     0
    .args:
      - .address_space:  global
        .offset:         0
        .size:           8
        .value_kind:     global_buffer
      - .offset:         8
        .size:           3200
        .value_kind:     by_value
      - .offset:         3208
        .size:           4
        .value_kind:     by_value
      - .offset:         3216
        .size:           4
        .value_kind:     hidden_block_count_x
      - .offset:         3220
        .size:           4
        .value_kind:     hidden_block_count_y
      - .offset:         3224
        .size:           4
        .value_kind:     hidden_block_count_z
      - .offset:         3228
        .size:           2
        .value_kind:     hidden_group_size_x
      - .offset:         3230
        .size:           2
        .value_kind:     hidden_group_size_y
      - .offset:         3232
        .size:           2
        .value_kind:     hidden_group_size_z
      - .offset:         3234
        .size:           2
        .value_kind:     hidden_remainder_x
      - .offset:         3236
        .size:           2
        .value_kind:     hidden_remainder_y
      - .offset:         3238
        .size:           2
        .value_kind:     hidden_remainder_z
      - .offset:         3256
        .size:           8
        .value_kind:     hidden_global_offset_x
      - .offset:         3264
        .size:           8
        .value_kind:     hidden_global_offset_y
      - .offset:         3272
        .size:           8
        .value_kind:     hidden_global_offset_z
      - .offset:         3280
        .size:           2
        .value_kind:     hidden_grid_dims
    .group_segment_fixed_size: 2048
    .kernarg_segment_align: 8
    .kernarg_segment_size: 3472
    .language:       OpenCL C
    .language_version:
      - 2
      - 0
    .max_flat_workgroup_size: 1024
    .name:           _ZN2at6native14lpnorm_cleanupIN3c104HalfELNS0_8NormTypeE2EfLb0EfEEvPKT3_NS0_19TensorListAddressesEi
    .private_segment_fixed_size: 0
    .sgpr_count:     22
    .sgpr_spill_count: 0
    .symbol:         _ZN2at6native14lpnorm_cleanupIN3c104HalfELNS0_8NormTypeE2EfLb0EfEEvPKT3_NS0_19TensorListAddressesEi.kd
    .uniform_work_group_size: 1
    .uses_dynamic_stack: false
    .vgpr_count:     11
    .vgpr_spill_count: 0
    .wavefront_size: 64
  - .agpr_count:     0
    .args:
      - .address_space:  global
        .offset:         0
        .size:           8
        .value_kind:     global_buffer
      - .offset:         8
        .size:           3200
        .value_kind:     by_value
      - .offset:         3208
        .size:           4
        .value_kind:     by_value
      - .offset:         3216
        .size:           4
        .value_kind:     hidden_block_count_x
      - .offset:         3220
        .size:           4
        .value_kind:     hidden_block_count_y
      - .offset:         3224
        .size:           4
        .value_kind:     hidden_block_count_z
      - .offset:         3228
        .size:           2
        .value_kind:     hidden_group_size_x
      - .offset:         3230
        .size:           2
        .value_kind:     hidden_group_size_y
      - .offset:         3232
        .size:           2
        .value_kind:     hidden_group_size_z
      - .offset:         3234
        .size:           2
        .value_kind:     hidden_remainder_x
      - .offset:         3236
        .size:           2
        .value_kind:     hidden_remainder_y
      - .offset:         3238
        .size:           2
        .value_kind:     hidden_remainder_z
      - .offset:         3256
        .size:           8
        .value_kind:     hidden_global_offset_x
      - .offset:         3264
        .size:           8
        .value_kind:     hidden_global_offset_y
      - .offset:         3272
        .size:           8
        .value_kind:     hidden_global_offset_z
      - .offset:         3280
        .size:           2
        .value_kind:     hidden_grid_dims
    .group_segment_fixed_size: 2048
    .kernarg_segment_align: 8
    .kernarg_segment_size: 3472
    .language:       OpenCL C
    .language_version:
      - 2
      - 0
    .max_flat_workgroup_size: 1024
    .name:           _ZN2at6native14lpnorm_cleanupIN3c104HalfELNS0_8NormTypeE0ES3_Lb0EfEEvPKT3_NS0_19TensorListAddressesEi
    .private_segment_fixed_size: 0
    .sgpr_count:     22
    .sgpr_spill_count: 0
    .symbol:         _ZN2at6native14lpnorm_cleanupIN3c104HalfELNS0_8NormTypeE0ES3_Lb0EfEEvPKT3_NS0_19TensorListAddressesEi.kd
    .uniform_work_group_size: 1
    .uses_dynamic_stack: false
    .vgpr_count:     11
    .vgpr_spill_count: 0
    .wavefront_size: 64
  - .agpr_count:     0
    .args:
      - .address_space:  global
        .offset:         0
        .size:           8
        .value_kind:     global_buffer
      - .offset:         8
        .size:           3200
        .value_kind:     by_value
      - .offset:         3208
        .size:           4
        .value_kind:     by_value
      - .offset:         3216
        .size:           4
        .value_kind:     hidden_block_count_x
      - .offset:         3220
        .size:           4
        .value_kind:     hidden_block_count_y
      - .offset:         3224
        .size:           4
        .value_kind:     hidden_block_count_z
      - .offset:         3228
        .size:           2
        .value_kind:     hidden_group_size_x
      - .offset:         3230
        .size:           2
        .value_kind:     hidden_group_size_y
      - .offset:         3232
        .size:           2
        .value_kind:     hidden_group_size_z
      - .offset:         3234
        .size:           2
        .value_kind:     hidden_remainder_x
      - .offset:         3236
        .size:           2
        .value_kind:     hidden_remainder_y
      - .offset:         3238
        .size:           2
        .value_kind:     hidden_remainder_z
      - .offset:         3256
        .size:           8
        .value_kind:     hidden_global_offset_x
      - .offset:         3264
        .size:           8
        .value_kind:     hidden_global_offset_y
      - .offset:         3272
        .size:           8
        .value_kind:     hidden_global_offset_z
      - .offset:         3280
        .size:           2
        .value_kind:     hidden_grid_dims
    .group_segment_fixed_size: 2048
    .kernarg_segment_align: 8
    .kernarg_segment_size: 3472
    .language:       OpenCL C
    .language_version:
      - 2
      - 0
    .max_flat_workgroup_size: 1024
    .name:           _ZN2at6native14lpnorm_cleanupIN3c104HalfELNS0_8NormTypeE1ES3_Lb0EfEEvPKT3_NS0_19TensorListAddressesEi
    .private_segment_fixed_size: 0
    .sgpr_count:     22
    .sgpr_spill_count: 0
    .symbol:         _ZN2at6native14lpnorm_cleanupIN3c104HalfELNS0_8NormTypeE1ES3_Lb0EfEEvPKT3_NS0_19TensorListAddressesEi.kd
    .uniform_work_group_size: 1
    .uses_dynamic_stack: false
    .vgpr_count:     11
    .vgpr_spill_count: 0
    .wavefront_size: 64
  - .agpr_count:     0
    .args:
      - .address_space:  global
        .offset:         0
        .size:           8
        .value_kind:     global_buffer
      - .offset:         8
        .size:           3200
        .value_kind:     by_value
      - .offset:         3208
        .size:           4
        .value_kind:     by_value
      - .offset:         3216
        .size:           4
        .value_kind:     hidden_block_count_x
      - .offset:         3220
        .size:           4
        .value_kind:     hidden_block_count_y
      - .offset:         3224
        .size:           4
        .value_kind:     hidden_block_count_z
      - .offset:         3228
        .size:           2
        .value_kind:     hidden_group_size_x
      - .offset:         3230
        .size:           2
        .value_kind:     hidden_group_size_y
      - .offset:         3232
        .size:           2
        .value_kind:     hidden_group_size_z
      - .offset:         3234
        .size:           2
        .value_kind:     hidden_remainder_x
      - .offset:         3236
        .size:           2
        .value_kind:     hidden_remainder_y
      - .offset:         3238
        .size:           2
        .value_kind:     hidden_remainder_z
      - .offset:         3256
        .size:           8
        .value_kind:     hidden_global_offset_x
      - .offset:         3264
        .size:           8
        .value_kind:     hidden_global_offset_y
      - .offset:         3272
        .size:           8
        .value_kind:     hidden_global_offset_z
      - .offset:         3280
        .size:           2
        .value_kind:     hidden_grid_dims
    .group_segment_fixed_size: 2048
    .kernarg_segment_align: 8
    .kernarg_segment_size: 3472
    .language:       OpenCL C
    .language_version:
      - 2
      - 0
    .max_flat_workgroup_size: 1024
    .name:           _ZN2at6native14lpnorm_cleanupIN3c104HalfELNS0_8NormTypeE2ES3_Lb0EfEEvPKT3_NS0_19TensorListAddressesEi
    .private_segment_fixed_size: 0
    .sgpr_count:     22
    .sgpr_spill_count: 0
    .symbol:         _ZN2at6native14lpnorm_cleanupIN3c104HalfELNS0_8NormTypeE2ES3_Lb0EfEEvPKT3_NS0_19TensorListAddressesEi.kd
    .uniform_work_group_size: 1
    .uses_dynamic_stack: false
    .vgpr_count:     11
    .vgpr_spill_count: 0
    .wavefront_size: 64
  - .agpr_count:     0
    .args:
      - .address_space:  global
        .offset:         0
        .size:           8
        .value_kind:     global_buffer
      - .offset:         8
        .size:           3200
        .value_kind:     by_value
      - .offset:         3208
        .size:           4
        .value_kind:     by_value
      - .offset:         3216
        .size:           4
        .value_kind:     hidden_block_count_x
      - .offset:         3220
        .size:           4
        .value_kind:     hidden_block_count_y
      - .offset:         3224
        .size:           4
        .value_kind:     hidden_block_count_z
      - .offset:         3228
        .size:           2
        .value_kind:     hidden_group_size_x
      - .offset:         3230
        .size:           2
        .value_kind:     hidden_group_size_y
      - .offset:         3232
        .size:           2
        .value_kind:     hidden_group_size_z
      - .offset:         3234
        .size:           2
        .value_kind:     hidden_remainder_x
      - .offset:         3236
        .size:           2
        .value_kind:     hidden_remainder_y
      - .offset:         3238
        .size:           2
        .value_kind:     hidden_remainder_z
      - .offset:         3256
        .size:           8
        .value_kind:     hidden_global_offset_x
      - .offset:         3264
        .size:           8
        .value_kind:     hidden_global_offset_y
      - .offset:         3272
        .size:           8
        .value_kind:     hidden_global_offset_z
      - .offset:         3280
        .size:           2
        .value_kind:     hidden_grid_dims
    .group_segment_fixed_size: 2048
    .kernarg_segment_align: 8
    .kernarg_segment_size: 3472
    .language:       OpenCL C
    .language_version:
      - 2
      - 0
    .max_flat_workgroup_size: 1024
    .name:           _ZN2at6native14lpnorm_cleanupIN3c104HalfELNS0_8NormTypeE0ENS2_8BFloat16ELb0EfEEvPKT3_NS0_19TensorListAddressesEi
    .private_segment_fixed_size: 0
    .sgpr_count:     22
    .sgpr_spill_count: 0
    .symbol:         _ZN2at6native14lpnorm_cleanupIN3c104HalfELNS0_8NormTypeE0ENS2_8BFloat16ELb0EfEEvPKT3_NS0_19TensorListAddressesEi.kd
    .uniform_work_group_size: 1
    .uses_dynamic_stack: false
    .vgpr_count:     11
    .vgpr_spill_count: 0
    .wavefront_size: 64
  - .agpr_count:     0
    .args:
      - .address_space:  global
        .offset:         0
        .size:           8
        .value_kind:     global_buffer
      - .offset:         8
        .size:           3200
        .value_kind:     by_value
      - .offset:         3208
        .size:           4
        .value_kind:     by_value
      - .offset:         3216
        .size:           4
        .value_kind:     hidden_block_count_x
      - .offset:         3220
        .size:           4
        .value_kind:     hidden_block_count_y
      - .offset:         3224
        .size:           4
        .value_kind:     hidden_block_count_z
      - .offset:         3228
        .size:           2
        .value_kind:     hidden_group_size_x
      - .offset:         3230
        .size:           2
        .value_kind:     hidden_group_size_y
      - .offset:         3232
        .size:           2
        .value_kind:     hidden_group_size_z
      - .offset:         3234
        .size:           2
        .value_kind:     hidden_remainder_x
      - .offset:         3236
        .size:           2
        .value_kind:     hidden_remainder_y
      - .offset:         3238
        .size:           2
        .value_kind:     hidden_remainder_z
      - .offset:         3256
        .size:           8
        .value_kind:     hidden_global_offset_x
      - .offset:         3264
        .size:           8
        .value_kind:     hidden_global_offset_y
      - .offset:         3272
        .size:           8
        .value_kind:     hidden_global_offset_z
      - .offset:         3280
        .size:           2
        .value_kind:     hidden_grid_dims
    .group_segment_fixed_size: 2048
    .kernarg_segment_align: 8
    .kernarg_segment_size: 3472
    .language:       OpenCL C
    .language_version:
      - 2
      - 0
    .max_flat_workgroup_size: 1024
    .name:           _ZN2at6native14lpnorm_cleanupIN3c104HalfELNS0_8NormTypeE1ENS2_8BFloat16ELb0EfEEvPKT3_NS0_19TensorListAddressesEi
    .private_segment_fixed_size: 0
    .sgpr_count:     22
    .sgpr_spill_count: 0
    .symbol:         _ZN2at6native14lpnorm_cleanupIN3c104HalfELNS0_8NormTypeE1ENS2_8BFloat16ELb0EfEEvPKT3_NS0_19TensorListAddressesEi.kd
    .uniform_work_group_size: 1
    .uses_dynamic_stack: false
    .vgpr_count:     11
    .vgpr_spill_count: 0
    .wavefront_size: 64
  - .agpr_count:     0
    .args:
      - .address_space:  global
        .offset:         0
        .size:           8
        .value_kind:     global_buffer
      - .offset:         8
        .size:           3200
        .value_kind:     by_value
      - .offset:         3208
        .size:           4
        .value_kind:     by_value
      - .offset:         3216
        .size:           4
        .value_kind:     hidden_block_count_x
      - .offset:         3220
        .size:           4
        .value_kind:     hidden_block_count_y
      - .offset:         3224
        .size:           4
        .value_kind:     hidden_block_count_z
      - .offset:         3228
        .size:           2
        .value_kind:     hidden_group_size_x
      - .offset:         3230
        .size:           2
        .value_kind:     hidden_group_size_y
      - .offset:         3232
        .size:           2
        .value_kind:     hidden_group_size_z
      - .offset:         3234
        .size:           2
        .value_kind:     hidden_remainder_x
      - .offset:         3236
        .size:           2
        .value_kind:     hidden_remainder_y
      - .offset:         3238
        .size:           2
        .value_kind:     hidden_remainder_z
      - .offset:         3256
        .size:           8
        .value_kind:     hidden_global_offset_x
      - .offset:         3264
        .size:           8
        .value_kind:     hidden_global_offset_y
      - .offset:         3272
        .size:           8
        .value_kind:     hidden_global_offset_z
      - .offset:         3280
        .size:           2
        .value_kind:     hidden_grid_dims
    .group_segment_fixed_size: 2048
    .kernarg_segment_align: 8
    .kernarg_segment_size: 3472
    .language:       OpenCL C
    .language_version:
      - 2
      - 0
    .max_flat_workgroup_size: 1024
    .name:           _ZN2at6native14lpnorm_cleanupIN3c104HalfELNS0_8NormTypeE2ENS2_8BFloat16ELb0EfEEvPKT3_NS0_19TensorListAddressesEi
    .private_segment_fixed_size: 0
    .sgpr_count:     22
    .sgpr_spill_count: 0
    .symbol:         _ZN2at6native14lpnorm_cleanupIN3c104HalfELNS0_8NormTypeE2ENS2_8BFloat16ELb0EfEEvPKT3_NS0_19TensorListAddressesEi.kd
    .uniform_work_group_size: 1
    .uses_dynamic_stack: false
    .vgpr_count:     11
    .vgpr_spill_count: 0
    .wavefront_size: 64
  - .agpr_count:     0
    .args:
      - .address_space:  global
        .offset:         0
        .size:           8
        .value_kind:     global_buffer
      - .offset:         8
        .size:           3200
        .value_kind:     by_value
      - .offset:         3208
        .size:           4
        .value_kind:     by_value
      - .offset:         3216
        .size:           4
        .value_kind:     hidden_block_count_x
      - .offset:         3220
        .size:           4
        .value_kind:     hidden_block_count_y
      - .offset:         3224
        .size:           4
        .value_kind:     hidden_block_count_z
      - .offset:         3228
        .size:           2
        .value_kind:     hidden_group_size_x
      - .offset:         3230
        .size:           2
        .value_kind:     hidden_group_size_y
      - .offset:         3232
        .size:           2
        .value_kind:     hidden_group_size_z
      - .offset:         3234
        .size:           2
        .value_kind:     hidden_remainder_x
      - .offset:         3236
        .size:           2
        .value_kind:     hidden_remainder_y
      - .offset:         3238
        .size:           2
        .value_kind:     hidden_remainder_z
      - .offset:         3256
        .size:           8
        .value_kind:     hidden_global_offset_x
      - .offset:         3264
        .size:           8
        .value_kind:     hidden_global_offset_y
      - .offset:         3272
        .size:           8
        .value_kind:     hidden_global_offset_z
      - .offset:         3280
        .size:           2
        .value_kind:     hidden_grid_dims
    .group_segment_fixed_size: 4096
    .kernarg_segment_align: 8
    .kernarg_segment_size: 3472
    .language:       OpenCL C
    .language_version:
      - 2
      - 0
    .max_flat_workgroup_size: 1024
    .name:           _ZN2at6native14lpnorm_cleanupIN3c108BFloat16ELNS0_8NormTypeE0EdLb0EdEEvPKT3_NS0_19TensorListAddressesEi
    .private_segment_fixed_size: 0
    .sgpr_count:     22
    .sgpr_spill_count: 0
    .symbol:         _ZN2at6native14lpnorm_cleanupIN3c108BFloat16ELNS0_8NormTypeE0EdLb0EdEEvPKT3_NS0_19TensorListAddressesEi.kd
    .uniform_work_group_size: 1
    .uses_dynamic_stack: false
    .vgpr_count:     13
    .vgpr_spill_count: 0
    .wavefront_size: 64
  - .agpr_count:     0
    .args:
      - .address_space:  global
        .offset:         0
        .size:           8
        .value_kind:     global_buffer
      - .offset:         8
        .size:           3200
        .value_kind:     by_value
      - .offset:         3208
        .size:           4
        .value_kind:     by_value
      - .offset:         3216
        .size:           4
        .value_kind:     hidden_block_count_x
      - .offset:         3220
        .size:           4
        .value_kind:     hidden_block_count_y
      - .offset:         3224
        .size:           4
        .value_kind:     hidden_block_count_z
      - .offset:         3228
        .size:           2
        .value_kind:     hidden_group_size_x
      - .offset:         3230
        .size:           2
        .value_kind:     hidden_group_size_y
      - .offset:         3232
        .size:           2
        .value_kind:     hidden_group_size_z
      - .offset:         3234
        .size:           2
        .value_kind:     hidden_remainder_x
      - .offset:         3236
        .size:           2
        .value_kind:     hidden_remainder_y
      - .offset:         3238
        .size:           2
        .value_kind:     hidden_remainder_z
      - .offset:         3256
        .size:           8
        .value_kind:     hidden_global_offset_x
      - .offset:         3264
        .size:           8
        .value_kind:     hidden_global_offset_y
      - .offset:         3272
        .size:           8
        .value_kind:     hidden_global_offset_z
      - .offset:         3280
        .size:           2
        .value_kind:     hidden_grid_dims
    .group_segment_fixed_size: 4096
    .kernarg_segment_align: 8
    .kernarg_segment_size: 3472
    .language:       OpenCL C
    .language_version:
      - 2
      - 0
    .max_flat_workgroup_size: 1024
    .name:           _ZN2at6native14lpnorm_cleanupIN3c108BFloat16ELNS0_8NormTypeE1EdLb0EdEEvPKT3_NS0_19TensorListAddressesEi
    .private_segment_fixed_size: 0
    .sgpr_count:     22
    .sgpr_spill_count: 0
    .symbol:         _ZN2at6native14lpnorm_cleanupIN3c108BFloat16ELNS0_8NormTypeE1EdLb0EdEEvPKT3_NS0_19TensorListAddressesEi.kd
    .uniform_work_group_size: 1
    .uses_dynamic_stack: false
    .vgpr_count:     13
    .vgpr_spill_count: 0
    .wavefront_size: 64
  - .agpr_count:     0
    .args:
      - .address_space:  global
        .offset:         0
        .size:           8
        .value_kind:     global_buffer
      - .offset:         8
        .size:           3200
        .value_kind:     by_value
      - .offset:         3208
        .size:           4
        .value_kind:     by_value
      - .offset:         3216
        .size:           4
        .value_kind:     hidden_block_count_x
      - .offset:         3220
        .size:           4
        .value_kind:     hidden_block_count_y
      - .offset:         3224
        .size:           4
        .value_kind:     hidden_block_count_z
      - .offset:         3228
        .size:           2
        .value_kind:     hidden_group_size_x
      - .offset:         3230
        .size:           2
        .value_kind:     hidden_group_size_y
      - .offset:         3232
        .size:           2
        .value_kind:     hidden_group_size_z
      - .offset:         3234
        .size:           2
        .value_kind:     hidden_remainder_x
      - .offset:         3236
        .size:           2
        .value_kind:     hidden_remainder_y
      - .offset:         3238
        .size:           2
        .value_kind:     hidden_remainder_z
      - .offset:         3256
        .size:           8
        .value_kind:     hidden_global_offset_x
      - .offset:         3264
        .size:           8
        .value_kind:     hidden_global_offset_y
      - .offset:         3272
        .size:           8
        .value_kind:     hidden_global_offset_z
      - .offset:         3280
        .size:           2
        .value_kind:     hidden_grid_dims
    .group_segment_fixed_size: 4096
    .kernarg_segment_align: 8
    .kernarg_segment_size: 3472
    .language:       OpenCL C
    .language_version:
      - 2
      - 0
    .max_flat_workgroup_size: 1024
    .name:           _ZN2at6native14lpnorm_cleanupIN3c108BFloat16ELNS0_8NormTypeE2EdLb0EdEEvPKT3_NS0_19TensorListAddressesEi
    .private_segment_fixed_size: 0
    .sgpr_count:     22
    .sgpr_spill_count: 0
    .symbol:         _ZN2at6native14lpnorm_cleanupIN3c108BFloat16ELNS0_8NormTypeE2EdLb0EdEEvPKT3_NS0_19TensorListAddressesEi.kd
    .uniform_work_group_size: 1
    .uses_dynamic_stack: false
    .vgpr_count:     13
    .vgpr_spill_count: 0
    .wavefront_size: 64
  - .agpr_count:     0
    .args:
      - .address_space:  global
        .offset:         0
        .size:           8
        .value_kind:     global_buffer
      - .offset:         8
        .size:           3200
        .value_kind:     by_value
      - .offset:         3208
        .size:           4
        .value_kind:     by_value
      - .offset:         3216
        .size:           4
        .value_kind:     hidden_block_count_x
      - .offset:         3220
        .size:           4
        .value_kind:     hidden_block_count_y
      - .offset:         3224
        .size:           4
        .value_kind:     hidden_block_count_z
      - .offset:         3228
        .size:           2
        .value_kind:     hidden_group_size_x
      - .offset:         3230
        .size:           2
        .value_kind:     hidden_group_size_y
      - .offset:         3232
        .size:           2
        .value_kind:     hidden_group_size_z
      - .offset:         3234
        .size:           2
        .value_kind:     hidden_remainder_x
      - .offset:         3236
        .size:           2
        .value_kind:     hidden_remainder_y
      - .offset:         3238
        .size:           2
        .value_kind:     hidden_remainder_z
      - .offset:         3256
        .size:           8
        .value_kind:     hidden_global_offset_x
      - .offset:         3264
        .size:           8
        .value_kind:     hidden_global_offset_y
      - .offset:         3272
        .size:           8
        .value_kind:     hidden_global_offset_z
      - .offset:         3280
        .size:           2
        .value_kind:     hidden_grid_dims
    .group_segment_fixed_size: 2048
    .kernarg_segment_align: 8
    .kernarg_segment_size: 3472
    .language:       OpenCL C
    .language_version:
      - 2
      - 0
    .max_flat_workgroup_size: 1024
    .name:           _ZN2at6native14lpnorm_cleanupIN3c108BFloat16ELNS0_8NormTypeE0EfLb0EfEEvPKT3_NS0_19TensorListAddressesEi
    .private_segment_fixed_size: 0
    .sgpr_count:     22
    .sgpr_spill_count: 0
    .symbol:         _ZN2at6native14lpnorm_cleanupIN3c108BFloat16ELNS0_8NormTypeE0EfLb0EfEEvPKT3_NS0_19TensorListAddressesEi.kd
    .uniform_work_group_size: 1
    .uses_dynamic_stack: false
    .vgpr_count:     11
    .vgpr_spill_count: 0
    .wavefront_size: 64
  - .agpr_count:     0
    .args:
      - .address_space:  global
        .offset:         0
        .size:           8
        .value_kind:     global_buffer
      - .offset:         8
        .size:           3200
        .value_kind:     by_value
      - .offset:         3208
        .size:           4
        .value_kind:     by_value
      - .offset:         3216
        .size:           4
        .value_kind:     hidden_block_count_x
      - .offset:         3220
        .size:           4
        .value_kind:     hidden_block_count_y
      - .offset:         3224
        .size:           4
        .value_kind:     hidden_block_count_z
      - .offset:         3228
        .size:           2
        .value_kind:     hidden_group_size_x
      - .offset:         3230
        .size:           2
        .value_kind:     hidden_group_size_y
      - .offset:         3232
        .size:           2
        .value_kind:     hidden_group_size_z
      - .offset:         3234
        .size:           2
        .value_kind:     hidden_remainder_x
      - .offset:         3236
        .size:           2
        .value_kind:     hidden_remainder_y
      - .offset:         3238
        .size:           2
        .value_kind:     hidden_remainder_z
      - .offset:         3256
        .size:           8
        .value_kind:     hidden_global_offset_x
      - .offset:         3264
        .size:           8
        .value_kind:     hidden_global_offset_y
      - .offset:         3272
        .size:           8
        .value_kind:     hidden_global_offset_z
      - .offset:         3280
        .size:           2
        .value_kind:     hidden_grid_dims
    .group_segment_fixed_size: 2048
    .kernarg_segment_align: 8
    .kernarg_segment_size: 3472
    .language:       OpenCL C
    .language_version:
      - 2
      - 0
    .max_flat_workgroup_size: 1024
    .name:           _ZN2at6native14lpnorm_cleanupIN3c108BFloat16ELNS0_8NormTypeE1EfLb0EfEEvPKT3_NS0_19TensorListAddressesEi
    .private_segment_fixed_size: 0
    .sgpr_count:     22
    .sgpr_spill_count: 0
    .symbol:         _ZN2at6native14lpnorm_cleanupIN3c108BFloat16ELNS0_8NormTypeE1EfLb0EfEEvPKT3_NS0_19TensorListAddressesEi.kd
    .uniform_work_group_size: 1
    .uses_dynamic_stack: false
    .vgpr_count:     11
    .vgpr_spill_count: 0
    .wavefront_size: 64
  - .agpr_count:     0
    .args:
      - .address_space:  global
        .offset:         0
        .size:           8
        .value_kind:     global_buffer
      - .offset:         8
        .size:           3200
        .value_kind:     by_value
      - .offset:         3208
        .size:           4
        .value_kind:     by_value
      - .offset:         3216
        .size:           4
        .value_kind:     hidden_block_count_x
      - .offset:         3220
        .size:           4
        .value_kind:     hidden_block_count_y
      - .offset:         3224
        .size:           4
        .value_kind:     hidden_block_count_z
      - .offset:         3228
        .size:           2
        .value_kind:     hidden_group_size_x
      - .offset:         3230
        .size:           2
        .value_kind:     hidden_group_size_y
      - .offset:         3232
        .size:           2
        .value_kind:     hidden_group_size_z
      - .offset:         3234
        .size:           2
        .value_kind:     hidden_remainder_x
      - .offset:         3236
        .size:           2
        .value_kind:     hidden_remainder_y
      - .offset:         3238
        .size:           2
        .value_kind:     hidden_remainder_z
      - .offset:         3256
        .size:           8
        .value_kind:     hidden_global_offset_x
      - .offset:         3264
        .size:           8
        .value_kind:     hidden_global_offset_y
      - .offset:         3272
        .size:           8
        .value_kind:     hidden_global_offset_z
      - .offset:         3280
        .size:           2
        .value_kind:     hidden_grid_dims
    .group_segment_fixed_size: 2048
    .kernarg_segment_align: 8
    .kernarg_segment_size: 3472
    .language:       OpenCL C
    .language_version:
      - 2
      - 0
    .max_flat_workgroup_size: 1024
    .name:           _ZN2at6native14lpnorm_cleanupIN3c108BFloat16ELNS0_8NormTypeE2EfLb0EfEEvPKT3_NS0_19TensorListAddressesEi
    .private_segment_fixed_size: 0
    .sgpr_count:     22
    .sgpr_spill_count: 0
    .symbol:         _ZN2at6native14lpnorm_cleanupIN3c108BFloat16ELNS0_8NormTypeE2EfLb0EfEEvPKT3_NS0_19TensorListAddressesEi.kd
    .uniform_work_group_size: 1
    .uses_dynamic_stack: false
    .vgpr_count:     11
    .vgpr_spill_count: 0
    .wavefront_size: 64
  - .agpr_count:     0
    .args:
      - .address_space:  global
        .offset:         0
        .size:           8
        .value_kind:     global_buffer
      - .offset:         8
        .size:           3200
        .value_kind:     by_value
      - .offset:         3208
        .size:           4
        .value_kind:     by_value
      - .offset:         3216
        .size:           4
        .value_kind:     hidden_block_count_x
      - .offset:         3220
        .size:           4
        .value_kind:     hidden_block_count_y
      - .offset:         3224
        .size:           4
        .value_kind:     hidden_block_count_z
      - .offset:         3228
        .size:           2
        .value_kind:     hidden_group_size_x
      - .offset:         3230
        .size:           2
        .value_kind:     hidden_group_size_y
      - .offset:         3232
        .size:           2
        .value_kind:     hidden_group_size_z
      - .offset:         3234
        .size:           2
        .value_kind:     hidden_remainder_x
      - .offset:         3236
        .size:           2
        .value_kind:     hidden_remainder_y
      - .offset:         3238
        .size:           2
        .value_kind:     hidden_remainder_z
      - .offset:         3256
        .size:           8
        .value_kind:     hidden_global_offset_x
      - .offset:         3264
        .size:           8
        .value_kind:     hidden_global_offset_y
      - .offset:         3272
        .size:           8
        .value_kind:     hidden_global_offset_z
      - .offset:         3280
        .size:           2
        .value_kind:     hidden_grid_dims
    .group_segment_fixed_size: 2048
    .kernarg_segment_align: 8
    .kernarg_segment_size: 3472
    .language:       OpenCL C
    .language_version:
      - 2
      - 0
    .max_flat_workgroup_size: 1024
    .name:           _ZN2at6native14lpnorm_cleanupIN3c108BFloat16ELNS0_8NormTypeE0ENS2_4HalfELb0EfEEvPKT3_NS0_19TensorListAddressesEi
    .private_segment_fixed_size: 0
    .sgpr_count:     22
    .sgpr_spill_count: 0
    .symbol:         _ZN2at6native14lpnorm_cleanupIN3c108BFloat16ELNS0_8NormTypeE0ENS2_4HalfELb0EfEEvPKT3_NS0_19TensorListAddressesEi.kd
    .uniform_work_group_size: 1
    .uses_dynamic_stack: false
    .vgpr_count:     11
    .vgpr_spill_count: 0
    .wavefront_size: 64
  - .agpr_count:     0
    .args:
      - .address_space:  global
        .offset:         0
        .size:           8
        .value_kind:     global_buffer
      - .offset:         8
        .size:           3200
        .value_kind:     by_value
      - .offset:         3208
        .size:           4
        .value_kind:     by_value
      - .offset:         3216
        .size:           4
        .value_kind:     hidden_block_count_x
      - .offset:         3220
        .size:           4
        .value_kind:     hidden_block_count_y
      - .offset:         3224
        .size:           4
        .value_kind:     hidden_block_count_z
      - .offset:         3228
        .size:           2
        .value_kind:     hidden_group_size_x
      - .offset:         3230
        .size:           2
        .value_kind:     hidden_group_size_y
      - .offset:         3232
        .size:           2
        .value_kind:     hidden_group_size_z
      - .offset:         3234
        .size:           2
        .value_kind:     hidden_remainder_x
      - .offset:         3236
        .size:           2
        .value_kind:     hidden_remainder_y
      - .offset:         3238
        .size:           2
        .value_kind:     hidden_remainder_z
      - .offset:         3256
        .size:           8
        .value_kind:     hidden_global_offset_x
      - .offset:         3264
        .size:           8
        .value_kind:     hidden_global_offset_y
      - .offset:         3272
        .size:           8
        .value_kind:     hidden_global_offset_z
      - .offset:         3280
        .size:           2
        .value_kind:     hidden_grid_dims
    .group_segment_fixed_size: 2048
    .kernarg_segment_align: 8
    .kernarg_segment_size: 3472
    .language:       OpenCL C
    .language_version:
      - 2
      - 0
    .max_flat_workgroup_size: 1024
    .name:           _ZN2at6native14lpnorm_cleanupIN3c108BFloat16ELNS0_8NormTypeE1ENS2_4HalfELb0EfEEvPKT3_NS0_19TensorListAddressesEi
    .private_segment_fixed_size: 0
    .sgpr_count:     22
    .sgpr_spill_count: 0
    .symbol:         _ZN2at6native14lpnorm_cleanupIN3c108BFloat16ELNS0_8NormTypeE1ENS2_4HalfELb0EfEEvPKT3_NS0_19TensorListAddressesEi.kd
    .uniform_work_group_size: 1
    .uses_dynamic_stack: false
    .vgpr_count:     11
    .vgpr_spill_count: 0
    .wavefront_size: 64
  - .agpr_count:     0
    .args:
      - .address_space:  global
        .offset:         0
        .size:           8
        .value_kind:     global_buffer
      - .offset:         8
        .size:           3200
        .value_kind:     by_value
      - .offset:         3208
        .size:           4
        .value_kind:     by_value
      - .offset:         3216
        .size:           4
        .value_kind:     hidden_block_count_x
      - .offset:         3220
        .size:           4
        .value_kind:     hidden_block_count_y
      - .offset:         3224
        .size:           4
        .value_kind:     hidden_block_count_z
      - .offset:         3228
        .size:           2
        .value_kind:     hidden_group_size_x
      - .offset:         3230
        .size:           2
        .value_kind:     hidden_group_size_y
      - .offset:         3232
        .size:           2
        .value_kind:     hidden_group_size_z
      - .offset:         3234
        .size:           2
        .value_kind:     hidden_remainder_x
      - .offset:         3236
        .size:           2
        .value_kind:     hidden_remainder_y
      - .offset:         3238
        .size:           2
        .value_kind:     hidden_remainder_z
      - .offset:         3256
        .size:           8
        .value_kind:     hidden_global_offset_x
      - .offset:         3264
        .size:           8
        .value_kind:     hidden_global_offset_y
      - .offset:         3272
        .size:           8
        .value_kind:     hidden_global_offset_z
      - .offset:         3280
        .size:           2
        .value_kind:     hidden_grid_dims
    .group_segment_fixed_size: 2048
    .kernarg_segment_align: 8
    .kernarg_segment_size: 3472
    .language:       OpenCL C
    .language_version:
      - 2
      - 0
    .max_flat_workgroup_size: 1024
    .name:           _ZN2at6native14lpnorm_cleanupIN3c108BFloat16ELNS0_8NormTypeE2ENS2_4HalfELb0EfEEvPKT3_NS0_19TensorListAddressesEi
    .private_segment_fixed_size: 0
    .sgpr_count:     22
    .sgpr_spill_count: 0
    .symbol:         _ZN2at6native14lpnorm_cleanupIN3c108BFloat16ELNS0_8NormTypeE2ENS2_4HalfELb0EfEEvPKT3_NS0_19TensorListAddressesEi.kd
    .uniform_work_group_size: 1
    .uses_dynamic_stack: false
    .vgpr_count:     11
    .vgpr_spill_count: 0
    .wavefront_size: 64
  - .agpr_count:     0
    .args:
      - .address_space:  global
        .offset:         0
        .size:           8
        .value_kind:     global_buffer
      - .offset:         8
        .size:           3200
        .value_kind:     by_value
      - .offset:         3208
        .size:           4
        .value_kind:     by_value
      - .offset:         3216
        .size:           4
        .value_kind:     hidden_block_count_x
      - .offset:         3220
        .size:           4
        .value_kind:     hidden_block_count_y
      - .offset:         3224
        .size:           4
        .value_kind:     hidden_block_count_z
      - .offset:         3228
        .size:           2
        .value_kind:     hidden_group_size_x
      - .offset:         3230
        .size:           2
        .value_kind:     hidden_group_size_y
      - .offset:         3232
        .size:           2
        .value_kind:     hidden_group_size_z
      - .offset:         3234
        .size:           2
        .value_kind:     hidden_remainder_x
      - .offset:         3236
        .size:           2
        .value_kind:     hidden_remainder_y
      - .offset:         3238
        .size:           2
        .value_kind:     hidden_remainder_z
      - .offset:         3256
        .size:           8
        .value_kind:     hidden_global_offset_x
      - .offset:         3264
        .size:           8
        .value_kind:     hidden_global_offset_y
      - .offset:         3272
        .size:           8
        .value_kind:     hidden_global_offset_z
      - .offset:         3280
        .size:           2
        .value_kind:     hidden_grid_dims
    .group_segment_fixed_size: 2048
    .kernarg_segment_align: 8
    .kernarg_segment_size: 3472
    .language:       OpenCL C
    .language_version:
      - 2
      - 0
    .max_flat_workgroup_size: 1024
    .name:           _ZN2at6native14lpnorm_cleanupIN3c108BFloat16ELNS0_8NormTypeE0ES3_Lb0EfEEvPKT3_NS0_19TensorListAddressesEi
    .private_segment_fixed_size: 0
    .sgpr_count:     22
    .sgpr_spill_count: 0
    .symbol:         _ZN2at6native14lpnorm_cleanupIN3c108BFloat16ELNS0_8NormTypeE0ES3_Lb0EfEEvPKT3_NS0_19TensorListAddressesEi.kd
    .uniform_work_group_size: 1
    .uses_dynamic_stack: false
    .vgpr_count:     11
    .vgpr_spill_count: 0
    .wavefront_size: 64
  - .agpr_count:     0
    .args:
      - .address_space:  global
        .offset:         0
        .size:           8
        .value_kind:     global_buffer
      - .offset:         8
        .size:           3200
        .value_kind:     by_value
      - .offset:         3208
        .size:           4
        .value_kind:     by_value
      - .offset:         3216
        .size:           4
        .value_kind:     hidden_block_count_x
      - .offset:         3220
        .size:           4
        .value_kind:     hidden_block_count_y
      - .offset:         3224
        .size:           4
        .value_kind:     hidden_block_count_z
      - .offset:         3228
        .size:           2
        .value_kind:     hidden_group_size_x
      - .offset:         3230
        .size:           2
        .value_kind:     hidden_group_size_y
      - .offset:         3232
        .size:           2
        .value_kind:     hidden_group_size_z
      - .offset:         3234
        .size:           2
        .value_kind:     hidden_remainder_x
      - .offset:         3236
        .size:           2
        .value_kind:     hidden_remainder_y
      - .offset:         3238
        .size:           2
        .value_kind:     hidden_remainder_z
      - .offset:         3256
        .size:           8
        .value_kind:     hidden_global_offset_x
      - .offset:         3264
        .size:           8
        .value_kind:     hidden_global_offset_y
      - .offset:         3272
        .size:           8
        .value_kind:     hidden_global_offset_z
      - .offset:         3280
        .size:           2
        .value_kind:     hidden_grid_dims
    .group_segment_fixed_size: 2048
    .kernarg_segment_align: 8
    .kernarg_segment_size: 3472
    .language:       OpenCL C
    .language_version:
      - 2
      - 0
    .max_flat_workgroup_size: 1024
    .name:           _ZN2at6native14lpnorm_cleanupIN3c108BFloat16ELNS0_8NormTypeE1ES3_Lb0EfEEvPKT3_NS0_19TensorListAddressesEi
    .private_segment_fixed_size: 0
    .sgpr_count:     22
    .sgpr_spill_count: 0
    .symbol:         _ZN2at6native14lpnorm_cleanupIN3c108BFloat16ELNS0_8NormTypeE1ES3_Lb0EfEEvPKT3_NS0_19TensorListAddressesEi.kd
    .uniform_work_group_size: 1
    .uses_dynamic_stack: false
    .vgpr_count:     11
    .vgpr_spill_count: 0
    .wavefront_size: 64
  - .agpr_count:     0
    .args:
      - .address_space:  global
        .offset:         0
        .size:           8
        .value_kind:     global_buffer
      - .offset:         8
        .size:           3200
        .value_kind:     by_value
      - .offset:         3208
        .size:           4
        .value_kind:     by_value
      - .offset:         3216
        .size:           4
        .value_kind:     hidden_block_count_x
      - .offset:         3220
        .size:           4
        .value_kind:     hidden_block_count_y
      - .offset:         3224
        .size:           4
        .value_kind:     hidden_block_count_z
      - .offset:         3228
        .size:           2
        .value_kind:     hidden_group_size_x
      - .offset:         3230
        .size:           2
        .value_kind:     hidden_group_size_y
      - .offset:         3232
        .size:           2
        .value_kind:     hidden_group_size_z
      - .offset:         3234
        .size:           2
        .value_kind:     hidden_remainder_x
      - .offset:         3236
        .size:           2
        .value_kind:     hidden_remainder_y
      - .offset:         3238
        .size:           2
        .value_kind:     hidden_remainder_z
      - .offset:         3256
        .size:           8
        .value_kind:     hidden_global_offset_x
      - .offset:         3264
        .size:           8
        .value_kind:     hidden_global_offset_y
      - .offset:         3272
        .size:           8
        .value_kind:     hidden_global_offset_z
      - .offset:         3280
        .size:           2
        .value_kind:     hidden_grid_dims
    .group_segment_fixed_size: 2048
    .kernarg_segment_align: 8
    .kernarg_segment_size: 3472
    .language:       OpenCL C
    .language_version:
      - 2
      - 0
    .max_flat_workgroup_size: 1024
    .name:           _ZN2at6native14lpnorm_cleanupIN3c108BFloat16ELNS0_8NormTypeE2ES3_Lb0EfEEvPKT3_NS0_19TensorListAddressesEi
    .private_segment_fixed_size: 0
    .sgpr_count:     22
    .sgpr_spill_count: 0
    .symbol:         _ZN2at6native14lpnorm_cleanupIN3c108BFloat16ELNS0_8NormTypeE2ES3_Lb0EfEEvPKT3_NS0_19TensorListAddressesEi.kd
    .uniform_work_group_size: 1
    .uses_dynamic_stack: false
    .vgpr_count:     11
    .vgpr_spill_count: 0
    .wavefront_size: 64
amdhsa.target:   amdgcn-amd-amdhsa--gfx950
amdhsa.version:
  - 1
  - 2
...

	.end_amdgpu_metadata
